;; amdgpu-corpus repo=ROCm/rccl kind=compiled arch=gfx1100 opt=O3
	.text
	.amdgcn_target "amdgcn-amd-amdhsa--gfx1100"
	.amdhsa_code_object_version 6
	.p2align	2                               ; -- Begin function __ockl_fprintf_append_string_n
	.type	__ockl_fprintf_append_string_n,@function
__ockl_fprintf_append_string_n:         ; @__ockl_fprintf_append_string_n
; %bb.0:
	s_waitcnt vmcnt(0) expcnt(0) lgkmcnt(0)
	v_dual_mov_b32 v8, v3 :: v_dual_mov_b32 v7, v2
	v_or_b32_e32 v2, 2, v0
	v_cmp_eq_u32_e32 vcc_lo, 0, v6
	v_mbcnt_lo_u32_b32 v33, -1, 0
	s_mov_b32 s11, 0
	s_mov_b32 s0, exec_lo
	v_cndmask_b32_e32 v0, v2, v0, vcc_lo
	v_cmpx_ne_u64_e32 0, v[7:8]
	s_xor_b32 s10, exec_lo, s0
	s_cbranch_execz .LBB0_86
; %bb.1:
	s_load_b64 s[2:3], s[8:9], 0x50
	v_dual_mov_b32 v11, 2 :: v_dual_and_b32 v6, 2, v0
	v_mov_b32_e32 v10, 0
	v_and_b32_e32 v0, -3, v0
	v_mov_b32_e32 v12, 1
	s_mov_b32 s12, 0
	s_branch .LBB0_3
.LBB0_2:                                ;   in Loop: Header=BB0_3 Depth=1
	s_or_b32 exec_lo, exec_lo, s1
	v_sub_co_u32 v4, vcc_lo, v4, v29
	v_sub_co_ci_u32_e32 v5, vcc_lo, v5, v30, vcc_lo
	v_add_co_u32 v7, s0, v7, v29
	s_delay_alu instid0(VALU_DEP_1) | instskip(NEXT) | instid1(VALU_DEP_3)
	v_add_co_ci_u32_e64 v8, s0, v8, v30, s0
	v_cmp_eq_u64_e32 vcc_lo, 0, v[4:5]
	s_or_b32 s12, vcc_lo, s12
	s_delay_alu instid0(SALU_CYCLE_1)
	s_and_not1_b32 exec_lo, exec_lo, s12
	s_cbranch_execz .LBB0_85
.LBB0_3:                                ; =>This Loop Header: Depth=1
                                        ;     Child Loop BB0_6 Depth 2
                                        ;     Child Loop BB0_14 Depth 2
	;; [unrolled: 1-line block ×11, first 2 shown]
	v_cmp_gt_u64_e32 vcc_lo, 56, v[4:5]
	s_mov_b32 s1, exec_lo
                                        ; implicit-def: $vgpr2_vgpr3
                                        ; implicit-def: $sgpr4
	v_dual_cndmask_b32 v30, 0, v5 :: v_dual_cndmask_b32 v29, 56, v4
	v_cmpx_gt_u64_e32 8, v[4:5]
	s_xor_b32 s1, exec_lo, s1
	s_cbranch_execz .LBB0_9
; %bb.4:                                ;   in Loop: Header=BB0_3 Depth=1
	s_waitcnt vmcnt(0)
	v_mov_b32_e32 v2, 0
	v_mov_b32_e32 v3, 0
	s_mov_b64 s[4:5], 0
	s_mov_b32 s6, exec_lo
	v_cmpx_ne_u64_e32 0, v[4:5]
	s_cbranch_execz .LBB0_8
; %bb.5:                                ;   in Loop: Header=BB0_3 Depth=1
	v_lshlrev_b64 v[13:14], 3, v[29:30]
	v_dual_mov_b32 v2, 0 :: v_dual_mov_b32 v15, v8
	v_dual_mov_b32 v3, 0 :: v_dual_mov_b32 v14, v7
	s_mov_b32 s7, 0
	.p2align	6
.LBB0_6:                                ;   Parent Loop BB0_3 Depth=1
                                        ; =>  This Inner Loop Header: Depth=2
	flat_load_u8 v9, v[14:15]
	v_mov_b32_e32 v17, s11
	v_add_co_u32 v14, vcc_lo, v14, 1
	v_add_co_ci_u32_e32 v15, vcc_lo, 0, v15, vcc_lo
	s_waitcnt vmcnt(0) lgkmcnt(0)
	v_and_b32_e32 v16, 0xffff, v9
	s_delay_alu instid0(VALU_DEP_1) | instskip(SKIP_3) | instid1(VALU_DEP_2)
	v_lshlrev_b64 v[16:17], s4, v[16:17]
	s_add_u32 s4, s4, 8
	s_addc_u32 s5, s5, 0
	v_cmp_eq_u32_e64 s0, s4, v13
	v_or_b32_e32 v3, v17, v3
	s_delay_alu instid0(VALU_DEP_3) | instskip(NEXT) | instid1(VALU_DEP_3)
	v_or_b32_e32 v2, v16, v2
	s_or_b32 s7, s0, s7
	s_delay_alu instid0(SALU_CYCLE_1)
	s_and_not1_b32 exec_lo, exec_lo, s7
	s_cbranch_execnz .LBB0_6
; %bb.7:                                ;   in Loop: Header=BB0_3 Depth=1
	s_or_b32 exec_lo, exec_lo, s7
.LBB0_8:                                ;   in Loop: Header=BB0_3 Depth=1
	s_delay_alu instid0(SALU_CYCLE_1)
	s_or_b32 exec_lo, exec_lo, s6
	s_mov_b32 s4, 0
.LBB0_9:                                ;   in Loop: Header=BB0_3 Depth=1
	s_or_saveexec_b32 s0, s1
	v_dual_mov_b32 v9, s4 :: v_dual_mov_b32 v26, v8
	v_mov_b32_e32 v25, v7
	s_xor_b32 exec_lo, exec_lo, s0
	s_cbranch_execz .LBB0_11
; %bb.10:                               ;   in Loop: Header=BB0_3 Depth=1
	s_waitcnt vmcnt(0)
	flat_load_b64 v[2:3], v[7:8]
	v_add_co_u32 v25, vcc_lo, v7, 8
	v_add_co_ci_u32_e32 v26, vcc_lo, 0, v8, vcc_lo
	s_waitcnt vmcnt(0) lgkmcnt(0)
	v_and_b32_e32 v9, 0xff, v3
	v_and_b32_e32 v13, 0xff00, v3
	;; [unrolled: 1-line block ×4, first 2 shown]
	v_or3_b32 v2, v2, 0, 0
	s_delay_alu instid0(VALU_DEP_4) | instskip(SKIP_1) | instid1(VALU_DEP_2)
	v_or_b32_e32 v13, v9, v13
	v_add_nc_u32_e32 v9, -8, v29
	v_or3_b32 v3, v13, v14, v3
.LBB0_11:                               ;   in Loop: Header=BB0_3 Depth=1
	s_or_b32 exec_lo, exec_lo, s0
                                        ; implicit-def: $vgpr13_vgpr14
                                        ; implicit-def: $sgpr1
	s_delay_alu instid0(SALU_CYCLE_1) | instskip(NEXT) | instid1(VALU_DEP_2)
	s_mov_b32 s0, exec_lo
	v_cmpx_gt_u32_e32 8, v9
	s_xor_b32 s6, exec_lo, s0
	s_cbranch_execz .LBB0_17
; %bb.12:                               ;   in Loop: Header=BB0_3 Depth=1
	v_mov_b32_e32 v13, 0
	v_mov_b32_e32 v14, 0
	s_mov_b32 s7, exec_lo
	v_cmpx_ne_u32_e32 0, v9
	s_cbranch_execz .LBB0_16
; %bb.13:                               ;   in Loop: Header=BB0_3 Depth=1
	v_mov_b32_e32 v13, 0
	v_mov_b32_e32 v14, 0
	s_mov_b64 s[0:1], 0
	s_mov_b32 s13, 0
	s_mov_b64 s[4:5], 0
	.p2align	6
.LBB0_14:                               ;   Parent Loop BB0_3 Depth=1
                                        ; =>  This Inner Loop Header: Depth=2
	s_delay_alu instid0(SALU_CYCLE_1)
	v_add_co_u32 v15, vcc_lo, v25, s4
	v_add_co_ci_u32_e32 v16, vcc_lo, s5, v26, vcc_lo
	s_add_u32 s4, s4, 1
	s_addc_u32 s5, s5, 0
	v_cmp_eq_u32_e32 vcc_lo, s4, v9
	flat_load_u8 v15, v[15:16]
	s_waitcnt vmcnt(0) lgkmcnt(0)
	v_dual_mov_b32 v16, s11 :: v_dual_and_b32 v15, 0xffff, v15
	s_delay_alu instid0(VALU_DEP_1) | instskip(SKIP_3) | instid1(VALU_DEP_1)
	v_lshlrev_b64 v[15:16], s0, v[15:16]
	s_add_u32 s0, s0, 8
	s_addc_u32 s1, s1, 0
	s_or_b32 s13, vcc_lo, s13
	v_or_b32_e32 v14, v16, v14
	s_delay_alu instid0(VALU_DEP_2)
	v_or_b32_e32 v13, v15, v13
	s_and_not1_b32 exec_lo, exec_lo, s13
	s_cbranch_execnz .LBB0_14
; %bb.15:                               ;   in Loop: Header=BB0_3 Depth=1
	s_or_b32 exec_lo, exec_lo, s13
.LBB0_16:                               ;   in Loop: Header=BB0_3 Depth=1
	s_delay_alu instid0(SALU_CYCLE_1)
	s_or_b32 exec_lo, exec_lo, s7
	s_mov_b32 s1, 0
                                        ; implicit-def: $vgpr9
.LBB0_17:                               ;   in Loop: Header=BB0_3 Depth=1
	s_or_saveexec_b32 s0, s6
	v_mov_b32_e32 v17, s1
	s_xor_b32 exec_lo, exec_lo, s0
	s_cbranch_execz .LBB0_19
; %bb.18:                               ;   in Loop: Header=BB0_3 Depth=1
	flat_load_b64 v[13:14], v[25:26]
	v_add_co_u32 v25, vcc_lo, v25, 8
	v_add_nc_u32_e32 v17, -8, v9
	v_add_co_ci_u32_e32 v26, vcc_lo, 0, v26, vcc_lo
	s_waitcnt vmcnt(0) lgkmcnt(0)
	v_and_b32_e32 v15, 0xff, v14
	v_and_b32_e32 v16, 0xff00, v14
	;; [unrolled: 1-line block ×4, first 2 shown]
	v_or3_b32 v13, v13, 0, 0
	s_delay_alu instid0(VALU_DEP_4) | instskip(NEXT) | instid1(VALU_DEP_1)
	v_or_b32_e32 v15, v15, v16
	v_or3_b32 v14, v15, v18, v14
.LBB0_19:                               ;   in Loop: Header=BB0_3 Depth=1
	s_or_b32 exec_lo, exec_lo, s0
                                        ; implicit-def: $sgpr1
	s_delay_alu instid0(SALU_CYCLE_1)
	s_mov_b32 s0, exec_lo
	v_cmpx_gt_u32_e32 8, v17
	s_xor_b32 s6, exec_lo, s0
	s_cbranch_execz .LBB0_25
; %bb.20:                               ;   in Loop: Header=BB0_3 Depth=1
	v_mov_b32_e32 v15, 0
	v_mov_b32_e32 v16, 0
	s_mov_b32 s7, exec_lo
	v_cmpx_ne_u32_e32 0, v17
	s_cbranch_execz .LBB0_24
; %bb.21:                               ;   in Loop: Header=BB0_3 Depth=1
	v_mov_b32_e32 v15, 0
	v_mov_b32_e32 v16, 0
	s_mov_b64 s[0:1], 0
	s_mov_b32 s13, 0
	s_mov_b64 s[4:5], 0
	.p2align	6
.LBB0_22:                               ;   Parent Loop BB0_3 Depth=1
                                        ; =>  This Inner Loop Header: Depth=2
	s_delay_alu instid0(SALU_CYCLE_1)
	v_add_co_u32 v18, vcc_lo, v25, s4
	v_add_co_ci_u32_e32 v19, vcc_lo, s5, v26, vcc_lo
	s_add_u32 s4, s4, 1
	s_addc_u32 s5, s5, 0
	v_cmp_eq_u32_e32 vcc_lo, s4, v17
	flat_load_u8 v9, v[18:19]
	s_waitcnt vmcnt(0) lgkmcnt(0)
	v_dual_mov_b32 v19, s11 :: v_dual_and_b32 v18, 0xffff, v9
	s_delay_alu instid0(VALU_DEP_1) | instskip(SKIP_3) | instid1(VALU_DEP_1)
	v_lshlrev_b64 v[18:19], s0, v[18:19]
	s_add_u32 s0, s0, 8
	s_addc_u32 s1, s1, 0
	s_or_b32 s13, vcc_lo, s13
	v_or_b32_e32 v16, v19, v16
	s_delay_alu instid0(VALU_DEP_2)
	v_or_b32_e32 v15, v18, v15
	s_and_not1_b32 exec_lo, exec_lo, s13
	s_cbranch_execnz .LBB0_22
; %bb.23:                               ;   in Loop: Header=BB0_3 Depth=1
	s_or_b32 exec_lo, exec_lo, s13
.LBB0_24:                               ;   in Loop: Header=BB0_3 Depth=1
	s_delay_alu instid0(SALU_CYCLE_1)
	s_or_b32 exec_lo, exec_lo, s7
	s_mov_b32 s1, 0
                                        ; implicit-def: $vgpr17
.LBB0_25:                               ;   in Loop: Header=BB0_3 Depth=1
	s_or_saveexec_b32 s0, s6
	v_mov_b32_e32 v9, s1
	s_xor_b32 exec_lo, exec_lo, s0
	s_cbranch_execz .LBB0_27
; %bb.26:                               ;   in Loop: Header=BB0_3 Depth=1
	flat_load_b64 v[15:16], v[25:26]
	v_add_co_u32 v25, vcc_lo, v25, 8
	v_add_co_ci_u32_e32 v26, vcc_lo, 0, v26, vcc_lo
	s_waitcnt vmcnt(0) lgkmcnt(0)
	v_and_b32_e32 v9, 0xff, v16
	v_and_b32_e32 v18, 0xff00, v16
	;; [unrolled: 1-line block ×4, first 2 shown]
	v_or3_b32 v15, v15, 0, 0
	s_delay_alu instid0(VALU_DEP_4) | instskip(SKIP_1) | instid1(VALU_DEP_2)
	v_or_b32_e32 v18, v9, v18
	v_add_nc_u32_e32 v9, -8, v17
	v_or3_b32 v16, v18, v19, v16
.LBB0_27:                               ;   in Loop: Header=BB0_3 Depth=1
	s_or_b32 exec_lo, exec_lo, s0
                                        ; implicit-def: $vgpr17_vgpr18
                                        ; implicit-def: $sgpr1
	s_delay_alu instid0(SALU_CYCLE_1) | instskip(NEXT) | instid1(VALU_DEP_1)
	s_mov_b32 s0, exec_lo
	v_cmpx_gt_u32_e32 8, v9
	s_xor_b32 s6, exec_lo, s0
	s_cbranch_execz .LBB0_33
; %bb.28:                               ;   in Loop: Header=BB0_3 Depth=1
	v_mov_b32_e32 v17, 0
	v_mov_b32_e32 v18, 0
	s_mov_b32 s7, exec_lo
	v_cmpx_ne_u32_e32 0, v9
	s_cbranch_execz .LBB0_32
; %bb.29:                               ;   in Loop: Header=BB0_3 Depth=1
	v_mov_b32_e32 v17, 0
	v_mov_b32_e32 v18, 0
	s_mov_b64 s[0:1], 0
	s_mov_b32 s13, 0
	s_mov_b64 s[4:5], 0
	.p2align	6
.LBB0_30:                               ;   Parent Loop BB0_3 Depth=1
                                        ; =>  This Inner Loop Header: Depth=2
	s_delay_alu instid0(SALU_CYCLE_1)
	v_add_co_u32 v19, vcc_lo, v25, s4
	v_add_co_ci_u32_e32 v20, vcc_lo, s5, v26, vcc_lo
	s_add_u32 s4, s4, 1
	s_addc_u32 s5, s5, 0
	v_cmp_eq_u32_e32 vcc_lo, s4, v9
	flat_load_u8 v19, v[19:20]
	s_waitcnt vmcnt(0) lgkmcnt(0)
	v_dual_mov_b32 v20, s11 :: v_dual_and_b32 v19, 0xffff, v19
	s_delay_alu instid0(VALU_DEP_1) | instskip(SKIP_3) | instid1(VALU_DEP_1)
	v_lshlrev_b64 v[19:20], s0, v[19:20]
	s_add_u32 s0, s0, 8
	s_addc_u32 s1, s1, 0
	s_or_b32 s13, vcc_lo, s13
	v_or_b32_e32 v18, v20, v18
	s_delay_alu instid0(VALU_DEP_2)
	v_or_b32_e32 v17, v19, v17
	s_and_not1_b32 exec_lo, exec_lo, s13
	s_cbranch_execnz .LBB0_30
; %bb.31:                               ;   in Loop: Header=BB0_3 Depth=1
	s_or_b32 exec_lo, exec_lo, s13
.LBB0_32:                               ;   in Loop: Header=BB0_3 Depth=1
	s_delay_alu instid0(SALU_CYCLE_1)
	s_or_b32 exec_lo, exec_lo, s7
	s_mov_b32 s1, 0
                                        ; implicit-def: $vgpr9
.LBB0_33:                               ;   in Loop: Header=BB0_3 Depth=1
	s_or_saveexec_b32 s0, s6
	v_mov_b32_e32 v21, s1
	s_xor_b32 exec_lo, exec_lo, s0
	s_cbranch_execz .LBB0_35
; %bb.34:                               ;   in Loop: Header=BB0_3 Depth=1
	flat_load_b64 v[17:18], v[25:26]
	v_add_co_u32 v25, vcc_lo, v25, 8
	v_add_nc_u32_e32 v21, -8, v9
	v_add_co_ci_u32_e32 v26, vcc_lo, 0, v26, vcc_lo
	s_waitcnt vmcnt(0) lgkmcnt(0)
	v_and_b32_e32 v19, 0xff, v18
	v_and_b32_e32 v20, 0xff00, v18
	;; [unrolled: 1-line block ×4, first 2 shown]
	v_or3_b32 v17, v17, 0, 0
	s_delay_alu instid0(VALU_DEP_4) | instskip(NEXT) | instid1(VALU_DEP_1)
	v_or_b32_e32 v19, v19, v20
	v_or3_b32 v18, v19, v22, v18
.LBB0_35:                               ;   in Loop: Header=BB0_3 Depth=1
	s_or_b32 exec_lo, exec_lo, s0
                                        ; implicit-def: $sgpr1
	s_delay_alu instid0(SALU_CYCLE_1)
	s_mov_b32 s0, exec_lo
	v_cmpx_gt_u32_e32 8, v21
	s_xor_b32 s6, exec_lo, s0
	s_cbranch_execz .LBB0_41
; %bb.36:                               ;   in Loop: Header=BB0_3 Depth=1
	v_mov_b32_e32 v19, 0
	v_mov_b32_e32 v20, 0
	s_mov_b32 s7, exec_lo
	v_cmpx_ne_u32_e32 0, v21
	s_cbranch_execz .LBB0_40
; %bb.37:                               ;   in Loop: Header=BB0_3 Depth=1
	v_mov_b32_e32 v19, 0
	v_mov_b32_e32 v20, 0
	s_mov_b64 s[0:1], 0
	s_mov_b32 s13, 0
	s_mov_b64 s[4:5], 0
	.p2align	6
.LBB0_38:                               ;   Parent Loop BB0_3 Depth=1
                                        ; =>  This Inner Loop Header: Depth=2
	s_delay_alu instid0(SALU_CYCLE_1)
	v_add_co_u32 v22, vcc_lo, v25, s4
	v_add_co_ci_u32_e32 v23, vcc_lo, s5, v26, vcc_lo
	s_add_u32 s4, s4, 1
	s_addc_u32 s5, s5, 0
	v_cmp_eq_u32_e32 vcc_lo, s4, v21
	flat_load_u8 v9, v[22:23]
	s_waitcnt vmcnt(0) lgkmcnt(0)
	v_dual_mov_b32 v23, s11 :: v_dual_and_b32 v22, 0xffff, v9
	s_delay_alu instid0(VALU_DEP_1) | instskip(SKIP_3) | instid1(VALU_DEP_1)
	v_lshlrev_b64 v[22:23], s0, v[22:23]
	s_add_u32 s0, s0, 8
	s_addc_u32 s1, s1, 0
	s_or_b32 s13, vcc_lo, s13
	v_or_b32_e32 v20, v23, v20
	s_delay_alu instid0(VALU_DEP_2)
	v_or_b32_e32 v19, v22, v19
	s_and_not1_b32 exec_lo, exec_lo, s13
	s_cbranch_execnz .LBB0_38
; %bb.39:                               ;   in Loop: Header=BB0_3 Depth=1
	s_or_b32 exec_lo, exec_lo, s13
.LBB0_40:                               ;   in Loop: Header=BB0_3 Depth=1
	s_delay_alu instid0(SALU_CYCLE_1)
	s_or_b32 exec_lo, exec_lo, s7
	s_mov_b32 s1, 0
                                        ; implicit-def: $vgpr21
.LBB0_41:                               ;   in Loop: Header=BB0_3 Depth=1
	s_or_saveexec_b32 s0, s6
	v_mov_b32_e32 v9, s1
	s_xor_b32 exec_lo, exec_lo, s0
	s_cbranch_execz .LBB0_43
; %bb.42:                               ;   in Loop: Header=BB0_3 Depth=1
	flat_load_b64 v[19:20], v[25:26]
	v_add_co_u32 v25, vcc_lo, v25, 8
	v_add_co_ci_u32_e32 v26, vcc_lo, 0, v26, vcc_lo
	s_waitcnt vmcnt(0) lgkmcnt(0)
	v_and_b32_e32 v9, 0xff, v20
	v_and_b32_e32 v22, 0xff00, v20
	;; [unrolled: 1-line block ×4, first 2 shown]
	v_or3_b32 v19, v19, 0, 0
	s_delay_alu instid0(VALU_DEP_4) | instskip(SKIP_1) | instid1(VALU_DEP_2)
	v_or_b32_e32 v22, v9, v22
	v_add_nc_u32_e32 v9, -8, v21
	v_or3_b32 v20, v22, v23, v20
.LBB0_43:                               ;   in Loop: Header=BB0_3 Depth=1
	s_or_b32 exec_lo, exec_lo, s0
                                        ; implicit-def: $vgpr21_vgpr22
                                        ; implicit-def: $sgpr1
	s_delay_alu instid0(SALU_CYCLE_1) | instskip(NEXT) | instid1(VALU_DEP_1)
	s_mov_b32 s0, exec_lo
	v_cmpx_gt_u32_e32 8, v9
	s_xor_b32 s6, exec_lo, s0
	s_cbranch_execz .LBB0_49
; %bb.44:                               ;   in Loop: Header=BB0_3 Depth=1
	v_mov_b32_e32 v21, 0
	v_mov_b32_e32 v22, 0
	s_mov_b32 s7, exec_lo
	v_cmpx_ne_u32_e32 0, v9
	s_cbranch_execz .LBB0_48
; %bb.45:                               ;   in Loop: Header=BB0_3 Depth=1
	v_mov_b32_e32 v21, 0
	v_mov_b32_e32 v22, 0
	s_mov_b64 s[0:1], 0
	s_mov_b32 s13, 0
	s_mov_b64 s[4:5], 0
	.p2align	6
.LBB0_46:                               ;   Parent Loop BB0_3 Depth=1
                                        ; =>  This Inner Loop Header: Depth=2
	s_delay_alu instid0(SALU_CYCLE_1)
	v_add_co_u32 v23, vcc_lo, v25, s4
	v_add_co_ci_u32_e32 v24, vcc_lo, s5, v26, vcc_lo
	s_add_u32 s4, s4, 1
	s_addc_u32 s5, s5, 0
	v_cmp_eq_u32_e32 vcc_lo, s4, v9
	flat_load_u8 v23, v[23:24]
	s_waitcnt vmcnt(0) lgkmcnt(0)
	v_dual_mov_b32 v24, s11 :: v_dual_and_b32 v23, 0xffff, v23
	s_delay_alu instid0(VALU_DEP_1) | instskip(SKIP_3) | instid1(VALU_DEP_1)
	v_lshlrev_b64 v[23:24], s0, v[23:24]
	s_add_u32 s0, s0, 8
	s_addc_u32 s1, s1, 0
	s_or_b32 s13, vcc_lo, s13
	v_or_b32_e32 v22, v24, v22
	s_delay_alu instid0(VALU_DEP_2)
	v_or_b32_e32 v21, v23, v21
	s_and_not1_b32 exec_lo, exec_lo, s13
	s_cbranch_execnz .LBB0_46
; %bb.47:                               ;   in Loop: Header=BB0_3 Depth=1
	s_or_b32 exec_lo, exec_lo, s13
.LBB0_48:                               ;   in Loop: Header=BB0_3 Depth=1
	s_delay_alu instid0(SALU_CYCLE_1)
	s_or_b32 exec_lo, exec_lo, s7
	s_mov_b32 s1, 0
                                        ; implicit-def: $vgpr9
.LBB0_49:                               ;   in Loop: Header=BB0_3 Depth=1
	s_or_saveexec_b32 s0, s6
	v_mov_b32_e32 v27, s1
	s_xor_b32 exec_lo, exec_lo, s0
	s_cbranch_execz .LBB0_51
; %bb.50:                               ;   in Loop: Header=BB0_3 Depth=1
	flat_load_b64 v[21:22], v[25:26]
	v_add_co_u32 v25, vcc_lo, v25, 8
	v_add_nc_u32_e32 v27, -8, v9
	v_add_co_ci_u32_e32 v26, vcc_lo, 0, v26, vcc_lo
	s_waitcnt vmcnt(0) lgkmcnt(0)
	v_and_b32_e32 v23, 0xff, v22
	v_and_b32_e32 v24, 0xff00, v22
	;; [unrolled: 1-line block ×4, first 2 shown]
	v_or3_b32 v21, v21, 0, 0
	s_delay_alu instid0(VALU_DEP_4) | instskip(NEXT) | instid1(VALU_DEP_1)
	v_or_b32_e32 v23, v23, v24
	v_or3_b32 v22, v23, v28, v22
.LBB0_51:                               ;   in Loop: Header=BB0_3 Depth=1
	s_or_b32 exec_lo, exec_lo, s0
	s_delay_alu instid0(SALU_CYCLE_1)
	s_mov_b32 s0, exec_lo
	v_cmpx_gt_u32_e32 8, v27
	s_xor_b32 s4, exec_lo, s0
	s_cbranch_execz .LBB0_57
; %bb.52:                               ;   in Loop: Header=BB0_3 Depth=1
	v_mov_b32_e32 v23, 0
	v_mov_b32_e32 v24, 0
	s_mov_b32 s5, exec_lo
	v_cmpx_ne_u32_e32 0, v27
	s_cbranch_execz .LBB0_56
; %bb.53:                               ;   in Loop: Header=BB0_3 Depth=1
	v_mov_b32_e32 v23, 0
	v_mov_b32_e32 v24, 0
	s_mov_b64 s[0:1], 0
	s_mov_b32 s6, 0
	.p2align	6
.LBB0_54:                               ;   Parent Loop BB0_3 Depth=1
                                        ; =>  This Inner Loop Header: Depth=2
	flat_load_u8 v9, v[25:26]
	v_dual_mov_b32 v32, s11 :: v_dual_add_nc_u32 v27, -1, v27
	v_add_co_u32 v25, vcc_lo, v25, 1
	v_add_co_ci_u32_e32 v26, vcc_lo, 0, v26, vcc_lo
	s_delay_alu instid0(VALU_DEP_3) | instskip(SKIP_2) | instid1(VALU_DEP_1)
	v_cmp_eq_u32_e32 vcc_lo, 0, v27
	s_waitcnt vmcnt(0) lgkmcnt(0)
	v_and_b32_e32 v31, 0xffff, v9
	v_lshlrev_b64 v[31:32], s0, v[31:32]
	s_add_u32 s0, s0, 8
	s_addc_u32 s1, s1, 0
	s_or_b32 s6, vcc_lo, s6
	s_delay_alu instid0(VALU_DEP_1) | instskip(NEXT) | instid1(VALU_DEP_2)
	v_or_b32_e32 v24, v32, v24
	v_or_b32_e32 v23, v31, v23
	s_and_not1_b32 exec_lo, exec_lo, s6
	s_cbranch_execnz .LBB0_54
; %bb.55:                               ;   in Loop: Header=BB0_3 Depth=1
	s_or_b32 exec_lo, exec_lo, s6
.LBB0_56:                               ;   in Loop: Header=BB0_3 Depth=1
	s_delay_alu instid0(SALU_CYCLE_1)
	s_or_b32 exec_lo, exec_lo, s5
                                        ; implicit-def: $vgpr25_vgpr26
.LBB0_57:                               ;   in Loop: Header=BB0_3 Depth=1
	s_and_not1_saveexec_b32 s0, s4
	s_cbranch_execz .LBB0_59
; %bb.58:                               ;   in Loop: Header=BB0_3 Depth=1
	flat_load_b64 v[23:24], v[25:26]
	s_waitcnt vmcnt(0) lgkmcnt(0)
	v_and_b32_e32 v9, 0xff, v24
	v_and_b32_e32 v25, 0xff00, v24
	;; [unrolled: 1-line block ×4, first 2 shown]
	v_or3_b32 v23, v23, 0, 0
	s_delay_alu instid0(VALU_DEP_4) | instskip(NEXT) | instid1(VALU_DEP_1)
	v_or_b32_e32 v9, v9, v25
	v_or3_b32 v24, v9, v26, v24
.LBB0_59:                               ;   in Loop: Header=BB0_3 Depth=1
	s_or_b32 exec_lo, exec_lo, s0
	v_readfirstlane_b32 s0, v33
	v_mov_b32_e32 v31, 0
	v_mov_b32_e32 v32, 0
	s_delay_alu instid0(VALU_DEP_3) | instskip(NEXT) | instid1(VALU_DEP_1)
	v_cmp_eq_u32_e64 s0, s0, v33
	s_and_saveexec_b32 s1, s0
	s_cbranch_execz .LBB0_65
; %bb.60:                               ;   in Loop: Header=BB0_3 Depth=1
	s_waitcnt lgkmcnt(0)
	global_load_b64 v[27:28], v10, s[2:3] offset:24 glc
	s_waitcnt vmcnt(0)
	buffer_gl1_inv
	buffer_gl0_inv
	s_clause 0x1
	global_load_b64 v[25:26], v10, s[2:3] offset:40
	global_load_b64 v[31:32], v10, s[2:3]
	s_mov_b32 s4, exec_lo
	s_waitcnt vmcnt(1)
	v_and_b32_e32 v9, v26, v28
	v_and_b32_e32 v25, v25, v27
	s_delay_alu instid0(VALU_DEP_2) | instskip(NEXT) | instid1(VALU_DEP_2)
	v_mul_lo_u32 v9, v9, 24
	v_mul_hi_u32 v26, v25, 24
	v_mul_lo_u32 v25, v25, 24
	s_delay_alu instid0(VALU_DEP_2) | instskip(SKIP_1) | instid1(VALU_DEP_2)
	v_add_nc_u32_e32 v9, v26, v9
	s_waitcnt vmcnt(0)
	v_add_co_u32 v25, vcc_lo, v31, v25
	s_delay_alu instid0(VALU_DEP_2)
	v_add_co_ci_u32_e32 v26, vcc_lo, v32, v9, vcc_lo
	global_load_b64 v[25:26], v[25:26], off glc
	s_waitcnt vmcnt(0)
	global_atomic_cmpswap_b64 v[31:32], v10, v[25:28], s[2:3] offset:24 glc
	s_waitcnt vmcnt(0)
	buffer_gl1_inv
	buffer_gl0_inv
	v_cmpx_ne_u64_e64 v[31:32], v[27:28]
	s_cbranch_execz .LBB0_64
; %bb.61:                               ;   in Loop: Header=BB0_3 Depth=1
	s_mov_b32 s5, 0
	.p2align	6
.LBB0_62:                               ;   Parent Loop BB0_3 Depth=1
                                        ; =>  This Inner Loop Header: Depth=2
	s_sleep 1
	s_clause 0x1
	global_load_b64 v[25:26], v10, s[2:3] offset:40
	global_load_b64 v[34:35], v10, s[2:3]
	v_dual_mov_b32 v27, v31 :: v_dual_mov_b32 v28, v32
	s_waitcnt vmcnt(1)
	s_delay_alu instid0(VALU_DEP_1) | instskip(SKIP_1) | instid1(VALU_DEP_1)
	v_and_b32_e32 v9, v25, v27
	s_waitcnt vmcnt(0)
	v_mad_u64_u32 v[31:32], null, v9, 24, v[34:35]
	s_delay_alu instid0(VALU_DEP_1) | instskip(NEXT) | instid1(VALU_DEP_1)
	v_dual_mov_b32 v9, v32 :: v_dual_and_b32 v34, v26, v28
	v_mad_u64_u32 v[25:26], null, v34, 24, v[9:10]
	s_delay_alu instid0(VALU_DEP_1)
	v_mov_b32_e32 v32, v25
	global_load_b64 v[25:26], v[31:32], off glc
	s_waitcnt vmcnt(0)
	global_atomic_cmpswap_b64 v[31:32], v10, v[25:28], s[2:3] offset:24 glc
	s_waitcnt vmcnt(0)
	buffer_gl1_inv
	buffer_gl0_inv
	v_cmp_eq_u64_e32 vcc_lo, v[31:32], v[27:28]
	s_or_b32 s5, vcc_lo, s5
	s_delay_alu instid0(SALU_CYCLE_1)
	s_and_not1_b32 exec_lo, exec_lo, s5
	s_cbranch_execnz .LBB0_62
; %bb.63:                               ;   in Loop: Header=BB0_3 Depth=1
	s_or_b32 exec_lo, exec_lo, s5
.LBB0_64:                               ;   in Loop: Header=BB0_3 Depth=1
	s_delay_alu instid0(SALU_CYCLE_1)
	s_or_b32 exec_lo, exec_lo, s4
.LBB0_65:                               ;   in Loop: Header=BB0_3 Depth=1
	s_delay_alu instid0(SALU_CYCLE_1)
	s_or_b32 exec_lo, exec_lo, s1
	s_waitcnt lgkmcnt(0)
	s_clause 0x1
	global_load_b64 v[34:35], v10, s[2:3] offset:40
	global_load_b128 v[25:28], v10, s[2:3]
	v_readfirstlane_b32 s4, v31
	v_readfirstlane_b32 s5, v32
	s_mov_b32 s1, exec_lo
	s_waitcnt vmcnt(1)
	v_readfirstlane_b32 s6, v34
	v_readfirstlane_b32 s7, v35
	s_delay_alu instid0(VALU_DEP_1) | instskip(NEXT) | instid1(SALU_CYCLE_1)
	s_and_b64 s[6:7], s[4:5], s[6:7]
	s_mul_i32 s13, s7, 24
	s_mul_hi_u32 s14, s6, 24
	s_mul_i32 s15, s6, 24
	s_add_i32 s14, s14, s13
	s_waitcnt vmcnt(0)
	v_add_co_u32 v31, vcc_lo, v25, s15
	v_add_co_ci_u32_e32 v32, vcc_lo, s14, v26, vcc_lo
	s_and_saveexec_b32 s13, s0
	s_cbranch_execz .LBB0_67
; %bb.66:                               ;   in Loop: Header=BB0_3 Depth=1
	v_mov_b32_e32 v9, s1
	global_store_b128 v[31:32], v[9:12], off offset:8
.LBB0_67:                               ;   in Loop: Header=BB0_3 Depth=1
	s_or_b32 exec_lo, exec_lo, s13
	v_cmp_lt_u64_e32 vcc_lo, 56, v[4:5]
	v_or_b32_e32 v9, 0, v1
	v_or_b32_e32 v34, v0, v6
	v_lshl_add_u32 v35, v29, 2, 28
	s_lshl_b64 s[6:7], s[6:7], 12
	s_delay_alu instid0(SALU_CYCLE_1) | instskip(NEXT) | instid1(VALU_DEP_1)
	v_add_co_u32 v27, s1, v27, s6
	v_add_co_ci_u32_e64 v28, s1, s7, v28, s1
	v_dual_cndmask_b32 v1, v9, v1 :: v_dual_cndmask_b32 v0, v34, v0
	v_and_b32_e32 v9, 0x1e0, v35
	v_lshlrev_b32_e32 v34, 6, v33
	v_readfirstlane_b32 s6, v27
	v_readfirstlane_b32 s7, v28
	s_delay_alu instid0(VALU_DEP_4)
	v_and_or_b32 v0, 0xffffff1f, v0, v9
	s_clause 0x3
	global_store_b128 v34, v[0:3], s[6:7]
	global_store_b128 v34, v[13:16], s[6:7] offset:16
	global_store_b128 v34, v[17:20], s[6:7] offset:32
	;; [unrolled: 1-line block ×3, first 2 shown]
	s_and_saveexec_b32 s1, s0
	s_cbranch_execz .LBB0_75
; %bb.68:                               ;   in Loop: Header=BB0_3 Depth=1
	s_clause 0x1
	global_load_b64 v[17:18], v10, s[2:3] offset:32 glc
	global_load_b64 v[0:1], v10, s[2:3] offset:40
	v_dual_mov_b32 v15, s4 :: v_dual_mov_b32 v16, s5
	s_waitcnt vmcnt(0)
	v_readfirstlane_b32 s6, v0
	v_readfirstlane_b32 s7, v1
	s_delay_alu instid0(VALU_DEP_1) | instskip(NEXT) | instid1(SALU_CYCLE_1)
	s_and_b64 s[6:7], s[6:7], s[4:5]
	s_mul_i32 s7, s7, 24
	s_mul_hi_u32 s13, s6, 24
	s_mul_i32 s6, s6, 24
	s_add_i32 s13, s13, s7
	v_add_co_u32 v13, vcc_lo, v25, s6
	v_add_co_ci_u32_e32 v14, vcc_lo, s13, v26, vcc_lo
	s_mov_b32 s6, exec_lo
	global_store_b64 v[13:14], v[17:18], off
	s_waitcnt_vscnt null, 0x0
	global_atomic_cmpswap_b64 v[2:3], v10, v[15:18], s[2:3] offset:32 glc
	s_waitcnt vmcnt(0)
	v_cmpx_ne_u64_e64 v[2:3], v[17:18]
	s_cbranch_execz .LBB0_71
; %bb.69:                               ;   in Loop: Header=BB0_3 Depth=1
	s_mov_b32 s7, 0
.LBB0_70:                               ;   Parent Loop BB0_3 Depth=1
                                        ; =>  This Inner Loop Header: Depth=2
	v_dual_mov_b32 v0, s4 :: v_dual_mov_b32 v1, s5
	s_sleep 1
	global_store_b64 v[13:14], v[2:3], off
	s_waitcnt_vscnt null, 0x0
	global_atomic_cmpswap_b64 v[0:1], v10, v[0:3], s[2:3] offset:32 glc
	s_waitcnt vmcnt(0)
	v_cmp_eq_u64_e32 vcc_lo, v[0:1], v[2:3]
	v_dual_mov_b32 v3, v1 :: v_dual_mov_b32 v2, v0
	s_or_b32 s7, vcc_lo, s7
	s_delay_alu instid0(SALU_CYCLE_1)
	s_and_not1_b32 exec_lo, exec_lo, s7
	s_cbranch_execnz .LBB0_70
.LBB0_71:                               ;   in Loop: Header=BB0_3 Depth=1
	s_or_b32 exec_lo, exec_lo, s6
	global_load_b64 v[0:1], v10, s[2:3] offset:16
	s_mov_b32 s7, exec_lo
	s_mov_b32 s6, exec_lo
	v_mbcnt_lo_u32_b32 v2, s7, 0
	s_delay_alu instid0(VALU_DEP_1)
	v_cmpx_eq_u32_e32 0, v2
	s_cbranch_execz .LBB0_73
; %bb.72:                               ;   in Loop: Header=BB0_3 Depth=1
	s_bcnt1_i32_b32 s7, s7
	s_delay_alu instid0(SALU_CYCLE_1)
	v_mov_b32_e32 v9, s7
	s_waitcnt vmcnt(0)
	global_atomic_add_u64 v[0:1], v[9:10], off offset:8
.LBB0_73:                               ;   in Loop: Header=BB0_3 Depth=1
	s_or_b32 exec_lo, exec_lo, s6
	s_waitcnt vmcnt(0)
	global_load_b64 v[2:3], v[0:1], off offset:16
	s_waitcnt vmcnt(0)
	v_cmp_eq_u64_e32 vcc_lo, 0, v[2:3]
	s_cbranch_vccnz .LBB0_75
; %bb.74:                               ;   in Loop: Header=BB0_3 Depth=1
	global_load_b32 v9, v[0:1], off offset:24
	s_waitcnt vmcnt(0)
	v_and_b32_e32 v0, 0xffffff, v9
	s_waitcnt_vscnt null, 0x0
	global_store_b64 v[2:3], v[9:10], off
	v_readfirstlane_b32 m0, v0
	s_sendmsg sendmsg(MSG_INTERRUPT)
.LBB0_75:                               ;   in Loop: Header=BB0_3 Depth=1
	s_or_b32 exec_lo, exec_lo, s1
	v_add_co_u32 v0, vcc_lo, v27, v34
	v_add_co_ci_u32_e32 v1, vcc_lo, 0, v28, vcc_lo
	s_branch .LBB0_79
	.p2align	6
.LBB0_76:                               ;   in Loop: Header=BB0_79 Depth=2
	s_or_b32 exec_lo, exec_lo, s1
	s_delay_alu instid0(VALU_DEP_1) | instskip(NEXT) | instid1(VALU_DEP_1)
	v_readfirstlane_b32 s1, v2
	s_cmp_eq_u32 s1, 0
	s_cbranch_scc1 .LBB0_78
; %bb.77:                               ;   in Loop: Header=BB0_79 Depth=2
	s_sleep 1
	s_cbranch_execnz .LBB0_79
	s_branch .LBB0_81
	.p2align	6
.LBB0_78:                               ;   in Loop: Header=BB0_3 Depth=1
	s_branch .LBB0_81
.LBB0_79:                               ;   Parent Loop BB0_3 Depth=1
                                        ; =>  This Inner Loop Header: Depth=2
	v_mov_b32_e32 v2, 1
	s_and_saveexec_b32 s1, s0
	s_cbranch_execz .LBB0_76
; %bb.80:                               ;   in Loop: Header=BB0_79 Depth=2
	global_load_b32 v2, v[31:32], off offset:20 glc
	s_waitcnt vmcnt(0)
	buffer_gl1_inv
	buffer_gl0_inv
	v_and_b32_e32 v2, 1, v2
	s_branch .LBB0_76
.LBB0_81:                               ;   in Loop: Header=BB0_3 Depth=1
	global_load_b128 v[0:3], v[0:1], off
	s_and_saveexec_b32 s1, s0
	s_cbranch_execz .LBB0_2
; %bb.82:                               ;   in Loop: Header=BB0_3 Depth=1
	s_clause 0x2
	global_load_b64 v[2:3], v10, s[2:3] offset:40
	global_load_b64 v[17:18], v10, s[2:3] offset:24 glc
	global_load_b64 v[15:16], v10, s[2:3]
	s_waitcnt vmcnt(2)
	v_add_co_u32 v9, vcc_lo, v2, 1
	v_add_co_ci_u32_e32 v19, vcc_lo, 0, v3, vcc_lo
	s_delay_alu instid0(VALU_DEP_2) | instskip(NEXT) | instid1(VALU_DEP_2)
	v_add_co_u32 v13, vcc_lo, v9, s4
	v_add_co_ci_u32_e32 v14, vcc_lo, s5, v19, vcc_lo
	s_delay_alu instid0(VALU_DEP_1) | instskip(SKIP_1) | instid1(VALU_DEP_1)
	v_cmp_eq_u64_e32 vcc_lo, 0, v[13:14]
	v_dual_cndmask_b32 v14, v14, v19 :: v_dual_cndmask_b32 v13, v13, v9
	v_and_b32_e32 v3, v14, v3
	s_delay_alu instid0(VALU_DEP_2) | instskip(NEXT) | instid1(VALU_DEP_2)
	v_and_b32_e32 v2, v13, v2
	v_mul_lo_u32 v3, v3, 24
	s_delay_alu instid0(VALU_DEP_2) | instskip(SKIP_1) | instid1(VALU_DEP_2)
	v_mul_hi_u32 v9, v2, 24
	v_mul_lo_u32 v2, v2, 24
	v_add_nc_u32_e32 v3, v9, v3
	s_waitcnt vmcnt(0)
	s_delay_alu instid0(VALU_DEP_2) | instskip(SKIP_1) | instid1(VALU_DEP_3)
	v_add_co_u32 v2, vcc_lo, v15, v2
	v_mov_b32_e32 v15, v17
	v_add_co_ci_u32_e32 v3, vcc_lo, v16, v3, vcc_lo
	v_mov_b32_e32 v16, v18
	global_store_b64 v[2:3], v[17:18], off
	s_waitcnt_vscnt null, 0x0
	global_atomic_cmpswap_b64 v[15:16], v10, v[13:16], s[2:3] offset:24 glc
	s_waitcnt vmcnt(0)
	v_cmp_ne_u64_e32 vcc_lo, v[15:16], v[17:18]
	s_and_b32 exec_lo, exec_lo, vcc_lo
	s_cbranch_execz .LBB0_2
; %bb.83:                               ;   in Loop: Header=BB0_3 Depth=1
	s_mov_b32 s0, 0
.LBB0_84:                               ;   Parent Loop BB0_3 Depth=1
                                        ; =>  This Inner Loop Header: Depth=2
	s_sleep 1
	global_store_b64 v[2:3], v[15:16], off
	s_waitcnt_vscnt null, 0x0
	global_atomic_cmpswap_b64 v[17:18], v10, v[13:16], s[2:3] offset:24 glc
	s_waitcnt vmcnt(0)
	v_cmp_eq_u64_e32 vcc_lo, v[17:18], v[15:16]
	v_dual_mov_b32 v15, v17 :: v_dual_mov_b32 v16, v18
	s_or_b32 s0, vcc_lo, s0
	s_delay_alu instid0(SALU_CYCLE_1)
	s_and_not1_b32 exec_lo, exec_lo, s0
	s_cbranch_execnz .LBB0_84
	s_branch .LBB0_2
.LBB0_85:
	s_or_b32 exec_lo, exec_lo, s12
                                        ; implicit-def: $vgpr0
                                        ; implicit-def: $vgpr33
                                        ; implicit-def: $vgpr1
.LBB0_86:
	s_and_not1_saveexec_b32 s1, s10
	s_cbranch_execz .LBB0_108
; %bb.87:
	s_load_b64 s[2:3], s[8:9], 0x50
	v_readfirstlane_b32 s0, v33
	v_mov_b32_e32 v8, 0
	v_mov_b32_e32 v9, 0
	s_delay_alu instid0(VALU_DEP_3) | instskip(NEXT) | instid1(VALU_DEP_1)
	v_cmp_eq_u32_e64 s0, s0, v33
	s_and_saveexec_b32 s4, s0
	s_cbranch_execz .LBB0_93
; %bb.88:
	s_waitcnt vmcnt(0)
	v_mov_b32_e32 v2, 0
	s_mov_b32 s5, exec_lo
	s_waitcnt lgkmcnt(0)
	global_load_b64 v[5:6], v2, s[2:3] offset:24 glc
	s_waitcnt vmcnt(0)
	buffer_gl1_inv
	buffer_gl0_inv
	s_clause 0x1
	global_load_b64 v[3:4], v2, s[2:3] offset:40
	global_load_b64 v[7:8], v2, s[2:3]
	s_waitcnt vmcnt(1)
	v_and_b32_e32 v3, v3, v5
	v_and_b32_e32 v4, v4, v6
	s_delay_alu instid0(VALU_DEP_2) | instskip(NEXT) | instid1(VALU_DEP_2)
	v_mul_hi_u32 v9, v3, 24
	v_mul_lo_u32 v4, v4, 24
	v_mul_lo_u32 v3, v3, 24
	s_delay_alu instid0(VALU_DEP_2) | instskip(SKIP_1) | instid1(VALU_DEP_2)
	v_add_nc_u32_e32 v4, v9, v4
	s_waitcnt vmcnt(0)
	v_add_co_u32 v3, vcc_lo, v7, v3
	s_delay_alu instid0(VALU_DEP_2)
	v_add_co_ci_u32_e32 v4, vcc_lo, v8, v4, vcc_lo
	global_load_b64 v[3:4], v[3:4], off glc
	s_waitcnt vmcnt(0)
	global_atomic_cmpswap_b64 v[8:9], v2, v[3:6], s[2:3] offset:24 glc
	s_waitcnt vmcnt(0)
	buffer_gl1_inv
	buffer_gl0_inv
	v_cmpx_ne_u64_e64 v[8:9], v[5:6]
	s_cbranch_execz .LBB0_92
; %bb.89:
	s_mov_b32 s6, 0
	.p2align	6
.LBB0_90:                               ; =>This Inner Loop Header: Depth=1
	s_sleep 1
	s_clause 0x1
	global_load_b64 v[3:4], v2, s[2:3] offset:40
	global_load_b64 v[10:11], v2, s[2:3]
	v_dual_mov_b32 v5, v8 :: v_dual_mov_b32 v6, v9
	s_waitcnt vmcnt(1)
	s_delay_alu instid0(VALU_DEP_1) | instskip(NEXT) | instid1(VALU_DEP_2)
	v_and_b32_e32 v3, v3, v5
	v_and_b32_e32 v4, v4, v6
	s_waitcnt vmcnt(0)
	s_delay_alu instid0(VALU_DEP_2) | instskip(NEXT) | instid1(VALU_DEP_1)
	v_mad_u64_u32 v[7:8], null, v3, 24, v[10:11]
	v_mov_b32_e32 v3, v8
	s_delay_alu instid0(VALU_DEP_1)
	v_mad_u64_u32 v[8:9], null, v4, 24, v[3:4]
	global_load_b64 v[3:4], v[7:8], off glc
	s_waitcnt vmcnt(0)
	global_atomic_cmpswap_b64 v[8:9], v2, v[3:6], s[2:3] offset:24 glc
	s_waitcnt vmcnt(0)
	buffer_gl1_inv
	buffer_gl0_inv
	v_cmp_eq_u64_e32 vcc_lo, v[8:9], v[5:6]
	s_or_b32 s6, vcc_lo, s6
	s_delay_alu instid0(SALU_CYCLE_1)
	s_and_not1_b32 exec_lo, exec_lo, s6
	s_cbranch_execnz .LBB0_90
; %bb.91:
	s_or_b32 exec_lo, exec_lo, s6
.LBB0_92:
	s_delay_alu instid0(SALU_CYCLE_1)
	s_or_b32 exec_lo, exec_lo, s5
.LBB0_93:
	s_delay_alu instid0(SALU_CYCLE_1)
	s_or_b32 exec_lo, exec_lo, s4
	s_waitcnt vmcnt(0)
	v_mov_b32_e32 v2, 0
	v_readfirstlane_b32 s4, v8
	v_readfirstlane_b32 s5, v9
	s_mov_b32 s8, exec_lo
	s_waitcnt lgkmcnt(0)
	s_clause 0x1
	global_load_b64 v[10:11], v2, s[2:3] offset:40
	global_load_b128 v[4:7], v2, s[2:3]
	s_waitcnt vmcnt(1)
	v_readfirstlane_b32 s6, v10
	v_readfirstlane_b32 s7, v11
	s_delay_alu instid0(VALU_DEP_1) | instskip(NEXT) | instid1(SALU_CYCLE_1)
	s_and_b64 s[6:7], s[4:5], s[6:7]
	s_mul_i32 s9, s7, 24
	s_mul_hi_u32 s10, s6, 24
	s_mul_i32 s11, s6, 24
	s_add_i32 s10, s10, s9
	s_waitcnt vmcnt(0)
	v_add_co_u32 v8, vcc_lo, v4, s11
	v_add_co_ci_u32_e32 v9, vcc_lo, s10, v5, vcc_lo
	s_and_saveexec_b32 s9, s0
	s_cbranch_execz .LBB0_95
; %bb.94:
	v_dual_mov_b32 v10, s8 :: v_dual_mov_b32 v11, v2
	v_dual_mov_b32 v12, 2 :: v_dual_mov_b32 v13, 1
	global_store_b128 v[8:9], v[10:13], off offset:8
.LBB0_95:
	s_or_b32 exec_lo, exec_lo, s9
	s_lshl_b64 s[6:7], s[6:7], 12
	s_mov_b32 s8, 0
	v_add_co_u32 v6, vcc_lo, v6, s6
	v_add_co_ci_u32_e32 v7, vcc_lo, s7, v7, vcc_lo
	s_mov_b32 s11, s8
	s_mov_b32 s9, s8
	;; [unrolled: 1-line block ×3, first 2 shown]
	v_and_or_b32 v0, 0xffffff1f, v0, 32
	v_dual_mov_b32 v3, v2 :: v_dual_lshlrev_b32 v14, 6, v33
	v_readfirstlane_b32 s6, v6
	v_readfirstlane_b32 s7, v7
	v_dual_mov_b32 v13, s11 :: v_dual_mov_b32 v12, s10
	v_dual_mov_b32 v11, s9 :: v_dual_mov_b32 v10, s8
	s_clause 0x3
	global_store_b128 v14, v[0:3], s[6:7]
	global_store_b128 v14, v[10:13], s[6:7] offset:16
	global_store_b128 v14, v[10:13], s[6:7] offset:32
	;; [unrolled: 1-line block ×3, first 2 shown]
	s_and_saveexec_b32 s6, s0
	s_cbranch_execz .LBB0_102
; %bb.96:
	v_mov_b32_e32 v6, 0
	s_mov_b32 s7, exec_lo
	s_clause 0x1
	global_load_b64 v[12:13], v6, s[2:3] offset:32 glc
	global_load_b64 v[0:1], v6, s[2:3] offset:40
	v_dual_mov_b32 v11, s5 :: v_dual_mov_b32 v10, s4
	s_waitcnt vmcnt(0)
	v_and_b32_e32 v1, s5, v1
	v_and_b32_e32 v0, s4, v0
	s_delay_alu instid0(VALU_DEP_2) | instskip(NEXT) | instid1(VALU_DEP_2)
	v_mul_lo_u32 v1, v1, 24
	v_mul_hi_u32 v2, v0, 24
	v_mul_lo_u32 v0, v0, 24
	s_delay_alu instid0(VALU_DEP_2) | instskip(NEXT) | instid1(VALU_DEP_2)
	v_add_nc_u32_e32 v1, v2, v1
	v_add_co_u32 v4, vcc_lo, v4, v0
	s_delay_alu instid0(VALU_DEP_2)
	v_add_co_ci_u32_e32 v5, vcc_lo, v5, v1, vcc_lo
	global_store_b64 v[4:5], v[12:13], off
	s_waitcnt_vscnt null, 0x0
	global_atomic_cmpswap_b64 v[2:3], v6, v[10:13], s[2:3] offset:32 glc
	s_waitcnt vmcnt(0)
	v_cmpx_ne_u64_e64 v[2:3], v[12:13]
	s_cbranch_execz .LBB0_98
.LBB0_97:                               ; =>This Inner Loop Header: Depth=1
	v_dual_mov_b32 v0, s4 :: v_dual_mov_b32 v1, s5
	s_sleep 1
	global_store_b64 v[4:5], v[2:3], off
	s_waitcnt_vscnt null, 0x0
	global_atomic_cmpswap_b64 v[0:1], v6, v[0:3], s[2:3] offset:32 glc
	s_waitcnt vmcnt(0)
	v_cmp_eq_u64_e32 vcc_lo, v[0:1], v[2:3]
	v_dual_mov_b32 v3, v1 :: v_dual_mov_b32 v2, v0
	s_or_b32 s8, vcc_lo, s8
	s_delay_alu instid0(SALU_CYCLE_1)
	s_and_not1_b32 exec_lo, exec_lo, s8
	s_cbranch_execnz .LBB0_97
.LBB0_98:
	s_or_b32 exec_lo, exec_lo, s7
	v_mov_b32_e32 v3, 0
	s_mov_b32 s8, exec_lo
	s_mov_b32 s7, exec_lo
	v_mbcnt_lo_u32_b32 v2, s8, 0
	global_load_b64 v[0:1], v3, s[2:3] offset:16
	v_cmpx_eq_u32_e32 0, v2
	s_cbranch_execz .LBB0_100
; %bb.99:
	s_bcnt1_i32_b32 s8, s8
	s_delay_alu instid0(SALU_CYCLE_1)
	v_mov_b32_e32 v2, s8
	s_waitcnt vmcnt(0)
	global_atomic_add_u64 v[0:1], v[2:3], off offset:8
.LBB0_100:
	s_or_b32 exec_lo, exec_lo, s7
	s_waitcnt vmcnt(0)
	global_load_b64 v[2:3], v[0:1], off offset:16
	s_waitcnt vmcnt(0)
	v_cmp_eq_u64_e32 vcc_lo, 0, v[2:3]
	s_cbranch_vccnz .LBB0_102
; %bb.101:
	global_load_b32 v0, v[0:1], off offset:24
	s_waitcnt vmcnt(0)
	v_dual_mov_b32 v1, 0 :: v_dual_and_b32 v4, 0xffffff, v0
	s_waitcnt_vscnt null, 0x0
	global_store_b64 v[2:3], v[0:1], off
	v_readfirstlane_b32 m0, v4
	s_sendmsg sendmsg(MSG_INTERRUPT)
.LBB0_102:
	s_or_b32 exec_lo, exec_lo, s6
	s_branch .LBB0_106
	.p2align	6
.LBB0_103:                              ;   in Loop: Header=BB0_106 Depth=1
	s_or_b32 exec_lo, exec_lo, s6
	s_delay_alu instid0(VALU_DEP_1) | instskip(NEXT) | instid1(VALU_DEP_1)
	v_readfirstlane_b32 s6, v0
	s_cmp_eq_u32 s6, 0
	s_cbranch_scc1 .LBB0_105
; %bb.104:                              ;   in Loop: Header=BB0_106 Depth=1
	s_sleep 1
	s_cbranch_execnz .LBB0_106
	s_branch .LBB0_109
	.p2align	6
.LBB0_105:
	s_branch .LBB0_109
.LBB0_106:                              ; =>This Inner Loop Header: Depth=1
	v_mov_b32_e32 v0, 1
	s_and_saveexec_b32 s6, s0
	s_cbranch_execz .LBB0_103
; %bb.107:                              ;   in Loop: Header=BB0_106 Depth=1
	global_load_b32 v0, v[8:9], off offset:20 glc
	s_waitcnt vmcnt(0)
	buffer_gl1_inv
	buffer_gl0_inv
	v_and_b32_e32 v0, 1, v0
	s_branch .LBB0_103
.LBB0_108:
	s_or_b32 exec_lo, exec_lo, s1
	s_waitcnt vmcnt(0) lgkmcnt(0)
	s_setpc_b64 s[30:31]
.LBB0_109:
	s_and_saveexec_b32 s6, s0
	s_cbranch_execz .LBB0_113
; %bb.110:
	v_mov_b32_e32 v6, 0
	s_clause 0x2
	global_load_b64 v[2:3], v6, s[2:3] offset:40
	global_load_b64 v[7:8], v6, s[2:3] offset:24 glc
	global_load_b64 v[4:5], v6, s[2:3]
	s_waitcnt vmcnt(2)
	v_add_co_u32 v9, vcc_lo, v2, 1
	v_add_co_ci_u32_e32 v10, vcc_lo, 0, v3, vcc_lo
	s_delay_alu instid0(VALU_DEP_2) | instskip(NEXT) | instid1(VALU_DEP_2)
	v_add_co_u32 v0, vcc_lo, v9, s4
	v_add_co_ci_u32_e32 v1, vcc_lo, s5, v10, vcc_lo
	s_delay_alu instid0(VALU_DEP_1) | instskip(SKIP_1) | instid1(VALU_DEP_1)
	v_cmp_eq_u64_e32 vcc_lo, 0, v[0:1]
	v_dual_cndmask_b32 v1, v1, v10 :: v_dual_cndmask_b32 v0, v0, v9
	v_and_b32_e32 v3, v1, v3
	s_delay_alu instid0(VALU_DEP_2) | instskip(NEXT) | instid1(VALU_DEP_2)
	v_and_b32_e32 v2, v0, v2
	v_mul_lo_u32 v3, v3, 24
	s_delay_alu instid0(VALU_DEP_2) | instskip(SKIP_1) | instid1(VALU_DEP_2)
	v_mul_hi_u32 v9, v2, 24
	v_mul_lo_u32 v2, v2, 24
	v_add_nc_u32_e32 v3, v9, v3
	s_waitcnt vmcnt(0)
	s_delay_alu instid0(VALU_DEP_2) | instskip(SKIP_1) | instid1(VALU_DEP_3)
	v_add_co_u32 v4, vcc_lo, v4, v2
	v_mov_b32_e32 v2, v7
	v_add_co_ci_u32_e32 v5, vcc_lo, v5, v3, vcc_lo
	v_mov_b32_e32 v3, v8
	global_store_b64 v[4:5], v[7:8], off
	s_waitcnt_vscnt null, 0x0
	global_atomic_cmpswap_b64 v[2:3], v6, v[0:3], s[2:3] offset:24 glc
	s_waitcnt vmcnt(0)
	v_cmp_ne_u64_e32 vcc_lo, v[2:3], v[7:8]
	s_and_b32 exec_lo, exec_lo, vcc_lo
	s_cbranch_execz .LBB0_113
; %bb.111:
	s_mov_b32 s0, 0
.LBB0_112:                              ; =>This Inner Loop Header: Depth=1
	s_sleep 1
	global_store_b64 v[4:5], v[2:3], off
	s_waitcnt_vscnt null, 0x0
	global_atomic_cmpswap_b64 v[7:8], v6, v[0:3], s[2:3] offset:24 glc
	s_waitcnt vmcnt(0)
	v_cmp_eq_u64_e32 vcc_lo, v[7:8], v[2:3]
	v_dual_mov_b32 v2, v7 :: v_dual_mov_b32 v3, v8
	s_or_b32 s0, vcc_lo, s0
	s_delay_alu instid0(SALU_CYCLE_1)
	s_and_not1_b32 exec_lo, exec_lo, s0
	s_cbranch_execnz .LBB0_112
.LBB0_113:
	s_or_b32 exec_lo, exec_lo, s6
	s_delay_alu instid0(SALU_CYCLE_1)
	s_or_b32 exec_lo, exec_lo, s1
	s_waitcnt lgkmcnt(0)
	s_setpc_b64 s[30:31]
.Lfunc_end0:
	.size	__ockl_fprintf_append_string_n, .Lfunc_end0-__ockl_fprintf_append_string_n
                                        ; -- End function
	.section	.AMDGPU.csdata,"",@progbits
; Function info:
; codeLenInByte = 4740
; NumSgprs: 34
; NumVgprs: 36
; ScratchSize: 0
; MemoryBound: 0
	.text
	.p2align	2                               ; -- Begin function __assert_fail
	.type	__assert_fail,@function
__assert_fail:                          ; @__assert_fail
; %bb.0:
	s_waitcnt vmcnt(0) expcnt(0) lgkmcnt(0)
	s_mov_b32 s20, s33
	s_mov_b32 s33, s32
	s_or_saveexec_b32 s0, -1
	scratch_store_b32 off, v40, s33 offset:48 ; 4-byte Folded Spill
	s_mov_b32 exec_lo, s0
	v_writelane_b32 v40, s30, 0
	s_add_i32 s32, s32, 64
	v_writelane_b32 v40, s31, 1
	s_getpc_b64 s[0:1]
	s_add_u32 s0, s0, __const.__assert_fail.fmt@rel32@lo+4
	s_addc_u32 s1, s1, __const.__assert_fail.fmt@rel32@hi+12
	s_getpc_b64 s[2:3]
	s_add_u32 s2, s2, __const.__assert_fail.fmt@rel32@lo+20
	s_addc_u32 s3, s3, __const.__assert_fail.fmt@rel32@hi+28
	v_mbcnt_lo_u32_b32 v35, -1, 0
	s_clause 0x1
	s_load_b128 s[4:7], s[0:1], 0x0
	s_load_b128 s[12:15], s[2:3], 0x0
	s_load_b64 s[2:3], s[8:9], 0x50
	v_dual_mov_b32 v5, v1 :: v_dual_mov_b32 v4, v0
	v_mov_b32_e32 v14, 0x73256020
	v_readfirstlane_b32 s0, v35
	v_mov_b32_e32 v0, 0
	v_dual_mov_b32 v2, 0 :: v_dual_mov_b32 v3, 0xa2e
	v_mov_b32_e32 v15, 0x61662027
	v_dual_mov_b32 v16, 0x64656c69 :: v_dual_mov_b32 v1, 0
	v_cmp_eq_u32_e64 s0, s0, v35
	s_waitcnt lgkmcnt(0)
	v_dual_mov_b32 v9, s7 :: v_dual_mov_b32 v8, s6
	v_dual_mov_b32 v7, s5 :: v_dual_mov_b32 v6, s4
	;; [unrolled: 1-line block ×4, first 2 shown]
	s_clause 0x4
	scratch_store_b128 off, v[6:9], s33
	scratch_store_b128 off, v[10:13], s33 offset:16
	scratch_store_b8 off, v2, s33 offset:46
	scratch_store_b16 off, v3, s33 offset:44
	scratch_store_b96 off, v[14:16], s33 offset:32
	s_and_saveexec_b32 s1, s0
	s_cbranch_execz .LBB1_6
; %bb.1:
	global_load_b64 v[8:9], v2, s[2:3] offset:24 glc
	s_waitcnt vmcnt(0)
	buffer_gl1_inv
	buffer_gl0_inv
	s_clause 0x1
	global_load_b64 v[0:1], v2, s[2:3] offset:40
	global_load_b64 v[6:7], v2, s[2:3]
	s_mov_b32 s4, exec_lo
	s_waitcnt vmcnt(1)
	v_and_b32_e32 v1, v1, v9
	v_and_b32_e32 v0, v0, v8
	s_delay_alu instid0(VALU_DEP_2) | instskip(NEXT) | instid1(VALU_DEP_2)
	v_mul_lo_u32 v1, v1, 24
	v_mul_hi_u32 v3, v0, 24
	v_mul_lo_u32 v0, v0, 24
	s_delay_alu instid0(VALU_DEP_2) | instskip(SKIP_1) | instid1(VALU_DEP_2)
	v_add_nc_u32_e32 v1, v3, v1
	s_waitcnt vmcnt(0)
	v_add_co_u32 v0, vcc_lo, v6, v0
	s_delay_alu instid0(VALU_DEP_2)
	v_add_co_ci_u32_e32 v1, vcc_lo, v7, v1, vcc_lo
	global_load_b64 v[6:7], v[0:1], off glc
	s_waitcnt vmcnt(0)
	global_atomic_cmpswap_b64 v[0:1], v2, v[6:9], s[2:3] offset:24 glc
	s_waitcnt vmcnt(0)
	buffer_gl1_inv
	buffer_gl0_inv
	v_cmpx_ne_u64_e64 v[0:1], v[8:9]
	s_cbranch_execz .LBB1_5
; %bb.2:
	s_mov_b32 s5, 0
	.p2align	6
.LBB1_3:                                ; =>This Inner Loop Header: Depth=1
	s_sleep 1
	s_clause 0x1
	global_load_b64 v[6:7], v2, s[2:3] offset:40
	global_load_b64 v[10:11], v2, s[2:3]
	v_dual_mov_b32 v9, v1 :: v_dual_mov_b32 v8, v0
	s_waitcnt vmcnt(1)
	s_delay_alu instid0(VALU_DEP_1) | instskip(SKIP_1) | instid1(VALU_DEP_1)
	v_and_b32_e32 v3, v6, v8
	s_waitcnt vmcnt(0)
	v_mad_u64_u32 v[0:1], null, v3, 24, v[10:11]
	v_and_b32_e32 v3, v7, v9
	s_delay_alu instid0(VALU_DEP_1) | instskip(NEXT) | instid1(VALU_DEP_1)
	v_mad_u64_u32 v[6:7], null, v3, 24, v[1:2]
	v_mov_b32_e32 v1, v6
	global_load_b64 v[6:7], v[0:1], off glc
	s_waitcnt vmcnt(0)
	global_atomic_cmpswap_b64 v[0:1], v2, v[6:9], s[2:3] offset:24 glc
	s_waitcnt vmcnt(0)
	buffer_gl1_inv
	buffer_gl0_inv
	v_cmp_eq_u64_e32 vcc_lo, v[0:1], v[8:9]
	s_or_b32 s5, vcc_lo, s5
	s_delay_alu instid0(SALU_CYCLE_1)
	s_and_not1_b32 exec_lo, exec_lo, s5
	s_cbranch_execnz .LBB1_3
; %bb.4:
	s_or_b32 exec_lo, exec_lo, s5
.LBB1_5:
	s_delay_alu instid0(SALU_CYCLE_1)
	s_or_b32 exec_lo, exec_lo, s4
.LBB1_6:
	s_delay_alu instid0(SALU_CYCLE_1)
	s_or_b32 exec_lo, exec_lo, s1
	s_clause 0x1
	global_load_b64 v[10:11], v2, s[2:3] offset:40
	global_load_b128 v[6:9], v2, s[2:3]
	v_readfirstlane_b32 s4, v0
	v_readfirstlane_b32 s5, v1
	s_mov_b32 s1, exec_lo
	s_waitcnt vmcnt(1)
	v_readfirstlane_b32 s6, v10
	v_readfirstlane_b32 s7, v11
	s_delay_alu instid0(VALU_DEP_1) | instskip(NEXT) | instid1(SALU_CYCLE_1)
	s_and_b64 s[6:7], s[4:5], s[6:7]
	s_mul_i32 s10, s7, 24
	s_mul_hi_u32 s11, s6, 24
	s_mul_i32 s12, s6, 24
	s_add_i32 s11, s11, s10
	s_waitcnt vmcnt(0)
	v_add_co_u32 v10, vcc_lo, v6, s12
	v_add_co_ci_u32_e32 v11, vcc_lo, s11, v7, vcc_lo
	s_and_saveexec_b32 s10, s0
	s_cbranch_execz .LBB1_8
; %bb.7:
	v_dual_mov_b32 v0, s1 :: v_dual_mov_b32 v1, 0
	v_dual_mov_b32 v2, 2 :: v_dual_mov_b32 v3, 1
	global_store_b128 v[10:11], v[0:3], off offset:8
.LBB1_8:
	s_or_b32 exec_lo, exec_lo, s10
	s_lshl_b64 s[6:7], s[6:7], 12
	v_dual_mov_b32 v1, 0 :: v_dual_lshlrev_b32 v34, 6, v35
	v_add_co_u32 v8, vcc_lo, v8, s6
	v_add_co_ci_u32_e32 v9, vcc_lo, s7, v9, vcc_lo
	s_mov_b32 s12, 0
	s_delay_alu instid0(VALU_DEP_2)
	v_add_co_u32 v12, vcc_lo, v8, v34
	s_mov_b32 s15, s12
	s_mov_b32 s13, s12
	;; [unrolled: 1-line block ×3, first 2 shown]
	v_dual_mov_b32 v0, 33 :: v_dual_mov_b32 v3, v1
	v_dual_mov_b32 v2, 1 :: v_dual_mov_b32 v17, s15
	v_readfirstlane_b32 s6, v8
	v_readfirstlane_b32 s7, v9
	v_add_co_ci_u32_e32 v13, vcc_lo, 0, v9, vcc_lo
	v_dual_mov_b32 v16, s14 :: v_dual_mov_b32 v15, s13
	v_mov_b32_e32 v14, s12
	s_clause 0x3
	global_store_b128 v34, v[0:3], s[6:7]
	global_store_b128 v34, v[14:17], s[6:7] offset:16
	global_store_b128 v34, v[14:17], s[6:7] offset:32
	;; [unrolled: 1-line block ×3, first 2 shown]
	s_and_saveexec_b32 s1, s0
	s_cbranch_execz .LBB1_16
; %bb.9:
	s_clause 0x1
	global_load_b64 v[16:17], v1, s[2:3] offset:32 glc
	global_load_b64 v[2:3], v1, s[2:3] offset:40
	v_mov_b32_e32 v14, s4
	s_mov_b32 s6, exec_lo
	s_waitcnt vmcnt(0)
	v_dual_mov_b32 v15, s5 :: v_dual_and_b32 v0, s5, v3
	v_and_b32_e32 v2, s4, v2
	s_delay_alu instid0(VALU_DEP_2) | instskip(NEXT) | instid1(VALU_DEP_2)
	v_mul_lo_u32 v0, v0, 24
	v_mul_hi_u32 v3, v2, 24
	v_mul_lo_u32 v2, v2, 24
	s_delay_alu instid0(VALU_DEP_2) | instskip(NEXT) | instid1(VALU_DEP_2)
	v_add_nc_u32_e32 v0, v3, v0
	v_add_co_u32 v2, vcc_lo, v6, v2
	s_delay_alu instid0(VALU_DEP_2)
	v_add_co_ci_u32_e32 v3, vcc_lo, v7, v0, vcc_lo
	global_store_b64 v[2:3], v[16:17], off
	s_waitcnt_vscnt null, 0x0
	global_atomic_cmpswap_b64 v[8:9], v1, v[14:17], s[2:3] offset:32 glc
	s_waitcnt vmcnt(0)
	v_cmpx_ne_u64_e64 v[8:9], v[16:17]
	s_cbranch_execz .LBB1_12
; %bb.10:
	s_mov_b32 s7, 0
.LBB1_11:                               ; =>This Inner Loop Header: Depth=1
	v_dual_mov_b32 v6, s4 :: v_dual_mov_b32 v7, s5
	s_sleep 1
	global_store_b64 v[2:3], v[8:9], off
	s_waitcnt_vscnt null, 0x0
	global_atomic_cmpswap_b64 v[6:7], v1, v[6:9], s[2:3] offset:32 glc
	s_waitcnt vmcnt(0)
	v_cmp_eq_u64_e32 vcc_lo, v[6:7], v[8:9]
	v_dual_mov_b32 v9, v7 :: v_dual_mov_b32 v8, v6
	s_or_b32 s7, vcc_lo, s7
	s_delay_alu instid0(SALU_CYCLE_1)
	s_and_not1_b32 exec_lo, exec_lo, s7
	s_cbranch_execnz .LBB1_11
.LBB1_12:
	s_or_b32 exec_lo, exec_lo, s6
	v_mov_b32_e32 v3, 0
	s_mov_b32 s7, exec_lo
	s_mov_b32 s6, exec_lo
	v_mbcnt_lo_u32_b32 v2, s7, 0
	global_load_b64 v[0:1], v3, s[2:3] offset:16
	v_cmpx_eq_u32_e32 0, v2
	s_cbranch_execz .LBB1_14
; %bb.13:
	s_bcnt1_i32_b32 s7, s7
	s_delay_alu instid0(SALU_CYCLE_1)
	v_mov_b32_e32 v2, s7
	s_waitcnt vmcnt(0)
	global_atomic_add_u64 v[0:1], v[2:3], off offset:8
.LBB1_14:
	s_or_b32 exec_lo, exec_lo, s6
	s_waitcnt vmcnt(0)
	global_load_b64 v[2:3], v[0:1], off offset:16
	s_waitcnt vmcnt(0)
	v_cmp_eq_u64_e32 vcc_lo, 0, v[2:3]
	s_cbranch_vccnz .LBB1_16
; %bb.15:
	global_load_b32 v0, v[0:1], off offset:24
	s_waitcnt vmcnt(0)
	v_dual_mov_b32 v1, 0 :: v_dual_and_b32 v6, 0xffffff, v0
	s_waitcnt_vscnt null, 0x0
	global_store_b64 v[2:3], v[0:1], off
	v_readfirstlane_b32 m0, v6
	s_sendmsg sendmsg(MSG_INTERRUPT)
.LBB1_16:
	s_or_b32 exec_lo, exec_lo, s1
	s_branch .LBB1_20
	.p2align	6
.LBB1_17:                               ;   in Loop: Header=BB1_20 Depth=1
	s_or_b32 exec_lo, exec_lo, s1
	s_delay_alu instid0(VALU_DEP_1) | instskip(NEXT) | instid1(VALU_DEP_1)
	v_readfirstlane_b32 s1, v0
	s_cmp_eq_u32 s1, 0
	s_cbranch_scc1 .LBB1_19
; %bb.18:                               ;   in Loop: Header=BB1_20 Depth=1
	s_sleep 1
	s_cbranch_execnz .LBB1_20
	s_branch .LBB1_22
	.p2align	6
.LBB1_19:
	s_branch .LBB1_22
.LBB1_20:                               ; =>This Inner Loop Header: Depth=1
	v_mov_b32_e32 v0, 1
	s_and_saveexec_b32 s1, s0
	s_cbranch_execz .LBB1_17
; %bb.21:                               ;   in Loop: Header=BB1_20 Depth=1
	global_load_b32 v0, v[10:11], off offset:20 glc
	s_waitcnt vmcnt(0)
	buffer_gl1_inv
	buffer_gl0_inv
	v_and_b32_e32 v0, 1, v0
	s_branch .LBB1_17
.LBB1_22:
	global_load_b64 v[6:7], v[12:13], off
	s_and_saveexec_b32 s1, s0
	s_cbranch_execz .LBB1_26
; %bb.23:
	v_mov_b32_e32 v10, 0
	s_clause 0x2
	global_load_b64 v[2:3], v10, s[2:3] offset:40
	global_load_b64 v[11:12], v10, s[2:3] offset:24 glc
	global_load_b64 v[8:9], v10, s[2:3]
	s_waitcnt vmcnt(2)
	v_add_co_u32 v13, vcc_lo, v2, 1
	v_add_co_ci_u32_e32 v14, vcc_lo, 0, v3, vcc_lo
	s_delay_alu instid0(VALU_DEP_2) | instskip(NEXT) | instid1(VALU_DEP_2)
	v_add_co_u32 v0, vcc_lo, v13, s4
	v_add_co_ci_u32_e32 v1, vcc_lo, s5, v14, vcc_lo
	s_delay_alu instid0(VALU_DEP_1) | instskip(SKIP_1) | instid1(VALU_DEP_1)
	v_cmp_eq_u64_e32 vcc_lo, 0, v[0:1]
	v_dual_cndmask_b32 v1, v1, v14 :: v_dual_cndmask_b32 v0, v0, v13
	v_and_b32_e32 v3, v1, v3
	s_delay_alu instid0(VALU_DEP_2) | instskip(NEXT) | instid1(VALU_DEP_2)
	v_and_b32_e32 v2, v0, v2
	v_mul_lo_u32 v3, v3, 24
	s_delay_alu instid0(VALU_DEP_2) | instskip(SKIP_1) | instid1(VALU_DEP_2)
	v_mul_hi_u32 v13, v2, 24
	v_mul_lo_u32 v2, v2, 24
	v_add_nc_u32_e32 v3, v13, v3
	s_waitcnt vmcnt(0)
	s_delay_alu instid0(VALU_DEP_2) | instskip(SKIP_1) | instid1(VALU_DEP_3)
	v_add_co_u32 v8, vcc_lo, v8, v2
	v_mov_b32_e32 v2, v11
	v_add_co_ci_u32_e32 v9, vcc_lo, v9, v3, vcc_lo
	v_mov_b32_e32 v3, v12
	global_store_b64 v[8:9], v[11:12], off
	s_waitcnt_vscnt null, 0x0
	global_atomic_cmpswap_b64 v[2:3], v10, v[0:3], s[2:3] offset:24 glc
	s_waitcnt vmcnt(0)
	v_cmp_ne_u64_e32 vcc_lo, v[2:3], v[11:12]
	s_and_b32 exec_lo, exec_lo, vcc_lo
	s_cbranch_execz .LBB1_26
; %bb.24:
	s_mov_b32 s0, 0
.LBB1_25:                               ; =>This Inner Loop Header: Depth=1
	s_sleep 1
	global_store_b64 v[8:9], v[2:3], off
	s_waitcnt_vscnt null, 0x0
	global_atomic_cmpswap_b64 v[11:12], v10, v[0:3], s[2:3] offset:24 glc
	s_waitcnt vmcnt(0)
	v_cmp_eq_u64_e32 vcc_lo, v[11:12], v[2:3]
	v_dual_mov_b32 v2, v11 :: v_dual_mov_b32 v3, v12
	s_or_b32 s0, vcc_lo, s0
	s_delay_alu instid0(SALU_CYCLE_1)
	s_and_not1_b32 exec_lo, exec_lo, s0
	s_cbranch_execnz .LBB1_25
.LBB1_26:
	s_or_b32 exec_lo, exec_lo, s1
	v_mov_b32_e32 v1, s33
	s_mov_b32 s0, 0
.LBB1_27:                               ; =>This Inner Loop Header: Depth=1
	scratch_load_u8 v2, v1, off
	v_add_nc_u32_e32 v0, 1, v1
	s_delay_alu instid0(VALU_DEP_1) | instskip(SKIP_3) | instid1(SALU_CYCLE_1)
	v_mov_b32_e32 v1, v0
	s_waitcnt vmcnt(0)
	v_cmp_eq_u16_e32 vcc_lo, 0, v2
	s_or_b32 s0, vcc_lo, s0
	s_and_not1_b32 exec_lo, exec_lo, s0
	s_cbranch_execnz .LBB1_27
; %bb.28:
	s_or_b32 exec_lo, exec_lo, s0
	v_cmp_ne_u32_e64 s0, -1, s33
	s_delay_alu instid0(VALU_DEP_1)
	s_and_b32 vcc_lo, exec_lo, s0
	s_cbranch_vccz .LBB1_113
; %bb.29:
	v_subrev_nc_u32_e32 v28, s33, v0
	v_dual_mov_b32 v9, 0 :: v_dual_and_b32 v36, 2, v6
	v_dual_mov_b32 v1, v7 :: v_dual_and_b32 v0, -3, v6
	s_delay_alu instid0(VALU_DEP_3)
	v_ashrrev_i32_e32 v29, 31, v28
	v_dual_mov_b32 v37, s33 :: v_dual_mov_b32 v10, 2
	v_mov_b32_e32 v11, 1
	s_mov_b32 s11, 0
	s_mov_b32 s10, 0
	s_branch .LBB1_31
.LBB1_30:                               ;   in Loop: Header=BB1_31 Depth=1
	s_or_b32 exec_lo, exec_lo, s1
	v_sub_co_u32 v28, vcc_lo, v28, v30
	v_sub_co_ci_u32_e32 v29, vcc_lo, v29, v31, vcc_lo
	v_add_nc_u32_e32 v37, v37, v30
	s_delay_alu instid0(VALU_DEP_2) | instskip(SKIP_1) | instid1(SALU_CYCLE_1)
	v_cmp_eq_u64_e32 vcc_lo, 0, v[28:29]
	s_or_b32 s10, vcc_lo, s10
	s_and_not1_b32 exec_lo, exec_lo, s10
	s_cbranch_execz .LBB1_114
.LBB1_31:                               ; =>This Loop Header: Depth=1
                                        ;     Child Loop BB1_34 Depth 2
                                        ;     Child Loop BB1_42 Depth 2
	;; [unrolled: 1-line block ×11, first 2 shown]
	v_cmp_gt_u64_e32 vcc_lo, 56, v[28:29]
	s_mov_b32 s4, exec_lo
                                        ; implicit-def: $vgpr2_vgpr3
                                        ; implicit-def: $sgpr1
	v_dual_cndmask_b32 v31, 0, v29 :: v_dual_cndmask_b32 v30, 56, v28
	v_cmpx_gt_u64_e32 8, v[28:29]
	s_xor_b32 s4, exec_lo, s4
	s_cbranch_execz .LBB1_37
; %bb.32:                               ;   in Loop: Header=BB1_31 Depth=1
	s_waitcnt vmcnt(0)
	v_mov_b32_e32 v2, 0
	v_mov_b32_e32 v3, 0
	s_mov_b64 s[0:1], 0
	s_mov_b32 s5, exec_lo
	v_cmpx_ne_u64_e32 0, v[28:29]
	s_cbranch_execz .LBB1_36
; %bb.33:                               ;   in Loop: Header=BB1_31 Depth=1
	v_lshlrev_b64 v[12:13], 3, v[30:31]
	v_mov_b32_e32 v2, 0
	v_dual_mov_b32 v3, 0 :: v_dual_mov_b32 v8, v37
	s_mov_b32 s6, 0
.LBB1_34:                               ;   Parent Loop BB1_31 Depth=1
                                        ; =>  This Inner Loop Header: Depth=2
	scratch_load_u8 v13, v8, off
	v_mov_b32_e32 v14, s11
	v_add_nc_u32_e32 v8, 1, v8
	s_waitcnt vmcnt(0)
	v_and_b32_e32 v13, 0xffff, v13
	s_delay_alu instid0(VALU_DEP_1) | instskip(SKIP_3) | instid1(VALU_DEP_2)
	v_lshlrev_b64 v[13:14], s0, v[13:14]
	s_add_u32 s0, s0, 8
	s_addc_u32 s1, s1, 0
	v_cmp_eq_u32_e32 vcc_lo, s0, v12
	v_or_b32_e32 v3, v14, v3
	s_delay_alu instid0(VALU_DEP_3) | instskip(SKIP_1) | instid1(SALU_CYCLE_1)
	v_or_b32_e32 v2, v13, v2
	s_or_b32 s6, vcc_lo, s6
	s_and_not1_b32 exec_lo, exec_lo, s6
	s_cbranch_execnz .LBB1_34
; %bb.35:                               ;   in Loop: Header=BB1_31 Depth=1
	s_or_b32 exec_lo, exec_lo, s6
.LBB1_36:                               ;   in Loop: Header=BB1_31 Depth=1
	s_delay_alu instid0(SALU_CYCLE_1)
	s_or_b32 exec_lo, exec_lo, s5
	s_mov_b32 s1, 0
.LBB1_37:                               ;   in Loop: Header=BB1_31 Depth=1
	s_or_saveexec_b32 s0, s4
	v_mov_b32_e32 v14, s1
	v_mov_b32_e32 v8, v37
	s_xor_b32 exec_lo, exec_lo, s0
	s_cbranch_execz .LBB1_39
; %bb.38:                               ;   in Loop: Header=BB1_31 Depth=1
	scratch_load_b64 v[2:3], v37, off
	v_add_nc_u32_e32 v14, -8, v30
	s_waitcnt vmcnt(0)
	v_and_b32_e32 v8, 0xff, v3
	v_and_b32_e32 v12, 0xff00, v3
	;; [unrolled: 1-line block ×4, first 2 shown]
	v_or3_b32 v2, v2, 0, 0
	s_delay_alu instid0(VALU_DEP_4) | instskip(NEXT) | instid1(VALU_DEP_1)
	v_or_b32_e32 v8, v8, v12
	v_or3_b32 v3, v8, v13, v3
	v_add_nc_u32_e32 v8, 8, v37
.LBB1_39:                               ;   in Loop: Header=BB1_31 Depth=1
	s_or_b32 exec_lo, exec_lo, s0
                                        ; implicit-def: $vgpr12_vgpr13
                                        ; implicit-def: $sgpr1
	s_delay_alu instid0(SALU_CYCLE_1)
	s_mov_b32 s0, exec_lo
	v_cmpx_gt_u32_e32 8, v14
	s_xor_b32 s4, exec_lo, s0
	s_cbranch_execz .LBB1_45
; %bb.40:                               ;   in Loop: Header=BB1_31 Depth=1
	v_mov_b32_e32 v12, 0
	v_mov_b32_e32 v13, 0
	s_mov_b32 s5, exec_lo
	v_cmpx_ne_u32_e32 0, v14
	s_cbranch_execz .LBB1_44
; %bb.41:                               ;   in Loop: Header=BB1_31 Depth=1
	v_mov_b32_e32 v12, 0
	v_mov_b32_e32 v13, 0
	s_mov_b64 s[0:1], 0
	s_mov_b32 s6, 0
	s_mov_b32 s7, 0
	.p2align	6
.LBB1_42:                               ;   Parent Loop BB1_31 Depth=1
                                        ; =>  This Inner Loop Header: Depth=2
	s_delay_alu instid0(SALU_CYCLE_1) | instskip(SKIP_1) | instid1(SALU_CYCLE_1)
	v_dual_mov_b32 v16, s11 :: v_dual_add_nc_u32 v15, s7, v8
	s_add_i32 s7, s7, 1
	v_cmp_eq_u32_e32 vcc_lo, s7, v14
	scratch_load_u8 v15, v15, off
	s_waitcnt vmcnt(0)
	v_and_b32_e32 v15, 0xffff, v15
	s_delay_alu instid0(VALU_DEP_1) | instskip(SKIP_3) | instid1(VALU_DEP_1)
	v_lshlrev_b64 v[15:16], s0, v[15:16]
	s_add_u32 s0, s0, 8
	s_addc_u32 s1, s1, 0
	s_or_b32 s6, vcc_lo, s6
	v_or_b32_e32 v13, v16, v13
	s_delay_alu instid0(VALU_DEP_2)
	v_or_b32_e32 v12, v15, v12
	s_and_not1_b32 exec_lo, exec_lo, s6
	s_cbranch_execnz .LBB1_42
; %bb.43:                               ;   in Loop: Header=BB1_31 Depth=1
	s_or_b32 exec_lo, exec_lo, s6
.LBB1_44:                               ;   in Loop: Header=BB1_31 Depth=1
	s_delay_alu instid0(SALU_CYCLE_1)
	s_or_b32 exec_lo, exec_lo, s5
	s_mov_b32 s1, 0
                                        ; implicit-def: $vgpr14
.LBB1_45:                               ;   in Loop: Header=BB1_31 Depth=1
	s_or_saveexec_b32 s0, s4
	v_mov_b32_e32 v16, s1
	s_xor_b32 exec_lo, exec_lo, s0
	s_cbranch_execz .LBB1_47
; %bb.46:                               ;   in Loop: Header=BB1_31 Depth=1
	scratch_load_b64 v[12:13], v8, off
	v_add_nc_u32_e32 v8, 8, v8
	s_waitcnt vmcnt(0)
	v_and_b32_e32 v15, 0xff, v13
	v_and_b32_e32 v16, 0xff00, v13
	;; [unrolled: 1-line block ×4, first 2 shown]
	v_or3_b32 v12, v12, 0, 0
	s_delay_alu instid0(VALU_DEP_4) | instskip(SKIP_1) | instid1(VALU_DEP_2)
	v_or_b32_e32 v15, v15, v16
	v_add_nc_u32_e32 v16, -8, v14
	v_or3_b32 v13, v15, v17, v13
.LBB1_47:                               ;   in Loop: Header=BB1_31 Depth=1
	s_or_b32 exec_lo, exec_lo, s0
                                        ; implicit-def: $sgpr1
	s_delay_alu instid0(SALU_CYCLE_1) | instskip(NEXT) | instid1(VALU_DEP_1)
	s_mov_b32 s0, exec_lo
	v_cmpx_gt_u32_e32 8, v16
	s_xor_b32 s4, exec_lo, s0
	s_cbranch_execz .LBB1_53
; %bb.48:                               ;   in Loop: Header=BB1_31 Depth=1
	v_mov_b32_e32 v14, 0
	v_mov_b32_e32 v15, 0
	s_mov_b32 s5, exec_lo
	v_cmpx_ne_u32_e32 0, v16
	s_cbranch_execz .LBB1_52
; %bb.49:                               ;   in Loop: Header=BB1_31 Depth=1
	v_mov_b32_e32 v14, 0
	v_mov_b32_e32 v15, 0
	s_mov_b64 s[0:1], 0
	s_mov_b32 s6, 0
	s_mov_b32 s7, 0
	.p2align	6
.LBB1_50:                               ;   Parent Loop BB1_31 Depth=1
                                        ; =>  This Inner Loop Header: Depth=2
	s_delay_alu instid0(SALU_CYCLE_1) | instskip(SKIP_1) | instid1(SALU_CYCLE_1)
	v_dual_mov_b32 v18, s11 :: v_dual_add_nc_u32 v17, s7, v8
	s_add_i32 s7, s7, 1
	v_cmp_eq_u32_e32 vcc_lo, s7, v16
	scratch_load_u8 v17, v17, off
	s_waitcnt vmcnt(0)
	v_and_b32_e32 v17, 0xffff, v17
	s_delay_alu instid0(VALU_DEP_1) | instskip(SKIP_3) | instid1(VALU_DEP_1)
	v_lshlrev_b64 v[17:18], s0, v[17:18]
	s_add_u32 s0, s0, 8
	s_addc_u32 s1, s1, 0
	s_or_b32 s6, vcc_lo, s6
	v_or_b32_e32 v15, v18, v15
	s_delay_alu instid0(VALU_DEP_2)
	v_or_b32_e32 v14, v17, v14
	s_and_not1_b32 exec_lo, exec_lo, s6
	s_cbranch_execnz .LBB1_50
; %bb.51:                               ;   in Loop: Header=BB1_31 Depth=1
	s_or_b32 exec_lo, exec_lo, s6
.LBB1_52:                               ;   in Loop: Header=BB1_31 Depth=1
	s_delay_alu instid0(SALU_CYCLE_1)
	s_or_b32 exec_lo, exec_lo, s5
	s_mov_b32 s1, 0
                                        ; implicit-def: $vgpr16
.LBB1_53:                               ;   in Loop: Header=BB1_31 Depth=1
	s_or_saveexec_b32 s0, s4
	v_mov_b32_e32 v18, s1
	s_xor_b32 exec_lo, exec_lo, s0
	s_cbranch_execz .LBB1_55
; %bb.54:                               ;   in Loop: Header=BB1_31 Depth=1
	scratch_load_b64 v[14:15], v8, off
	v_add_nc_u32_e32 v8, 8, v8
	s_waitcnt vmcnt(0)
	v_and_b32_e32 v17, 0xff, v15
	v_and_b32_e32 v18, 0xff00, v15
	;; [unrolled: 1-line block ×4, first 2 shown]
	v_or3_b32 v14, v14, 0, 0
	s_delay_alu instid0(VALU_DEP_4) | instskip(SKIP_1) | instid1(VALU_DEP_2)
	v_or_b32_e32 v17, v17, v18
	v_add_nc_u32_e32 v18, -8, v16
	v_or3_b32 v15, v17, v19, v15
.LBB1_55:                               ;   in Loop: Header=BB1_31 Depth=1
	s_or_b32 exec_lo, exec_lo, s0
                                        ; implicit-def: $vgpr16_vgpr17
                                        ; implicit-def: $sgpr1
	s_delay_alu instid0(SALU_CYCLE_1) | instskip(NEXT) | instid1(VALU_DEP_1)
	s_mov_b32 s0, exec_lo
	v_cmpx_gt_u32_e32 8, v18
	s_xor_b32 s4, exec_lo, s0
	s_cbranch_execz .LBB1_61
; %bb.56:                               ;   in Loop: Header=BB1_31 Depth=1
	v_mov_b32_e32 v16, 0
	v_mov_b32_e32 v17, 0
	s_mov_b32 s5, exec_lo
	v_cmpx_ne_u32_e32 0, v18
	s_cbranch_execz .LBB1_60
; %bb.57:                               ;   in Loop: Header=BB1_31 Depth=1
	v_mov_b32_e32 v16, 0
	v_mov_b32_e32 v17, 0
	s_mov_b64 s[0:1], 0
	s_mov_b32 s6, 0
	s_mov_b32 s7, 0
	.p2align	6
.LBB1_58:                               ;   Parent Loop BB1_31 Depth=1
                                        ; =>  This Inner Loop Header: Depth=2
	s_delay_alu instid0(SALU_CYCLE_1) | instskip(SKIP_1) | instid1(SALU_CYCLE_1)
	v_dual_mov_b32 v20, s11 :: v_dual_add_nc_u32 v19, s7, v8
	s_add_i32 s7, s7, 1
	v_cmp_eq_u32_e32 vcc_lo, s7, v18
	scratch_load_u8 v19, v19, off
	s_waitcnt vmcnt(0)
	v_and_b32_e32 v19, 0xffff, v19
	s_delay_alu instid0(VALU_DEP_1) | instskip(SKIP_3) | instid1(VALU_DEP_1)
	v_lshlrev_b64 v[19:20], s0, v[19:20]
	s_add_u32 s0, s0, 8
	s_addc_u32 s1, s1, 0
	s_or_b32 s6, vcc_lo, s6
	v_or_b32_e32 v17, v20, v17
	s_delay_alu instid0(VALU_DEP_2)
	v_or_b32_e32 v16, v19, v16
	s_and_not1_b32 exec_lo, exec_lo, s6
	s_cbranch_execnz .LBB1_58
; %bb.59:                               ;   in Loop: Header=BB1_31 Depth=1
	s_or_b32 exec_lo, exec_lo, s6
.LBB1_60:                               ;   in Loop: Header=BB1_31 Depth=1
	s_delay_alu instid0(SALU_CYCLE_1)
	s_or_b32 exec_lo, exec_lo, s5
	s_mov_b32 s1, 0
                                        ; implicit-def: $vgpr18
.LBB1_61:                               ;   in Loop: Header=BB1_31 Depth=1
	s_or_saveexec_b32 s0, s4
	v_mov_b32_e32 v20, s1
	s_xor_b32 exec_lo, exec_lo, s0
	s_cbranch_execz .LBB1_63
; %bb.62:                               ;   in Loop: Header=BB1_31 Depth=1
	scratch_load_b64 v[16:17], v8, off
	v_add_nc_u32_e32 v8, 8, v8
	s_waitcnt vmcnt(0)
	v_and_b32_e32 v19, 0xff, v17
	v_and_b32_e32 v20, 0xff00, v17
	v_and_b32_e32 v21, 0xff0000, v17
	v_and_b32_e32 v17, 0xff000000, v17
	v_or3_b32 v16, v16, 0, 0
	s_delay_alu instid0(VALU_DEP_4) | instskip(SKIP_1) | instid1(VALU_DEP_2)
	v_or_b32_e32 v19, v19, v20
	v_add_nc_u32_e32 v20, -8, v18
	v_or3_b32 v17, v19, v21, v17
.LBB1_63:                               ;   in Loop: Header=BB1_31 Depth=1
	s_or_b32 exec_lo, exec_lo, s0
                                        ; implicit-def: $sgpr1
	s_delay_alu instid0(SALU_CYCLE_1) | instskip(NEXT) | instid1(VALU_DEP_1)
	s_mov_b32 s0, exec_lo
	v_cmpx_gt_u32_e32 8, v20
	s_xor_b32 s4, exec_lo, s0
	s_cbranch_execz .LBB1_69
; %bb.64:                               ;   in Loop: Header=BB1_31 Depth=1
	v_mov_b32_e32 v18, 0
	v_mov_b32_e32 v19, 0
	s_mov_b32 s5, exec_lo
	v_cmpx_ne_u32_e32 0, v20
	s_cbranch_execz .LBB1_68
; %bb.65:                               ;   in Loop: Header=BB1_31 Depth=1
	v_mov_b32_e32 v18, 0
	v_mov_b32_e32 v19, 0
	s_mov_b64 s[0:1], 0
	s_mov_b32 s6, 0
	s_mov_b32 s7, 0
	.p2align	6
.LBB1_66:                               ;   Parent Loop BB1_31 Depth=1
                                        ; =>  This Inner Loop Header: Depth=2
	s_delay_alu instid0(SALU_CYCLE_1) | instskip(SKIP_1) | instid1(SALU_CYCLE_1)
	v_dual_mov_b32 v22, s11 :: v_dual_add_nc_u32 v21, s7, v8
	s_add_i32 s7, s7, 1
	v_cmp_eq_u32_e32 vcc_lo, s7, v20
	scratch_load_u8 v21, v21, off
	s_waitcnt vmcnt(0)
	v_and_b32_e32 v21, 0xffff, v21
	s_delay_alu instid0(VALU_DEP_1) | instskip(SKIP_3) | instid1(VALU_DEP_1)
	v_lshlrev_b64 v[21:22], s0, v[21:22]
	s_add_u32 s0, s0, 8
	s_addc_u32 s1, s1, 0
	s_or_b32 s6, vcc_lo, s6
	v_or_b32_e32 v19, v22, v19
	s_delay_alu instid0(VALU_DEP_2)
	v_or_b32_e32 v18, v21, v18
	s_and_not1_b32 exec_lo, exec_lo, s6
	s_cbranch_execnz .LBB1_66
; %bb.67:                               ;   in Loop: Header=BB1_31 Depth=1
	s_or_b32 exec_lo, exec_lo, s6
.LBB1_68:                               ;   in Loop: Header=BB1_31 Depth=1
	s_delay_alu instid0(SALU_CYCLE_1)
	s_or_b32 exec_lo, exec_lo, s5
	s_mov_b32 s1, 0
                                        ; implicit-def: $vgpr20
.LBB1_69:                               ;   in Loop: Header=BB1_31 Depth=1
	s_or_saveexec_b32 s0, s4
	v_mov_b32_e32 v22, s1
	s_xor_b32 exec_lo, exec_lo, s0
	s_cbranch_execz .LBB1_71
; %bb.70:                               ;   in Loop: Header=BB1_31 Depth=1
	scratch_load_b64 v[18:19], v8, off
	v_add_nc_u32_e32 v8, 8, v8
	s_waitcnt vmcnt(0)
	v_and_b32_e32 v21, 0xff, v19
	v_and_b32_e32 v22, 0xff00, v19
	v_and_b32_e32 v23, 0xff0000, v19
	v_and_b32_e32 v19, 0xff000000, v19
	v_or3_b32 v18, v18, 0, 0
	s_delay_alu instid0(VALU_DEP_4) | instskip(SKIP_1) | instid1(VALU_DEP_2)
	v_or_b32_e32 v21, v21, v22
	v_add_nc_u32_e32 v22, -8, v20
	v_or3_b32 v19, v21, v23, v19
.LBB1_71:                               ;   in Loop: Header=BB1_31 Depth=1
	s_or_b32 exec_lo, exec_lo, s0
                                        ; implicit-def: $vgpr20_vgpr21
                                        ; implicit-def: $sgpr1
	s_delay_alu instid0(SALU_CYCLE_1) | instskip(NEXT) | instid1(VALU_DEP_1)
	s_mov_b32 s0, exec_lo
	v_cmpx_gt_u32_e32 8, v22
	s_xor_b32 s4, exec_lo, s0
	s_cbranch_execz .LBB1_77
; %bb.72:                               ;   in Loop: Header=BB1_31 Depth=1
	v_mov_b32_e32 v20, 0
	v_mov_b32_e32 v21, 0
	s_mov_b32 s5, exec_lo
	v_cmpx_ne_u32_e32 0, v22
	s_cbranch_execz .LBB1_76
; %bb.73:                               ;   in Loop: Header=BB1_31 Depth=1
	v_mov_b32_e32 v20, 0
	v_mov_b32_e32 v21, 0
	s_mov_b64 s[0:1], 0
	s_mov_b32 s6, 0
	s_mov_b32 s7, 0
	.p2align	6
.LBB1_74:                               ;   Parent Loop BB1_31 Depth=1
                                        ; =>  This Inner Loop Header: Depth=2
	s_delay_alu instid0(SALU_CYCLE_1) | instskip(SKIP_1) | instid1(SALU_CYCLE_1)
	v_dual_mov_b32 v24, s11 :: v_dual_add_nc_u32 v23, s7, v8
	s_add_i32 s7, s7, 1
	v_cmp_eq_u32_e32 vcc_lo, s7, v22
	scratch_load_u8 v23, v23, off
	s_waitcnt vmcnt(0)
	v_and_b32_e32 v23, 0xffff, v23
	s_delay_alu instid0(VALU_DEP_1) | instskip(SKIP_3) | instid1(VALU_DEP_1)
	v_lshlrev_b64 v[23:24], s0, v[23:24]
	s_add_u32 s0, s0, 8
	s_addc_u32 s1, s1, 0
	s_or_b32 s6, vcc_lo, s6
	v_or_b32_e32 v21, v24, v21
	s_delay_alu instid0(VALU_DEP_2)
	v_or_b32_e32 v20, v23, v20
	s_and_not1_b32 exec_lo, exec_lo, s6
	s_cbranch_execnz .LBB1_74
; %bb.75:                               ;   in Loop: Header=BB1_31 Depth=1
	s_or_b32 exec_lo, exec_lo, s6
.LBB1_76:                               ;   in Loop: Header=BB1_31 Depth=1
	s_delay_alu instid0(SALU_CYCLE_1)
	s_or_b32 exec_lo, exec_lo, s5
	s_mov_b32 s1, 0
                                        ; implicit-def: $vgpr22
.LBB1_77:                               ;   in Loop: Header=BB1_31 Depth=1
	s_or_saveexec_b32 s0, s4
	v_mov_b32_e32 v24, s1
	s_xor_b32 exec_lo, exec_lo, s0
	s_cbranch_execz .LBB1_79
; %bb.78:                               ;   in Loop: Header=BB1_31 Depth=1
	scratch_load_b64 v[20:21], v8, off
	v_add_nc_u32_e32 v8, 8, v8
	s_waitcnt vmcnt(0)
	v_and_b32_e32 v23, 0xff, v21
	v_and_b32_e32 v24, 0xff00, v21
	;; [unrolled: 1-line block ×4, first 2 shown]
	v_or3_b32 v20, v20, 0, 0
	s_delay_alu instid0(VALU_DEP_4) | instskip(SKIP_1) | instid1(VALU_DEP_2)
	v_or_b32_e32 v23, v23, v24
	v_add_nc_u32_e32 v24, -8, v22
	v_or3_b32 v21, v23, v25, v21
.LBB1_79:                               ;   in Loop: Header=BB1_31 Depth=1
	s_or_b32 exec_lo, exec_lo, s0
	s_delay_alu instid0(SALU_CYCLE_1) | instskip(NEXT) | instid1(VALU_DEP_1)
	s_mov_b32 s0, exec_lo
	v_cmpx_gt_u32_e32 8, v24
	s_xor_b32 s4, exec_lo, s0
	s_cbranch_execz .LBB1_85
; %bb.80:                               ;   in Loop: Header=BB1_31 Depth=1
	v_mov_b32_e32 v22, 0
	v_mov_b32_e32 v23, 0
	s_mov_b32 s5, exec_lo
	v_cmpx_ne_u32_e32 0, v24
	s_cbranch_execz .LBB1_84
; %bb.81:                               ;   in Loop: Header=BB1_31 Depth=1
	v_mov_b32_e32 v22, 0
	v_mov_b32_e32 v23, 0
	s_mov_b64 s[0:1], 0
	s_mov_b32 s6, 0
	.p2align	6
.LBB1_82:                               ;   Parent Loop BB1_31 Depth=1
                                        ; =>  This Inner Loop Header: Depth=2
	scratch_load_u8 v25, v8, off
	v_mov_b32_e32 v26, s11
	v_add_nc_u32_e32 v24, -1, v24
	v_add_nc_u32_e32 v8, 1, v8
	s_delay_alu instid0(VALU_DEP_2) | instskip(SKIP_2) | instid1(VALU_DEP_1)
	v_cmp_eq_u32_e32 vcc_lo, 0, v24
	s_waitcnt vmcnt(0)
	v_and_b32_e32 v25, 0xffff, v25
	v_lshlrev_b64 v[25:26], s0, v[25:26]
	s_add_u32 s0, s0, 8
	s_addc_u32 s1, s1, 0
	s_or_b32 s6, vcc_lo, s6
	s_delay_alu instid0(VALU_DEP_1) | instskip(NEXT) | instid1(VALU_DEP_2)
	v_or_b32_e32 v23, v26, v23
	v_or_b32_e32 v22, v25, v22
	s_and_not1_b32 exec_lo, exec_lo, s6
	s_cbranch_execnz .LBB1_82
; %bb.83:                               ;   in Loop: Header=BB1_31 Depth=1
	s_or_b32 exec_lo, exec_lo, s6
.LBB1_84:                               ;   in Loop: Header=BB1_31 Depth=1
	s_delay_alu instid0(SALU_CYCLE_1)
	s_or_b32 exec_lo, exec_lo, s5
                                        ; implicit-def: $vgpr8
.LBB1_85:                               ;   in Loop: Header=BB1_31 Depth=1
	s_and_not1_saveexec_b32 s0, s4
	s_cbranch_execz .LBB1_87
; %bb.86:                               ;   in Loop: Header=BB1_31 Depth=1
	scratch_load_b64 v[22:23], v8, off
	s_waitcnt vmcnt(0)
	v_and_b32_e32 v8, 0xff, v23
	v_and_b32_e32 v24, 0xff00, v23
	v_and_b32_e32 v25, 0xff0000, v23
	v_and_b32_e32 v23, 0xff000000, v23
	v_or3_b32 v22, v22, 0, 0
	s_delay_alu instid0(VALU_DEP_4) | instskip(NEXT) | instid1(VALU_DEP_1)
	v_or_b32_e32 v8, v8, v24
	v_or3_b32 v23, v8, v25, v23
.LBB1_87:                               ;   in Loop: Header=BB1_31 Depth=1
	s_or_b32 exec_lo, exec_lo, s0
	v_readfirstlane_b32 s0, v35
	v_mov_b32_e32 v32, 0
	v_mov_b32_e32 v33, 0
	s_delay_alu instid0(VALU_DEP_3) | instskip(NEXT) | instid1(VALU_DEP_1)
	v_cmp_eq_u32_e64 s0, s0, v35
	s_and_saveexec_b32 s1, s0
	s_cbranch_execz .LBB1_93
; %bb.88:                               ;   in Loop: Header=BB1_31 Depth=1
	global_load_b64 v[26:27], v9, s[2:3] offset:24 glc
	s_waitcnt vmcnt(0)
	buffer_gl1_inv
	buffer_gl0_inv
	s_clause 0x1
	global_load_b64 v[24:25], v9, s[2:3] offset:40
	global_load_b64 v[32:33], v9, s[2:3]
	s_mov_b32 s4, exec_lo
	s_waitcnt vmcnt(1)
	v_and_b32_e32 v8, v25, v27
	v_and_b32_e32 v24, v24, v26
	s_delay_alu instid0(VALU_DEP_2) | instskip(NEXT) | instid1(VALU_DEP_2)
	v_mul_lo_u32 v8, v8, 24
	v_mul_hi_u32 v25, v24, 24
	v_mul_lo_u32 v24, v24, 24
	s_delay_alu instid0(VALU_DEP_2) | instskip(SKIP_1) | instid1(VALU_DEP_2)
	v_add_nc_u32_e32 v8, v25, v8
	s_waitcnt vmcnt(0)
	v_add_co_u32 v24, vcc_lo, v32, v24
	s_delay_alu instid0(VALU_DEP_2)
	v_add_co_ci_u32_e32 v25, vcc_lo, v33, v8, vcc_lo
	global_load_b64 v[24:25], v[24:25], off glc
	s_waitcnt vmcnt(0)
	global_atomic_cmpswap_b64 v[32:33], v9, v[24:27], s[2:3] offset:24 glc
	s_waitcnt vmcnt(0)
	buffer_gl1_inv
	buffer_gl0_inv
	v_cmpx_ne_u64_e64 v[32:33], v[26:27]
	s_cbranch_execz .LBB1_92
; %bb.89:                               ;   in Loop: Header=BB1_31 Depth=1
	s_mov_b32 s5, 0
	.p2align	6
.LBB1_90:                               ;   Parent Loop BB1_31 Depth=1
                                        ; =>  This Inner Loop Header: Depth=2
	s_sleep 1
	s_clause 0x1
	global_load_b64 v[24:25], v9, s[2:3] offset:40
	global_load_b64 v[38:39], v9, s[2:3]
	v_dual_mov_b32 v26, v32 :: v_dual_mov_b32 v27, v33
	s_waitcnt vmcnt(1)
	s_delay_alu instid0(VALU_DEP_1) | instskip(SKIP_1) | instid1(VALU_DEP_1)
	v_and_b32_e32 v8, v24, v26
	s_waitcnt vmcnt(0)
	v_mad_u64_u32 v[32:33], null, v8, 24, v[38:39]
	v_and_b32_e32 v38, v25, v27
	s_delay_alu instid0(VALU_DEP_2) | instskip(NEXT) | instid1(VALU_DEP_1)
	v_mov_b32_e32 v8, v33
	v_mad_u64_u32 v[24:25], null, v38, 24, v[8:9]
	s_delay_alu instid0(VALU_DEP_1)
	v_mov_b32_e32 v33, v24
	global_load_b64 v[24:25], v[32:33], off glc
	s_waitcnt vmcnt(0)
	global_atomic_cmpswap_b64 v[32:33], v9, v[24:27], s[2:3] offset:24 glc
	s_waitcnt vmcnt(0)
	buffer_gl1_inv
	buffer_gl0_inv
	v_cmp_eq_u64_e32 vcc_lo, v[32:33], v[26:27]
	s_or_b32 s5, vcc_lo, s5
	s_delay_alu instid0(SALU_CYCLE_1)
	s_and_not1_b32 exec_lo, exec_lo, s5
	s_cbranch_execnz .LBB1_90
; %bb.91:                               ;   in Loop: Header=BB1_31 Depth=1
	s_or_b32 exec_lo, exec_lo, s5
.LBB1_92:                               ;   in Loop: Header=BB1_31 Depth=1
	s_delay_alu instid0(SALU_CYCLE_1)
	s_or_b32 exec_lo, exec_lo, s4
.LBB1_93:                               ;   in Loop: Header=BB1_31 Depth=1
	s_delay_alu instid0(SALU_CYCLE_1)
	s_or_b32 exec_lo, exec_lo, s1
	s_clause 0x1
	global_load_b64 v[38:39], v9, s[2:3] offset:40
	global_load_b128 v[24:27], v9, s[2:3]
	v_readfirstlane_b32 s4, v32
	v_readfirstlane_b32 s5, v33
	s_mov_b32 s1, exec_lo
	s_waitcnt vmcnt(1)
	v_readfirstlane_b32 s6, v38
	v_readfirstlane_b32 s7, v39
	s_delay_alu instid0(VALU_DEP_1) | instskip(NEXT) | instid1(SALU_CYCLE_1)
	s_and_b64 s[6:7], s[4:5], s[6:7]
	s_mul_i32 s12, s7, 24
	s_mul_hi_u32 s13, s6, 24
	s_mul_i32 s14, s6, 24
	s_add_i32 s13, s13, s12
	s_waitcnt vmcnt(0)
	v_add_co_u32 v32, vcc_lo, v24, s14
	v_add_co_ci_u32_e32 v33, vcc_lo, s13, v25, vcc_lo
	s_and_saveexec_b32 s12, s0
	s_cbranch_execz .LBB1_95
; %bb.94:                               ;   in Loop: Header=BB1_31 Depth=1
	v_mov_b32_e32 v8, s1
	global_store_b128 v[32:33], v[8:11], off offset:8
.LBB1_95:                               ;   in Loop: Header=BB1_31 Depth=1
	s_or_b32 exec_lo, exec_lo, s12
	v_cmp_lt_u64_e32 vcc_lo, 56, v[28:29]
	v_or_b32_e32 v8, 0, v1
	v_or_b32_e32 v38, v0, v36
	v_lshl_add_u32 v39, v30, 2, 28
	s_lshl_b64 s[6:7], s[6:7], 12
	s_delay_alu instid0(SALU_CYCLE_1) | instskip(NEXT) | instid1(VALU_DEP_1)
	v_add_co_u32 v26, s1, v26, s6
	v_add_co_ci_u32_e64 v27, s1, s7, v27, s1
	v_dual_cndmask_b32 v1, v8, v1 :: v_dual_cndmask_b32 v0, v38, v0
	v_and_b32_e32 v8, 0x1e0, v39
	s_delay_alu instid0(VALU_DEP_4) | instskip(NEXT) | instid1(VALU_DEP_4)
	v_readfirstlane_b32 s6, v26
	v_readfirstlane_b32 s7, v27
	s_delay_alu instid0(VALU_DEP_3)
	v_and_or_b32 v0, 0xffffff1f, v0, v8
	s_clause 0x3
	global_store_b128 v34, v[0:3], s[6:7]
	global_store_b128 v34, v[12:15], s[6:7] offset:16
	global_store_b128 v34, v[16:19], s[6:7] offset:32
	;; [unrolled: 1-line block ×3, first 2 shown]
	s_and_saveexec_b32 s1, s0
	s_cbranch_execz .LBB1_103
; %bb.96:                               ;   in Loop: Header=BB1_31 Depth=1
	s_clause 0x1
	global_load_b64 v[16:17], v9, s[2:3] offset:32 glc
	global_load_b64 v[0:1], v9, s[2:3] offset:40
	v_dual_mov_b32 v14, s4 :: v_dual_mov_b32 v15, s5
	s_waitcnt vmcnt(0)
	v_readfirstlane_b32 s6, v0
	v_readfirstlane_b32 s7, v1
	s_delay_alu instid0(VALU_DEP_1) | instskip(NEXT) | instid1(SALU_CYCLE_1)
	s_and_b64 s[6:7], s[6:7], s[4:5]
	s_mul_i32 s7, s7, 24
	s_mul_hi_u32 s12, s6, 24
	s_mul_i32 s6, s6, 24
	s_add_i32 s12, s12, s7
	v_add_co_u32 v12, vcc_lo, v24, s6
	v_add_co_ci_u32_e32 v13, vcc_lo, s12, v25, vcc_lo
	s_mov_b32 s6, exec_lo
	global_store_b64 v[12:13], v[16:17], off
	s_waitcnt_vscnt null, 0x0
	global_atomic_cmpswap_b64 v[2:3], v9, v[14:17], s[2:3] offset:32 glc
	s_waitcnt vmcnt(0)
	v_cmpx_ne_u64_e64 v[2:3], v[16:17]
	s_cbranch_execz .LBB1_99
; %bb.97:                               ;   in Loop: Header=BB1_31 Depth=1
	s_mov_b32 s7, 0
.LBB1_98:                               ;   Parent Loop BB1_31 Depth=1
                                        ; =>  This Inner Loop Header: Depth=2
	v_dual_mov_b32 v0, s4 :: v_dual_mov_b32 v1, s5
	s_sleep 1
	global_store_b64 v[12:13], v[2:3], off
	s_waitcnt_vscnt null, 0x0
	global_atomic_cmpswap_b64 v[0:1], v9, v[0:3], s[2:3] offset:32 glc
	s_waitcnt vmcnt(0)
	v_cmp_eq_u64_e32 vcc_lo, v[0:1], v[2:3]
	v_dual_mov_b32 v3, v1 :: v_dual_mov_b32 v2, v0
	s_or_b32 s7, vcc_lo, s7
	s_delay_alu instid0(SALU_CYCLE_1)
	s_and_not1_b32 exec_lo, exec_lo, s7
	s_cbranch_execnz .LBB1_98
.LBB1_99:                               ;   in Loop: Header=BB1_31 Depth=1
	s_or_b32 exec_lo, exec_lo, s6
	global_load_b64 v[0:1], v9, s[2:3] offset:16
	s_mov_b32 s7, exec_lo
	s_mov_b32 s6, exec_lo
	v_mbcnt_lo_u32_b32 v2, s7, 0
	s_delay_alu instid0(VALU_DEP_1)
	v_cmpx_eq_u32_e32 0, v2
	s_cbranch_execz .LBB1_101
; %bb.100:                              ;   in Loop: Header=BB1_31 Depth=1
	s_bcnt1_i32_b32 s7, s7
	s_delay_alu instid0(SALU_CYCLE_1)
	v_mov_b32_e32 v8, s7
	s_waitcnt vmcnt(0)
	global_atomic_add_u64 v[0:1], v[8:9], off offset:8
.LBB1_101:                              ;   in Loop: Header=BB1_31 Depth=1
	s_or_b32 exec_lo, exec_lo, s6
	s_waitcnt vmcnt(0)
	global_load_b64 v[2:3], v[0:1], off offset:16
	s_waitcnt vmcnt(0)
	v_cmp_eq_u64_e32 vcc_lo, 0, v[2:3]
	s_cbranch_vccnz .LBB1_103
; %bb.102:                              ;   in Loop: Header=BB1_31 Depth=1
	global_load_b32 v8, v[0:1], off offset:24
	s_waitcnt vmcnt(0)
	v_and_b32_e32 v0, 0xffffff, v8
	s_waitcnt_vscnt null, 0x0
	global_store_b64 v[2:3], v[8:9], off
	v_readfirstlane_b32 m0, v0
	s_sendmsg sendmsg(MSG_INTERRUPT)
.LBB1_103:                              ;   in Loop: Header=BB1_31 Depth=1
	s_or_b32 exec_lo, exec_lo, s1
	v_add_co_u32 v0, vcc_lo, v26, v34
	v_add_co_ci_u32_e32 v1, vcc_lo, 0, v27, vcc_lo
	s_branch .LBB1_107
	.p2align	6
.LBB1_104:                              ;   in Loop: Header=BB1_107 Depth=2
	s_or_b32 exec_lo, exec_lo, s1
	s_delay_alu instid0(VALU_DEP_1) | instskip(NEXT) | instid1(VALU_DEP_1)
	v_readfirstlane_b32 s1, v2
	s_cmp_eq_u32 s1, 0
	s_cbranch_scc1 .LBB1_106
; %bb.105:                              ;   in Loop: Header=BB1_107 Depth=2
	s_sleep 1
	s_cbranch_execnz .LBB1_107
	s_branch .LBB1_109
	.p2align	6
.LBB1_106:                              ;   in Loop: Header=BB1_31 Depth=1
	s_branch .LBB1_109
.LBB1_107:                              ;   Parent Loop BB1_31 Depth=1
                                        ; =>  This Inner Loop Header: Depth=2
	v_mov_b32_e32 v2, 1
	s_and_saveexec_b32 s1, s0
	s_cbranch_execz .LBB1_104
; %bb.108:                              ;   in Loop: Header=BB1_107 Depth=2
	global_load_b32 v2, v[32:33], off offset:20 glc
	s_waitcnt vmcnt(0)
	buffer_gl1_inv
	buffer_gl0_inv
	v_and_b32_e32 v2, 1, v2
	s_branch .LBB1_104
.LBB1_109:                              ;   in Loop: Header=BB1_31 Depth=1
	global_load_b128 v[0:3], v[0:1], off
	s_and_saveexec_b32 s1, s0
	s_cbranch_execz .LBB1_30
; %bb.110:                              ;   in Loop: Header=BB1_31 Depth=1
	s_clause 0x2
	global_load_b64 v[2:3], v9, s[2:3] offset:40
	global_load_b64 v[16:17], v9, s[2:3] offset:24 glc
	global_load_b64 v[14:15], v9, s[2:3]
	s_waitcnt vmcnt(2)
	v_add_co_u32 v8, vcc_lo, v2, 1
	v_add_co_ci_u32_e32 v18, vcc_lo, 0, v3, vcc_lo
	s_delay_alu instid0(VALU_DEP_2) | instskip(NEXT) | instid1(VALU_DEP_2)
	v_add_co_u32 v12, vcc_lo, v8, s4
	v_add_co_ci_u32_e32 v13, vcc_lo, s5, v18, vcc_lo
	s_delay_alu instid0(VALU_DEP_1) | instskip(SKIP_1) | instid1(VALU_DEP_1)
	v_cmp_eq_u64_e32 vcc_lo, 0, v[12:13]
	v_dual_cndmask_b32 v13, v13, v18 :: v_dual_cndmask_b32 v12, v12, v8
	v_and_b32_e32 v3, v13, v3
	s_delay_alu instid0(VALU_DEP_2) | instskip(NEXT) | instid1(VALU_DEP_1)
	v_and_b32_e32 v2, v12, v2
	v_mul_hi_u32 v8, v2, 24
	v_mul_lo_u32 v2, v2, 24
	s_waitcnt vmcnt(0)
	s_delay_alu instid0(VALU_DEP_1) | instskip(SKIP_2) | instid1(VALU_DEP_1)
	v_add_co_u32 v2, vcc_lo, v14, v2
	v_mov_b32_e32 v14, v16
	v_mul_lo_u32 v3, v3, 24
	v_add_nc_u32_e32 v3, v8, v3
	s_delay_alu instid0(VALU_DEP_1)
	v_add_co_ci_u32_e32 v3, vcc_lo, v15, v3, vcc_lo
	v_mov_b32_e32 v15, v17
	global_store_b64 v[2:3], v[16:17], off
	s_waitcnt_vscnt null, 0x0
	global_atomic_cmpswap_b64 v[14:15], v9, v[12:15], s[2:3] offset:24 glc
	s_waitcnt vmcnt(0)
	v_cmp_ne_u64_e32 vcc_lo, v[14:15], v[16:17]
	s_and_b32 exec_lo, exec_lo, vcc_lo
	s_cbranch_execz .LBB1_30
; %bb.111:                              ;   in Loop: Header=BB1_31 Depth=1
	s_mov_b32 s0, 0
.LBB1_112:                              ;   Parent Loop BB1_31 Depth=1
                                        ; =>  This Inner Loop Header: Depth=2
	s_sleep 1
	global_store_b64 v[2:3], v[14:15], off
	s_waitcnt_vscnt null, 0x0
	global_atomic_cmpswap_b64 v[16:17], v9, v[12:15], s[2:3] offset:24 glc
	s_waitcnt vmcnt(0)
	v_cmp_eq_u64_e32 vcc_lo, v[16:17], v[14:15]
	v_dual_mov_b32 v14, v16 :: v_dual_mov_b32 v15, v17
	s_or_b32 s0, vcc_lo, s0
	s_delay_alu instid0(SALU_CYCLE_1)
	s_and_not1_b32 exec_lo, exec_lo, s0
	s_cbranch_execnz .LBB1_112
	s_branch .LBB1_30
.LBB1_113:
                                        ; implicit-def: $vgpr0_vgpr1
	s_cbranch_execnz .LBB1_115
	s_branch .LBB1_142
.LBB1_114:
	s_or_b32 exec_lo, exec_lo, s10
	s_branch .LBB1_142
.LBB1_115:
	v_readfirstlane_b32 s0, v35
	v_mov_b32_e32 v9, 0
	v_mov_b32_e32 v10, 0
	s_delay_alu instid0(VALU_DEP_3) | instskip(NEXT) | instid1(VALU_DEP_1)
	v_cmp_eq_u32_e64 s0, s0, v35
	s_and_saveexec_b32 s1, s0
	s_cbranch_execz .LBB1_121
; %bb.116:
	s_waitcnt vmcnt(0)
	v_mov_b32_e32 v0, 0
	s_mov_b32 s4, exec_lo
	global_load_b64 v[11:12], v0, s[2:3] offset:24 glc
	s_waitcnt vmcnt(0)
	buffer_gl1_inv
	buffer_gl0_inv
	s_clause 0x1
	global_load_b64 v[1:2], v0, s[2:3] offset:40
	global_load_b64 v[8:9], v0, s[2:3]
	s_waitcnt vmcnt(1)
	v_and_b32_e32 v1, v1, v11
	v_and_b32_e32 v2, v2, v12
	s_delay_alu instid0(VALU_DEP_2) | instskip(NEXT) | instid1(VALU_DEP_2)
	v_mul_hi_u32 v3, v1, 24
	v_mul_lo_u32 v2, v2, 24
	v_mul_lo_u32 v1, v1, 24
	s_delay_alu instid0(VALU_DEP_2) | instskip(SKIP_1) | instid1(VALU_DEP_2)
	v_add_nc_u32_e32 v2, v3, v2
	s_waitcnt vmcnt(0)
	v_add_co_u32 v1, vcc_lo, v8, v1
	s_delay_alu instid0(VALU_DEP_2)
	v_add_co_ci_u32_e32 v2, vcc_lo, v9, v2, vcc_lo
	global_load_b64 v[9:10], v[1:2], off glc
	s_waitcnt vmcnt(0)
	global_atomic_cmpswap_b64 v[9:10], v0, v[9:12], s[2:3] offset:24 glc
	s_waitcnt vmcnt(0)
	buffer_gl1_inv
	buffer_gl0_inv
	v_cmpx_ne_u64_e64 v[9:10], v[11:12]
	s_cbranch_execz .LBB1_120
; %bb.117:
	s_mov_b32 s5, 0
	.p2align	6
.LBB1_118:                              ; =>This Inner Loop Header: Depth=1
	s_sleep 1
	s_clause 0x1
	global_load_b64 v[1:2], v0, s[2:3] offset:40
	global_load_b64 v[13:14], v0, s[2:3]
	v_dual_mov_b32 v12, v10 :: v_dual_mov_b32 v11, v9
	s_waitcnt vmcnt(1)
	s_delay_alu instid0(VALU_DEP_1) | instskip(SKIP_1) | instid1(VALU_DEP_1)
	v_and_b32_e32 v1, v1, v11
	s_waitcnt vmcnt(0)
	v_mad_u64_u32 v[8:9], null, v1, 24, v[13:14]
	s_delay_alu instid0(VALU_DEP_1) | instskip(NEXT) | instid1(VALU_DEP_1)
	v_dual_mov_b32 v1, v9 :: v_dual_and_b32 v10, v2, v12
	v_mad_u64_u32 v[2:3], null, v10, 24, v[1:2]
	s_delay_alu instid0(VALU_DEP_1)
	v_mov_b32_e32 v9, v2
	global_load_b64 v[9:10], v[8:9], off glc
	s_waitcnt vmcnt(0)
	global_atomic_cmpswap_b64 v[9:10], v0, v[9:12], s[2:3] offset:24 glc
	s_waitcnt vmcnt(0)
	buffer_gl1_inv
	buffer_gl0_inv
	v_cmp_eq_u64_e32 vcc_lo, v[9:10], v[11:12]
	s_or_b32 s5, vcc_lo, s5
	s_delay_alu instid0(SALU_CYCLE_1)
	s_and_not1_b32 exec_lo, exec_lo, s5
	s_cbranch_execnz .LBB1_118
; %bb.119:
	s_or_b32 exec_lo, exec_lo, s5
.LBB1_120:
	s_delay_alu instid0(SALU_CYCLE_1)
	s_or_b32 exec_lo, exec_lo, s4
.LBB1_121:
	s_delay_alu instid0(SALU_CYCLE_1)
	s_or_b32 exec_lo, exec_lo, s1
	v_mov_b32_e32 v8, 0
	v_readfirstlane_b32 s4, v9
	v_readfirstlane_b32 s5, v10
	s_mov_b32 s1, exec_lo
	s_clause 0x1
	global_load_b64 v[11:12], v8, s[2:3] offset:40
	global_load_b128 v[0:3], v8, s[2:3]
	s_waitcnt vmcnt(1)
	v_readfirstlane_b32 s6, v11
	v_readfirstlane_b32 s7, v12
	s_delay_alu instid0(VALU_DEP_1) | instskip(NEXT) | instid1(SALU_CYCLE_1)
	s_and_b64 s[6:7], s[4:5], s[6:7]
	s_mul_i32 s10, s7, 24
	s_mul_hi_u32 s11, s6, 24
	s_mul_i32 s12, s6, 24
	s_add_i32 s11, s11, s10
	s_waitcnt vmcnt(0)
	v_add_co_u32 v10, vcc_lo, v0, s12
	v_add_co_ci_u32_e32 v11, vcc_lo, s11, v1, vcc_lo
	s_and_saveexec_b32 s10, s0
	s_cbranch_execz .LBB1_123
; %bb.122:
	v_dual_mov_b32 v12, s1 :: v_dual_mov_b32 v13, v8
	v_dual_mov_b32 v14, 2 :: v_dual_mov_b32 v15, 1
	global_store_b128 v[10:11], v[12:15], off offset:8
.LBB1_123:
	s_or_b32 exec_lo, exec_lo, s10
	s_lshl_b64 s[6:7], s[6:7], 12
	s_mov_b32 s12, 0
	v_add_co_u32 v2, vcc_lo, v2, s6
	v_add_co_ci_u32_e32 v3, vcc_lo, s7, v3, vcc_lo
	s_mov_b32 s15, s12
	s_delay_alu instid0(VALU_DEP_2)
	v_add_co_u32 v12, vcc_lo, v2, v34
	s_mov_b32 s13, s12
	s_mov_b32 s14, s12
	v_and_or_b32 v6, 0xffffff1f, v6, 32
	v_mov_b32_e32 v9, v8
	v_readfirstlane_b32 s6, v2
	v_readfirstlane_b32 s7, v3
	v_dual_mov_b32 v17, s15 :: v_dual_mov_b32 v14, s12
	v_add_co_ci_u32_e32 v13, vcc_lo, 0, v3, vcc_lo
	v_dual_mov_b32 v16, s14 :: v_dual_mov_b32 v15, s13
	s_clause 0x3
	global_store_b128 v34, v[6:9], s[6:7]
	global_store_b128 v34, v[14:17], s[6:7] offset:16
	global_store_b128 v34, v[14:17], s[6:7] offset:32
	;; [unrolled: 1-line block ×3, first 2 shown]
	s_and_saveexec_b32 s1, s0
	s_cbranch_execz .LBB1_131
; %bb.124:
	v_dual_mov_b32 v8, 0 :: v_dual_mov_b32 v15, s5
	v_mov_b32_e32 v14, s4
	s_clause 0x1
	global_load_b64 v[16:17], v8, s[2:3] offset:32 glc
	global_load_b64 v[2:3], v8, s[2:3] offset:40
	s_waitcnt vmcnt(0)
	v_readfirstlane_b32 s6, v2
	v_readfirstlane_b32 s7, v3
	s_delay_alu instid0(VALU_DEP_1) | instskip(NEXT) | instid1(SALU_CYCLE_1)
	s_and_b64 s[6:7], s[6:7], s[4:5]
	s_mul_i32 s7, s7, 24
	s_mul_hi_u32 s10, s6, 24
	s_mul_i32 s6, s6, 24
	s_add_i32 s10, s10, s7
	v_add_co_u32 v6, vcc_lo, v0, s6
	v_add_co_ci_u32_e32 v7, vcc_lo, s10, v1, vcc_lo
	s_mov_b32 s6, exec_lo
	global_store_b64 v[6:7], v[16:17], off
	s_waitcnt_vscnt null, 0x0
	global_atomic_cmpswap_b64 v[2:3], v8, v[14:17], s[2:3] offset:32 glc
	s_waitcnt vmcnt(0)
	v_cmpx_ne_u64_e64 v[2:3], v[16:17]
	s_cbranch_execz .LBB1_127
; %bb.125:
	s_mov_b32 s7, 0
.LBB1_126:                              ; =>This Inner Loop Header: Depth=1
	v_dual_mov_b32 v0, s4 :: v_dual_mov_b32 v1, s5
	s_sleep 1
	global_store_b64 v[6:7], v[2:3], off
	s_waitcnt_vscnt null, 0x0
	global_atomic_cmpswap_b64 v[0:1], v8, v[0:3], s[2:3] offset:32 glc
	s_waitcnt vmcnt(0)
	v_cmp_eq_u64_e32 vcc_lo, v[0:1], v[2:3]
	v_dual_mov_b32 v3, v1 :: v_dual_mov_b32 v2, v0
	s_or_b32 s7, vcc_lo, s7
	s_delay_alu instid0(SALU_CYCLE_1)
	s_and_not1_b32 exec_lo, exec_lo, s7
	s_cbranch_execnz .LBB1_126
.LBB1_127:
	s_or_b32 exec_lo, exec_lo, s6
	v_mov_b32_e32 v3, 0
	s_mov_b32 s7, exec_lo
	s_mov_b32 s6, exec_lo
	v_mbcnt_lo_u32_b32 v2, s7, 0
	global_load_b64 v[0:1], v3, s[2:3] offset:16
	v_cmpx_eq_u32_e32 0, v2
	s_cbranch_execz .LBB1_129
; %bb.128:
	s_bcnt1_i32_b32 s7, s7
	s_delay_alu instid0(SALU_CYCLE_1)
	v_mov_b32_e32 v2, s7
	s_waitcnt vmcnt(0)
	global_atomic_add_u64 v[0:1], v[2:3], off offset:8
.LBB1_129:
	s_or_b32 exec_lo, exec_lo, s6
	s_waitcnt vmcnt(0)
	global_load_b64 v[2:3], v[0:1], off offset:16
	s_waitcnt vmcnt(0)
	v_cmp_eq_u64_e32 vcc_lo, 0, v[2:3]
	s_cbranch_vccnz .LBB1_131
; %bb.130:
	global_load_b32 v0, v[0:1], off offset:24
	s_waitcnt vmcnt(0)
	v_dual_mov_b32 v1, 0 :: v_dual_and_b32 v6, 0xffffff, v0
	s_waitcnt_vscnt null, 0x0
	global_store_b64 v[2:3], v[0:1], off
	v_readfirstlane_b32 m0, v6
	s_sendmsg sendmsg(MSG_INTERRUPT)
.LBB1_131:
	s_or_b32 exec_lo, exec_lo, s1
	s_branch .LBB1_135
	.p2align	6
.LBB1_132:                              ;   in Loop: Header=BB1_135 Depth=1
	s_or_b32 exec_lo, exec_lo, s1
	s_delay_alu instid0(VALU_DEP_1) | instskip(NEXT) | instid1(VALU_DEP_1)
	v_readfirstlane_b32 s1, v0
	s_cmp_eq_u32 s1, 0
	s_cbranch_scc1 .LBB1_134
; %bb.133:                              ;   in Loop: Header=BB1_135 Depth=1
	s_sleep 1
	s_cbranch_execnz .LBB1_135
	s_branch .LBB1_137
	.p2align	6
.LBB1_134:
	s_branch .LBB1_137
.LBB1_135:                              ; =>This Inner Loop Header: Depth=1
	v_mov_b32_e32 v0, 1
	s_and_saveexec_b32 s1, s0
	s_cbranch_execz .LBB1_132
; %bb.136:                              ;   in Loop: Header=BB1_135 Depth=1
	global_load_b32 v0, v[10:11], off offset:20 glc
	s_waitcnt vmcnt(0)
	buffer_gl1_inv
	buffer_gl0_inv
	v_and_b32_e32 v0, 1, v0
	s_branch .LBB1_132
.LBB1_137:
	global_load_b64 v[0:1], v[12:13], off
	s_and_saveexec_b32 s1, s0
	s_cbranch_execz .LBB1_141
; %bb.138:
	v_mov_b32_e32 v10, 0
	s_clause 0x2
	global_load_b64 v[2:3], v10, s[2:3] offset:40
	global_load_b64 v[11:12], v10, s[2:3] offset:24 glc
	global_load_b64 v[8:9], v10, s[2:3]
	s_waitcnt vmcnt(2)
	v_add_co_u32 v13, vcc_lo, v2, 1
	v_add_co_ci_u32_e32 v14, vcc_lo, 0, v3, vcc_lo
	s_delay_alu instid0(VALU_DEP_2) | instskip(NEXT) | instid1(VALU_DEP_2)
	v_add_co_u32 v6, vcc_lo, v13, s4
	v_add_co_ci_u32_e32 v7, vcc_lo, s5, v14, vcc_lo
	s_delay_alu instid0(VALU_DEP_1) | instskip(SKIP_1) | instid1(VALU_DEP_1)
	v_cmp_eq_u64_e32 vcc_lo, 0, v[6:7]
	v_dual_cndmask_b32 v7, v7, v14 :: v_dual_cndmask_b32 v6, v6, v13
	v_and_b32_e32 v3, v7, v3
	s_delay_alu instid0(VALU_DEP_2) | instskip(NEXT) | instid1(VALU_DEP_2)
	v_and_b32_e32 v2, v6, v2
	v_mul_lo_u32 v3, v3, 24
	s_delay_alu instid0(VALU_DEP_2) | instskip(SKIP_1) | instid1(VALU_DEP_2)
	v_mul_hi_u32 v13, v2, 24
	v_mul_lo_u32 v2, v2, 24
	v_add_nc_u32_e32 v3, v13, v3
	s_waitcnt vmcnt(0)
	s_delay_alu instid0(VALU_DEP_2) | instskip(SKIP_1) | instid1(VALU_DEP_3)
	v_add_co_u32 v2, vcc_lo, v8, v2
	v_mov_b32_e32 v8, v11
	v_add_co_ci_u32_e32 v3, vcc_lo, v9, v3, vcc_lo
	v_mov_b32_e32 v9, v12
	global_store_b64 v[2:3], v[11:12], off
	s_waitcnt_vscnt null, 0x0
	global_atomic_cmpswap_b64 v[8:9], v10, v[6:9], s[2:3] offset:24 glc
	s_waitcnt vmcnt(0)
	v_cmp_ne_u64_e32 vcc_lo, v[8:9], v[11:12]
	s_and_b32 exec_lo, exec_lo, vcc_lo
	s_cbranch_execz .LBB1_141
; %bb.139:
	s_mov_b32 s0, 0
.LBB1_140:                              ; =>This Inner Loop Header: Depth=1
	s_sleep 1
	global_store_b64 v[2:3], v[8:9], off
	s_waitcnt_vscnt null, 0x0
	global_atomic_cmpswap_b64 v[11:12], v10, v[6:9], s[2:3] offset:24 glc
	s_waitcnt vmcnt(0)
	v_cmp_eq_u64_e32 vcc_lo, v[11:12], v[8:9]
	v_dual_mov_b32 v8, v11 :: v_dual_mov_b32 v9, v12
	s_or_b32 s0, vcc_lo, s0
	s_delay_alu instid0(SALU_CYCLE_1)
	s_and_not1_b32 exec_lo, exec_lo, s0
	s_cbranch_execnz .LBB1_140
.LBB1_141:
	s_or_b32 exec_lo, exec_lo, s1
.LBB1_142:
	s_getpc_b64 s[4:5]
	s_add_u32 s4, s4, .str.2@rel32@lo+4
	s_addc_u32 s5, s5, .str.2@rel32@hi+12
	s_delay_alu instid0(SALU_CYCLE_1)
	s_cmp_lg_u64 s[4:5], 0
	s_cbranch_scc0 .LBB1_220
; %bb.143:
	s_getpc_b64 s[0:1]
	s_add_u32 s0, s0, .str.2@rel32@lo+80
	s_addc_u32 s1, s1, .str.2@rel32@hi+88
	s_waitcnt vmcnt(0)
	v_dual_mov_b32 v10, 0 :: v_dual_and_b32 v33, 2, v0
	v_dual_mov_b32 v7, v1 :: v_dual_and_b32 v6, -3, v0
	v_dual_mov_b32 v11, 2 :: v_dual_mov_b32 v12, 1
	s_sub_i32 s6, s0, s4
	s_delay_alu instid0(SALU_CYCLE_1)
	s_ashr_i32 s7, s6, 31
	s_branch .LBB1_145
.LBB1_144:                              ;   in Loop: Header=BB1_145 Depth=1
	s_or_b32 exec_lo, exec_lo, s1
	s_sub_u32 s6, s6, s10
	s_subb_u32 s7, s7, s11
	s_add_u32 s4, s4, s10
	s_addc_u32 s5, s5, s11
	s_cmp_lg_u64 s[6:7], 0
	s_cbranch_scc0 .LBB1_221
.LBB1_145:                              ; =>This Loop Header: Depth=1
                                        ;     Child Loop BB1_154 Depth 2
                                        ;     Child Loop BB1_150 Depth 2
                                        ;     Child Loop BB1_162 Depth 2
                                        ;     Child Loop BB1_169 Depth 2
                                        ;     Child Loop BB1_176 Depth 2
                                        ;     Child Loop BB1_183 Depth 2
                                        ;     Child Loop BB1_190 Depth 2
                                        ;     Child Loop BB1_197 Depth 2
                                        ;     Child Loop BB1_205 Depth 2
                                        ;     Child Loop BB1_214 Depth 2
                                        ;     Child Loop BB1_219 Depth 2
	v_cmp_lt_u64_e64 s0, s[6:7], 56
	v_cmp_gt_u64_e64 s1, s[6:7], 7
                                        ; implicit-def: $vgpr15_vgpr16
                                        ; implicit-def: $sgpr16
	s_delay_alu instid0(VALU_DEP_2) | instskip(SKIP_2) | instid1(VALU_DEP_1)
	s_and_b32 s0, s0, exec_lo
	s_cselect_b32 s11, s7, 0
	s_cselect_b32 s10, s6, 56
	s_and_b32 vcc_lo, exec_lo, s1
	s_mov_b32 s0, -1
	s_cbranch_vccz .LBB1_152
; %bb.146:                              ;   in Loop: Header=BB1_145 Depth=1
	s_and_not1_b32 vcc_lo, exec_lo, s0
	s_mov_b64 s[0:1], s[4:5]
	s_cbranch_vccz .LBB1_156
.LBB1_147:                              ;   in Loop: Header=BB1_145 Depth=1
	s_cmp_gt_u32 s16, 7
	s_cbranch_scc1 .LBB1_157
.LBB1_148:                              ;   in Loop: Header=BB1_145 Depth=1
	v_mov_b32_e32 v17, 0
	v_mov_b32_e32 v18, 0
	s_cmp_eq_u32 s16, 0
	s_cbranch_scc1 .LBB1_151
; %bb.149:                              ;   in Loop: Header=BB1_145 Depth=1
	s_mov_b64 s[12:13], 0
	s_mov_b64 s[14:15], 0
.LBB1_150:                              ;   Parent Loop BB1_145 Depth=1
                                        ; =>  This Inner Loop Header: Depth=2
	s_delay_alu instid0(SALU_CYCLE_1)
	s_add_u32 s18, s0, s14
	s_addc_u32 s19, s1, s15
	s_add_u32 s14, s14, 1
	global_load_u8 v2, v10, s[18:19]
	s_addc_u32 s15, s15, 0
	s_waitcnt vmcnt(0)
	v_and_b32_e32 v9, 0xffff, v2
	s_delay_alu instid0(VALU_DEP_1) | instskip(SKIP_3) | instid1(VALU_DEP_1)
	v_lshlrev_b64 v[2:3], s12, v[9:10]
	s_add_u32 s12, s12, 8
	s_addc_u32 s13, s13, 0
	s_cmp_lg_u32 s16, s14
	v_or_b32_e32 v17, v2, v17
	s_delay_alu instid0(VALU_DEP_2)
	v_or_b32_e32 v18, v3, v18
	s_cbranch_scc1 .LBB1_150
.LBB1_151:                              ;   in Loop: Header=BB1_145 Depth=1
	s_mov_b32 s17, 0
	s_cbranch_execz .LBB1_158
	s_branch .LBB1_159
.LBB1_152:                              ;   in Loop: Header=BB1_145 Depth=1
	v_mov_b32_e32 v15, 0
	v_mov_b32_e32 v16, 0
	s_cmp_eq_u64 s[6:7], 0
	s_mov_b64 s[0:1], 0
	s_cbranch_scc1 .LBB1_155
; %bb.153:                              ;   in Loop: Header=BB1_145 Depth=1
	v_mov_b32_e32 v15, 0
	v_mov_b32_e32 v16, 0
	s_lshl_b64 s[12:13], s[10:11], 3
	s_mov_b64 s[14:15], s[4:5]
.LBB1_154:                              ;   Parent Loop BB1_145 Depth=1
                                        ; =>  This Inner Loop Header: Depth=2
	global_load_u8 v2, v10, s[14:15]
	s_waitcnt vmcnt(0)
	v_and_b32_e32 v9, 0xffff, v2
	s_delay_alu instid0(VALU_DEP_1)
	v_lshlrev_b64 v[2:3], s0, v[9:10]
	s_add_u32 s0, s0, 8
	s_addc_u32 s1, s1, 0
	s_add_u32 s14, s14, 1
	s_addc_u32 s15, s15, 0
	s_cmp_lg_u32 s12, s0
	v_or_b32_e32 v15, v2, v15
	v_or_b32_e32 v16, v3, v16
	s_cbranch_scc1 .LBB1_154
.LBB1_155:                              ;   in Loop: Header=BB1_145 Depth=1
	s_mov_b32 s16, 0
	s_mov_b64 s[0:1], s[4:5]
	s_cbranch_execnz .LBB1_147
.LBB1_156:                              ;   in Loop: Header=BB1_145 Depth=1
	global_load_b64 v[15:16], v10, s[4:5]
	s_add_i32 s16, s10, -8
	s_add_u32 s0, s4, 8
	s_addc_u32 s1, s5, 0
	s_cmp_gt_u32 s16, 7
	s_cbranch_scc0 .LBB1_148
.LBB1_157:                              ;   in Loop: Header=BB1_145 Depth=1
                                        ; implicit-def: $vgpr17_vgpr18
                                        ; implicit-def: $sgpr17
.LBB1_158:                              ;   in Loop: Header=BB1_145 Depth=1
	global_load_b64 v[17:18], v10, s[0:1]
	s_add_i32 s17, s16, -8
	s_add_u32 s0, s0, 8
	s_addc_u32 s1, s1, 0
.LBB1_159:                              ;   in Loop: Header=BB1_145 Depth=1
	s_cmp_gt_u32 s17, 7
	s_cbranch_scc1 .LBB1_164
; %bb.160:                              ;   in Loop: Header=BB1_145 Depth=1
	v_mov_b32_e32 v19, 0
	v_mov_b32_e32 v20, 0
	s_cmp_eq_u32 s17, 0
	s_cbranch_scc1 .LBB1_163
; %bb.161:                              ;   in Loop: Header=BB1_145 Depth=1
	s_mov_b64 s[12:13], 0
	s_mov_b64 s[14:15], 0
.LBB1_162:                              ;   Parent Loop BB1_145 Depth=1
                                        ; =>  This Inner Loop Header: Depth=2
	s_delay_alu instid0(SALU_CYCLE_1)
	s_add_u32 s18, s0, s14
	s_addc_u32 s19, s1, s15
	s_add_u32 s14, s14, 1
	global_load_u8 v2, v10, s[18:19]
	s_addc_u32 s15, s15, 0
	s_waitcnt vmcnt(0)
	v_and_b32_e32 v9, 0xffff, v2
	s_delay_alu instid0(VALU_DEP_1) | instskip(SKIP_3) | instid1(VALU_DEP_1)
	v_lshlrev_b64 v[2:3], s12, v[9:10]
	s_add_u32 s12, s12, 8
	s_addc_u32 s13, s13, 0
	s_cmp_lg_u32 s17, s14
	v_or_b32_e32 v19, v2, v19
	s_delay_alu instid0(VALU_DEP_2)
	v_or_b32_e32 v20, v3, v20
	s_cbranch_scc1 .LBB1_162
.LBB1_163:                              ;   in Loop: Header=BB1_145 Depth=1
	s_mov_b32 s16, 0
	s_cbranch_execz .LBB1_165
	s_branch .LBB1_166
.LBB1_164:                              ;   in Loop: Header=BB1_145 Depth=1
                                        ; implicit-def: $sgpr16
.LBB1_165:                              ;   in Loop: Header=BB1_145 Depth=1
	global_load_b64 v[19:20], v10, s[0:1]
	s_add_i32 s16, s17, -8
	s_add_u32 s0, s0, 8
	s_addc_u32 s1, s1, 0
.LBB1_166:                              ;   in Loop: Header=BB1_145 Depth=1
	s_cmp_gt_u32 s16, 7
	s_cbranch_scc1 .LBB1_171
; %bb.167:                              ;   in Loop: Header=BB1_145 Depth=1
	v_mov_b32_e32 v21, 0
	v_mov_b32_e32 v22, 0
	s_cmp_eq_u32 s16, 0
	s_cbranch_scc1 .LBB1_170
; %bb.168:                              ;   in Loop: Header=BB1_145 Depth=1
	s_mov_b64 s[12:13], 0
	s_mov_b64 s[14:15], 0
.LBB1_169:                              ;   Parent Loop BB1_145 Depth=1
                                        ; =>  This Inner Loop Header: Depth=2
	s_delay_alu instid0(SALU_CYCLE_1)
	s_add_u32 s18, s0, s14
	s_addc_u32 s19, s1, s15
	s_add_u32 s14, s14, 1
	global_load_u8 v2, v10, s[18:19]
	s_addc_u32 s15, s15, 0
	s_waitcnt vmcnt(0)
	v_and_b32_e32 v9, 0xffff, v2
	s_delay_alu instid0(VALU_DEP_1) | instskip(SKIP_3) | instid1(VALU_DEP_1)
	v_lshlrev_b64 v[2:3], s12, v[9:10]
	s_add_u32 s12, s12, 8
	s_addc_u32 s13, s13, 0
	s_cmp_lg_u32 s16, s14
	v_or_b32_e32 v21, v2, v21
	s_delay_alu instid0(VALU_DEP_2)
	v_or_b32_e32 v22, v3, v22
	s_cbranch_scc1 .LBB1_169
.LBB1_170:                              ;   in Loop: Header=BB1_145 Depth=1
	s_mov_b32 s17, 0
	s_cbranch_execz .LBB1_172
	s_branch .LBB1_173
.LBB1_171:                              ;   in Loop: Header=BB1_145 Depth=1
                                        ; implicit-def: $vgpr21_vgpr22
                                        ; implicit-def: $sgpr17
.LBB1_172:                              ;   in Loop: Header=BB1_145 Depth=1
	global_load_b64 v[21:22], v10, s[0:1]
	s_add_i32 s17, s16, -8
	s_add_u32 s0, s0, 8
	s_addc_u32 s1, s1, 0
.LBB1_173:                              ;   in Loop: Header=BB1_145 Depth=1
	s_cmp_gt_u32 s17, 7
	s_cbranch_scc1 .LBB1_178
; %bb.174:                              ;   in Loop: Header=BB1_145 Depth=1
	v_mov_b32_e32 v23, 0
	v_mov_b32_e32 v24, 0
	s_cmp_eq_u32 s17, 0
	s_cbranch_scc1 .LBB1_177
; %bb.175:                              ;   in Loop: Header=BB1_145 Depth=1
	s_mov_b64 s[12:13], 0
	s_mov_b64 s[14:15], 0
.LBB1_176:                              ;   Parent Loop BB1_145 Depth=1
                                        ; =>  This Inner Loop Header: Depth=2
	s_delay_alu instid0(SALU_CYCLE_1)
	s_add_u32 s18, s0, s14
	s_addc_u32 s19, s1, s15
	s_add_u32 s14, s14, 1
	global_load_u8 v2, v10, s[18:19]
	s_addc_u32 s15, s15, 0
	s_waitcnt vmcnt(0)
	v_and_b32_e32 v9, 0xffff, v2
	s_delay_alu instid0(VALU_DEP_1) | instskip(SKIP_3) | instid1(VALU_DEP_1)
	v_lshlrev_b64 v[2:3], s12, v[9:10]
	s_add_u32 s12, s12, 8
	s_addc_u32 s13, s13, 0
	s_cmp_lg_u32 s17, s14
	v_or_b32_e32 v23, v2, v23
	s_delay_alu instid0(VALU_DEP_2)
	v_or_b32_e32 v24, v3, v24
	s_cbranch_scc1 .LBB1_176
.LBB1_177:                              ;   in Loop: Header=BB1_145 Depth=1
	s_mov_b32 s16, 0
	s_cbranch_execz .LBB1_179
	s_branch .LBB1_180
.LBB1_178:                              ;   in Loop: Header=BB1_145 Depth=1
                                        ; implicit-def: $sgpr16
.LBB1_179:                              ;   in Loop: Header=BB1_145 Depth=1
	global_load_b64 v[23:24], v10, s[0:1]
	s_add_i32 s16, s17, -8
	s_add_u32 s0, s0, 8
	s_addc_u32 s1, s1, 0
.LBB1_180:                              ;   in Loop: Header=BB1_145 Depth=1
	s_cmp_gt_u32 s16, 7
	s_cbranch_scc1 .LBB1_185
; %bb.181:                              ;   in Loop: Header=BB1_145 Depth=1
	v_mov_b32_e32 v25, 0
	v_mov_b32_e32 v26, 0
	s_cmp_eq_u32 s16, 0
	s_cbranch_scc1 .LBB1_184
; %bb.182:                              ;   in Loop: Header=BB1_145 Depth=1
	s_mov_b64 s[12:13], 0
	s_mov_b64 s[14:15], 0
.LBB1_183:                              ;   Parent Loop BB1_145 Depth=1
                                        ; =>  This Inner Loop Header: Depth=2
	s_delay_alu instid0(SALU_CYCLE_1)
	s_add_u32 s18, s0, s14
	s_addc_u32 s19, s1, s15
	s_add_u32 s14, s14, 1
	global_load_u8 v2, v10, s[18:19]
	s_addc_u32 s15, s15, 0
	s_waitcnt vmcnt(0)
	v_and_b32_e32 v9, 0xffff, v2
	s_delay_alu instid0(VALU_DEP_1) | instskip(SKIP_3) | instid1(VALU_DEP_1)
	v_lshlrev_b64 v[2:3], s12, v[9:10]
	s_add_u32 s12, s12, 8
	s_addc_u32 s13, s13, 0
	s_cmp_lg_u32 s16, s14
	v_or_b32_e32 v25, v2, v25
	s_delay_alu instid0(VALU_DEP_2)
	v_or_b32_e32 v26, v3, v26
	s_cbranch_scc1 .LBB1_183
.LBB1_184:                              ;   in Loop: Header=BB1_145 Depth=1
	s_mov_b32 s17, 0
	s_cbranch_execz .LBB1_186
	s_branch .LBB1_187
.LBB1_185:                              ;   in Loop: Header=BB1_145 Depth=1
                                        ; implicit-def: $vgpr25_vgpr26
                                        ; implicit-def: $sgpr17
.LBB1_186:                              ;   in Loop: Header=BB1_145 Depth=1
	global_load_b64 v[25:26], v10, s[0:1]
	s_add_i32 s17, s16, -8
	s_add_u32 s0, s0, 8
	s_addc_u32 s1, s1, 0
.LBB1_187:                              ;   in Loop: Header=BB1_145 Depth=1
	s_cmp_gt_u32 s17, 7
	s_cbranch_scc1 .LBB1_192
; %bb.188:                              ;   in Loop: Header=BB1_145 Depth=1
	v_mov_b32_e32 v27, 0
	v_mov_b32_e32 v28, 0
	s_cmp_eq_u32 s17, 0
	s_cbranch_scc1 .LBB1_191
; %bb.189:                              ;   in Loop: Header=BB1_145 Depth=1
	s_mov_b64 s[12:13], 0
	s_mov_b64 s[14:15], s[0:1]
.LBB1_190:                              ;   Parent Loop BB1_145 Depth=1
                                        ; =>  This Inner Loop Header: Depth=2
	global_load_u8 v2, v10, s[14:15]
	s_add_i32 s17, s17, -1
	s_waitcnt vmcnt(0)
	v_and_b32_e32 v9, 0xffff, v2
	s_delay_alu instid0(VALU_DEP_1)
	v_lshlrev_b64 v[2:3], s12, v[9:10]
	s_add_u32 s12, s12, 8
	s_addc_u32 s13, s13, 0
	s_add_u32 s14, s14, 1
	s_addc_u32 s15, s15, 0
	s_cmp_lg_u32 s17, 0
	v_or_b32_e32 v27, v2, v27
	v_or_b32_e32 v28, v3, v28
	s_cbranch_scc1 .LBB1_190
.LBB1_191:                              ;   in Loop: Header=BB1_145 Depth=1
	s_cbranch_execz .LBB1_193
	s_branch .LBB1_194
.LBB1_192:                              ;   in Loop: Header=BB1_145 Depth=1
.LBB1_193:                              ;   in Loop: Header=BB1_145 Depth=1
	global_load_b64 v[27:28], v10, s[0:1]
.LBB1_194:                              ;   in Loop: Header=BB1_145 Depth=1
	v_readfirstlane_b32 s0, v35
	v_mov_b32_e32 v2, 0
	v_mov_b32_e32 v3, 0
	s_delay_alu instid0(VALU_DEP_3) | instskip(NEXT) | instid1(VALU_DEP_1)
	v_cmp_eq_u32_e64 s0, s0, v35
	s_and_saveexec_b32 s1, s0
	s_cbranch_execz .LBB1_200
; %bb.195:                              ;   in Loop: Header=BB1_145 Depth=1
	global_load_b64 v[31:32], v10, s[2:3] offset:24 glc
	s_waitcnt vmcnt(0)
	buffer_gl1_inv
	buffer_gl0_inv
	s_clause 0x1
	global_load_b64 v[2:3], v10, s[2:3] offset:40
	global_load_b64 v[8:9], v10, s[2:3]
	s_mov_b32 s12, exec_lo
	s_waitcnt vmcnt(1)
	v_and_b32_e32 v3, v3, v32
	v_and_b32_e32 v2, v2, v31
	s_delay_alu instid0(VALU_DEP_2) | instskip(NEXT) | instid1(VALU_DEP_2)
	v_mul_lo_u32 v3, v3, 24
	v_mul_hi_u32 v13, v2, 24
	v_mul_lo_u32 v2, v2, 24
	s_delay_alu instid0(VALU_DEP_2) | instskip(SKIP_1) | instid1(VALU_DEP_2)
	v_add_nc_u32_e32 v3, v13, v3
	s_waitcnt vmcnt(0)
	v_add_co_u32 v2, vcc_lo, v8, v2
	s_delay_alu instid0(VALU_DEP_2)
	v_add_co_ci_u32_e32 v3, vcc_lo, v9, v3, vcc_lo
	global_load_b64 v[29:30], v[2:3], off glc
	s_waitcnt vmcnt(0)
	global_atomic_cmpswap_b64 v[2:3], v10, v[29:32], s[2:3] offset:24 glc
	s_waitcnt vmcnt(0)
	buffer_gl1_inv
	buffer_gl0_inv
	v_cmpx_ne_u64_e64 v[2:3], v[31:32]
	s_cbranch_execz .LBB1_199
; %bb.196:                              ;   in Loop: Header=BB1_145 Depth=1
	s_mov_b32 s13, 0
	.p2align	6
.LBB1_197:                              ;   Parent Loop BB1_145 Depth=1
                                        ; =>  This Inner Loop Header: Depth=2
	s_sleep 1
	s_clause 0x1
	global_load_b64 v[8:9], v10, s[2:3] offset:40
	global_load_b64 v[13:14], v10, s[2:3]
	v_dual_mov_b32 v32, v3 :: v_dual_mov_b32 v31, v2
	s_waitcnt vmcnt(1)
	s_delay_alu instid0(VALU_DEP_1) | instskip(SKIP_1) | instid1(VALU_DEP_1)
	v_and_b32_e32 v8, v8, v31
	s_waitcnt vmcnt(0)
	v_mad_u64_u32 v[2:3], null, v8, 24, v[13:14]
	v_and_b32_e32 v13, v9, v32
	s_delay_alu instid0(VALU_DEP_1) | instskip(NEXT) | instid1(VALU_DEP_1)
	v_mad_u64_u32 v[8:9], null, v13, 24, v[3:4]
	v_mov_b32_e32 v3, v8
	global_load_b64 v[29:30], v[2:3], off glc
	s_waitcnt vmcnt(0)
	global_atomic_cmpswap_b64 v[2:3], v10, v[29:32], s[2:3] offset:24 glc
	s_waitcnt vmcnt(0)
	buffer_gl1_inv
	buffer_gl0_inv
	v_cmp_eq_u64_e32 vcc_lo, v[2:3], v[31:32]
	s_or_b32 s13, vcc_lo, s13
	s_delay_alu instid0(SALU_CYCLE_1)
	s_and_not1_b32 exec_lo, exec_lo, s13
	s_cbranch_execnz .LBB1_197
; %bb.198:                              ;   in Loop: Header=BB1_145 Depth=1
	s_or_b32 exec_lo, exec_lo, s13
.LBB1_199:                              ;   in Loop: Header=BB1_145 Depth=1
	s_delay_alu instid0(SALU_CYCLE_1)
	s_or_b32 exec_lo, exec_lo, s12
.LBB1_200:                              ;   in Loop: Header=BB1_145 Depth=1
	s_delay_alu instid0(SALU_CYCLE_1)
	s_or_b32 exec_lo, exec_lo, s1
	s_clause 0x1
	global_load_b64 v[8:9], v10, s[2:3] offset:40
	global_load_b128 v[29:32], v10, s[2:3]
	v_readfirstlane_b32 s12, v2
	v_readfirstlane_b32 s13, v3
	s_mov_b32 s1, exec_lo
	s_waitcnt vmcnt(1)
	v_readfirstlane_b32 s14, v8
	v_readfirstlane_b32 s15, v9
	s_delay_alu instid0(VALU_DEP_1) | instskip(NEXT) | instid1(SALU_CYCLE_1)
	s_and_b64 s[14:15], s[12:13], s[14:15]
	s_mul_i32 s16, s15, 24
	s_mul_hi_u32 s17, s14, 24
	s_mul_i32 s18, s14, 24
	s_add_i32 s17, s17, s16
	s_waitcnt vmcnt(0)
	v_add_co_u32 v2, vcc_lo, v29, s18
	v_add_co_ci_u32_e32 v3, vcc_lo, s17, v30, vcc_lo
	s_and_saveexec_b32 s16, s0
	s_cbranch_execz .LBB1_202
; %bb.201:                              ;   in Loop: Header=BB1_145 Depth=1
	v_mov_b32_e32 v9, s1
	global_store_b128 v[2:3], v[9:12], off offset:8
.LBB1_202:                              ;   in Loop: Header=BB1_145 Depth=1
	s_or_b32 exec_lo, exec_lo, s16
	s_lshl_b64 s[14:15], s[14:15], 12
	v_cmp_gt_u64_e64 vcc_lo, s[6:7], 56
	v_or_b32_e32 v9, v6, v33
	v_add_co_u32 v31, s1, v31, s14
	s_delay_alu instid0(VALU_DEP_1)
	v_add_co_ci_u32_e64 v32, s1, s15, v32, s1
	s_lshl_b32 s1, s10, 2
	v_or_b32_e32 v8, 0, v7
	v_cndmask_b32_e32 v6, v9, v6, vcc_lo
	s_add_i32 s1, s1, 28
	v_readfirstlane_b32 s14, v31
	s_and_b32 s1, s1, 0x1e0
	v_cndmask_b32_e32 v14, v8, v7, vcc_lo
	v_readfirstlane_b32 s15, v32
	v_and_or_b32 v13, 0xffffff1f, v6, s1
	s_clause 0x3
	global_store_b128 v34, v[13:16], s[14:15]
	global_store_b128 v34, v[17:20], s[14:15] offset:16
	global_store_b128 v34, v[21:24], s[14:15] offset:32
	;; [unrolled: 1-line block ×3, first 2 shown]
	s_and_saveexec_b32 s1, s0
	s_cbranch_execz .LBB1_210
; %bb.203:                              ;   in Loop: Header=BB1_145 Depth=1
	s_clause 0x1
	global_load_b64 v[17:18], v10, s[2:3] offset:32 glc
	global_load_b64 v[6:7], v10, s[2:3] offset:40
	v_dual_mov_b32 v15, s12 :: v_dual_mov_b32 v16, s13
	s_waitcnt vmcnt(0)
	v_readfirstlane_b32 s14, v6
	v_readfirstlane_b32 s15, v7
	s_delay_alu instid0(VALU_DEP_1) | instskip(NEXT) | instid1(SALU_CYCLE_1)
	s_and_b64 s[14:15], s[14:15], s[12:13]
	s_mul_i32 s15, s15, 24
	s_mul_hi_u32 s16, s14, 24
	s_mul_i32 s14, s14, 24
	s_add_i32 s16, s16, s15
	v_add_co_u32 v13, vcc_lo, v29, s14
	v_add_co_ci_u32_e32 v14, vcc_lo, s16, v30, vcc_lo
	s_mov_b32 s14, exec_lo
	global_store_b64 v[13:14], v[17:18], off
	s_waitcnt_vscnt null, 0x0
	global_atomic_cmpswap_b64 v[8:9], v10, v[15:18], s[2:3] offset:32 glc
	s_waitcnt vmcnt(0)
	v_cmpx_ne_u64_e64 v[8:9], v[17:18]
	s_cbranch_execz .LBB1_206
; %bb.204:                              ;   in Loop: Header=BB1_145 Depth=1
	s_mov_b32 s15, 0
.LBB1_205:                              ;   Parent Loop BB1_145 Depth=1
                                        ; =>  This Inner Loop Header: Depth=2
	v_dual_mov_b32 v6, s12 :: v_dual_mov_b32 v7, s13
	s_sleep 1
	global_store_b64 v[13:14], v[8:9], off
	s_waitcnt_vscnt null, 0x0
	global_atomic_cmpswap_b64 v[6:7], v10, v[6:9], s[2:3] offset:32 glc
	s_waitcnt vmcnt(0)
	v_cmp_eq_u64_e32 vcc_lo, v[6:7], v[8:9]
	v_dual_mov_b32 v9, v7 :: v_dual_mov_b32 v8, v6
	s_or_b32 s15, vcc_lo, s15
	s_delay_alu instid0(SALU_CYCLE_1)
	s_and_not1_b32 exec_lo, exec_lo, s15
	s_cbranch_execnz .LBB1_205
.LBB1_206:                              ;   in Loop: Header=BB1_145 Depth=1
	s_or_b32 exec_lo, exec_lo, s14
	global_load_b64 v[6:7], v10, s[2:3] offset:16
	s_mov_b32 s15, exec_lo
	s_mov_b32 s14, exec_lo
	v_mbcnt_lo_u32_b32 v8, s15, 0
	s_delay_alu instid0(VALU_DEP_1)
	v_cmpx_eq_u32_e32 0, v8
	s_cbranch_execz .LBB1_208
; %bb.207:                              ;   in Loop: Header=BB1_145 Depth=1
	s_bcnt1_i32_b32 s15, s15
	s_delay_alu instid0(SALU_CYCLE_1)
	v_mov_b32_e32 v9, s15
	s_waitcnt vmcnt(0)
	global_atomic_add_u64 v[6:7], v[9:10], off offset:8
.LBB1_208:                              ;   in Loop: Header=BB1_145 Depth=1
	s_or_b32 exec_lo, exec_lo, s14
	s_waitcnt vmcnt(0)
	global_load_b64 v[13:14], v[6:7], off offset:16
	s_waitcnt vmcnt(0)
	v_cmp_eq_u64_e32 vcc_lo, 0, v[13:14]
	s_cbranch_vccnz .LBB1_210
; %bb.209:                              ;   in Loop: Header=BB1_145 Depth=1
	global_load_b32 v9, v[6:7], off offset:24
	s_waitcnt vmcnt(0)
	v_and_b32_e32 v6, 0xffffff, v9
	s_waitcnt_vscnt null, 0x0
	global_store_b64 v[13:14], v[9:10], off
	v_readfirstlane_b32 m0, v6
	s_sendmsg sendmsg(MSG_INTERRUPT)
.LBB1_210:                              ;   in Loop: Header=BB1_145 Depth=1
	s_or_b32 exec_lo, exec_lo, s1
	v_add_co_u32 v6, vcc_lo, v31, v34
	v_add_co_ci_u32_e32 v7, vcc_lo, 0, v32, vcc_lo
	s_branch .LBB1_214
	.p2align	6
.LBB1_211:                              ;   in Loop: Header=BB1_214 Depth=2
	s_or_b32 exec_lo, exec_lo, s1
	s_delay_alu instid0(VALU_DEP_1) | instskip(NEXT) | instid1(VALU_DEP_1)
	v_readfirstlane_b32 s1, v8
	s_cmp_eq_u32 s1, 0
	s_cbranch_scc1 .LBB1_213
; %bb.212:                              ;   in Loop: Header=BB1_214 Depth=2
	s_sleep 1
	s_cbranch_execnz .LBB1_214
	s_branch .LBB1_216
	.p2align	6
.LBB1_213:                              ;   in Loop: Header=BB1_145 Depth=1
	s_branch .LBB1_216
.LBB1_214:                              ;   Parent Loop BB1_145 Depth=1
                                        ; =>  This Inner Loop Header: Depth=2
	v_mov_b32_e32 v8, 1
	s_and_saveexec_b32 s1, s0
	s_cbranch_execz .LBB1_211
; %bb.215:                              ;   in Loop: Header=BB1_214 Depth=2
	global_load_b32 v8, v[2:3], off offset:20 glc
	s_waitcnt vmcnt(0)
	buffer_gl1_inv
	buffer_gl0_inv
	v_and_b32_e32 v8, 1, v8
	s_branch .LBB1_211
.LBB1_216:                              ;   in Loop: Header=BB1_145 Depth=1
	global_load_b128 v[6:9], v[6:7], off
	s_and_saveexec_b32 s1, s0
	s_cbranch_execz .LBB1_144
; %bb.217:                              ;   in Loop: Header=BB1_145 Depth=1
	s_clause 0x2
	global_load_b64 v[2:3], v10, s[2:3] offset:40
	global_load_b64 v[8:9], v10, s[2:3] offset:24 glc
	global_load_b64 v[15:16], v10, s[2:3]
	s_waitcnt vmcnt(2)
	v_add_co_u32 v17, vcc_lo, v2, 1
	v_add_co_ci_u32_e32 v18, vcc_lo, 0, v3, vcc_lo
	s_delay_alu instid0(VALU_DEP_2) | instskip(NEXT) | instid1(VALU_DEP_2)
	v_add_co_u32 v13, vcc_lo, v17, s12
	v_add_co_ci_u32_e32 v14, vcc_lo, s13, v18, vcc_lo
	s_delay_alu instid0(VALU_DEP_1) | instskip(SKIP_1) | instid1(VALU_DEP_1)
	v_cmp_eq_u64_e32 vcc_lo, 0, v[13:14]
	v_dual_cndmask_b32 v14, v14, v18 :: v_dual_cndmask_b32 v13, v13, v17
	v_and_b32_e32 v3, v14, v3
	s_delay_alu instid0(VALU_DEP_2) | instskip(NEXT) | instid1(VALU_DEP_2)
	v_and_b32_e32 v2, v13, v2
	v_mul_lo_u32 v3, v3, 24
	s_delay_alu instid0(VALU_DEP_2) | instskip(SKIP_1) | instid1(VALU_DEP_2)
	v_mul_hi_u32 v17, v2, 24
	v_mul_lo_u32 v2, v2, 24
	v_add_nc_u32_e32 v3, v17, v3
	s_waitcnt vmcnt(0)
	s_delay_alu instid0(VALU_DEP_2) | instskip(SKIP_1) | instid1(VALU_DEP_3)
	v_add_co_u32 v2, vcc_lo, v15, v2
	v_mov_b32_e32 v15, v8
	v_add_co_ci_u32_e32 v3, vcc_lo, v16, v3, vcc_lo
	v_mov_b32_e32 v16, v9
	global_store_b64 v[2:3], v[8:9], off
	s_waitcnt_vscnt null, 0x0
	global_atomic_cmpswap_b64 v[15:16], v10, v[13:16], s[2:3] offset:24 glc
	s_waitcnt vmcnt(0)
	v_cmp_ne_u64_e32 vcc_lo, v[15:16], v[8:9]
	s_and_b32 exec_lo, exec_lo, vcc_lo
	s_cbranch_execz .LBB1_144
; %bb.218:                              ;   in Loop: Header=BB1_145 Depth=1
	s_mov_b32 s0, 0
.LBB1_219:                              ;   Parent Loop BB1_145 Depth=1
                                        ; =>  This Inner Loop Header: Depth=2
	s_sleep 1
	global_store_b64 v[2:3], v[15:16], off
	s_waitcnt_vscnt null, 0x0
	global_atomic_cmpswap_b64 v[8:9], v10, v[13:16], s[2:3] offset:24 glc
	s_waitcnt vmcnt(0)
	v_cmp_eq_u64_e32 vcc_lo, v[8:9], v[15:16]
	v_dual_mov_b32 v16, v9 :: v_dual_mov_b32 v15, v8
	s_or_b32 s0, vcc_lo, s0
	s_delay_alu instid0(SALU_CYCLE_1)
	s_and_not1_b32 exec_lo, exec_lo, s0
	s_cbranch_execnz .LBB1_219
	s_branch .LBB1_144
.LBB1_220:
                                        ; implicit-def: $vgpr6_vgpr7
	s_cbranch_execnz .LBB1_222
	s_branch .LBB1_249
.LBB1_221:
	s_branch .LBB1_249
.LBB1_222:
	v_readfirstlane_b32 s0, v35
	v_mov_b32_e32 v10, 0
	v_mov_b32_e32 v11, 0
	s_delay_alu instid0(VALU_DEP_3) | instskip(NEXT) | instid1(VALU_DEP_1)
	v_cmp_eq_u32_e64 s0, s0, v35
	s_and_saveexec_b32 s1, s0
	s_cbranch_execz .LBB1_228
; %bb.223:
	s_waitcnt vmcnt(0)
	v_mov_b32_e32 v2, 0
	s_mov_b32 s4, exec_lo
	global_load_b64 v[8:9], v2, s[2:3] offset:24 glc
	s_waitcnt vmcnt(0)
	buffer_gl1_inv
	buffer_gl0_inv
	s_clause 0x1
	global_load_b64 v[6:7], v2, s[2:3] offset:40
	global_load_b64 v[10:11], v2, s[2:3]
	s_waitcnt vmcnt(1)
	v_and_b32_e32 v3, v7, v9
	v_and_b32_e32 v6, v6, v8
	s_delay_alu instid0(VALU_DEP_2) | instskip(NEXT) | instid1(VALU_DEP_2)
	v_mul_lo_u32 v3, v3, 24
	v_mul_hi_u32 v7, v6, 24
	v_mul_lo_u32 v6, v6, 24
	s_delay_alu instid0(VALU_DEP_2) | instskip(SKIP_1) | instid1(VALU_DEP_2)
	v_add_nc_u32_e32 v3, v7, v3
	s_waitcnt vmcnt(0)
	v_add_co_u32 v6, vcc_lo, v10, v6
	s_delay_alu instid0(VALU_DEP_2)
	v_add_co_ci_u32_e32 v7, vcc_lo, v11, v3, vcc_lo
	global_load_b64 v[6:7], v[6:7], off glc
	s_waitcnt vmcnt(0)
	global_atomic_cmpswap_b64 v[10:11], v2, v[6:9], s[2:3] offset:24 glc
	s_waitcnt vmcnt(0)
	buffer_gl1_inv
	buffer_gl0_inv
	v_cmpx_ne_u64_e64 v[10:11], v[8:9]
	s_cbranch_execz .LBB1_227
; %bb.224:
	s_mov_b32 s5, 0
	.p2align	6
.LBB1_225:                              ; =>This Inner Loop Header: Depth=1
	s_sleep 1
	s_clause 0x1
	global_load_b64 v[6:7], v2, s[2:3] offset:40
	global_load_b64 v[12:13], v2, s[2:3]
	v_dual_mov_b32 v8, v10 :: v_dual_mov_b32 v9, v11
	s_waitcnt vmcnt(1)
	s_delay_alu instid0(VALU_DEP_1) | instskip(SKIP_1) | instid1(VALU_DEP_1)
	v_and_b32_e32 v3, v6, v8
	s_waitcnt vmcnt(0)
	v_mad_u64_u32 v[10:11], null, v3, 24, v[12:13]
	v_and_b32_e32 v12, v7, v9
	s_delay_alu instid0(VALU_DEP_2) | instskip(NEXT) | instid1(VALU_DEP_1)
	v_mov_b32_e32 v3, v11
	v_mad_u64_u32 v[6:7], null, v12, 24, v[3:4]
	s_delay_alu instid0(VALU_DEP_1)
	v_mov_b32_e32 v11, v6
	global_load_b64 v[6:7], v[10:11], off glc
	s_waitcnt vmcnt(0)
	global_atomic_cmpswap_b64 v[10:11], v2, v[6:9], s[2:3] offset:24 glc
	s_waitcnt vmcnt(0)
	buffer_gl1_inv
	buffer_gl0_inv
	v_cmp_eq_u64_e32 vcc_lo, v[10:11], v[8:9]
	s_or_b32 s5, vcc_lo, s5
	s_delay_alu instid0(SALU_CYCLE_1)
	s_and_not1_b32 exec_lo, exec_lo, s5
	s_cbranch_execnz .LBB1_225
; %bb.226:
	s_or_b32 exec_lo, exec_lo, s5
.LBB1_227:
	s_delay_alu instid0(SALU_CYCLE_1)
	s_or_b32 exec_lo, exec_lo, s4
.LBB1_228:
	s_delay_alu instid0(SALU_CYCLE_1)
	s_or_b32 exec_lo, exec_lo, s1
	s_waitcnt vmcnt(0)
	v_mov_b32_e32 v2, 0
	v_readfirstlane_b32 s4, v10
	v_readfirstlane_b32 s5, v11
	s_mov_b32 s1, exec_lo
	s_clause 0x1
	global_load_b64 v[12:13], v2, s[2:3] offset:40
	global_load_b128 v[6:9], v2, s[2:3]
	s_waitcnt vmcnt(1)
	v_readfirstlane_b32 s6, v12
	v_readfirstlane_b32 s7, v13
	s_delay_alu instid0(VALU_DEP_1) | instskip(NEXT) | instid1(SALU_CYCLE_1)
	s_and_b64 s[6:7], s[4:5], s[6:7]
	s_mul_i32 s10, s7, 24
	s_mul_hi_u32 s11, s6, 24
	s_mul_i32 s12, s6, 24
	s_add_i32 s11, s11, s10
	s_waitcnt vmcnt(0)
	v_add_co_u32 v10, vcc_lo, v6, s12
	v_add_co_ci_u32_e32 v11, vcc_lo, s11, v7, vcc_lo
	s_and_saveexec_b32 s10, s0
	s_cbranch_execz .LBB1_230
; %bb.229:
	v_dual_mov_b32 v12, s1 :: v_dual_mov_b32 v13, v2
	v_dual_mov_b32 v14, 2 :: v_dual_mov_b32 v15, 1
	global_store_b128 v[10:11], v[12:15], off offset:8
.LBB1_230:
	s_or_b32 exec_lo, exec_lo, s10
	s_lshl_b64 s[6:7], s[6:7], 12
	s_mov_b32 s12, 0
	v_add_co_u32 v8, vcc_lo, v8, s6
	v_add_co_ci_u32_e32 v9, vcc_lo, s7, v9, vcc_lo
	s_mov_b32 s13, s12
	s_delay_alu instid0(VALU_DEP_2)
	v_readfirstlane_b32 s6, v8
	v_add_co_u32 v8, vcc_lo, v8, v34
	s_mov_b32 s14, s12
	s_mov_b32 s15, s12
	v_and_or_b32 v0, 0xffffff1f, v0, 32
	v_dual_mov_b32 v3, v2 :: v_dual_mov_b32 v12, s12
	v_readfirstlane_b32 s7, v9
	v_add_co_ci_u32_e32 v9, vcc_lo, 0, v9, vcc_lo
	v_dual_mov_b32 v13, s13 :: v_dual_mov_b32 v14, s14
	v_mov_b32_e32 v15, s15
	s_clause 0x3
	global_store_b128 v34, v[0:3], s[6:7]
	global_store_b128 v34, v[12:15], s[6:7] offset:16
	global_store_b128 v34, v[12:15], s[6:7] offset:32
	;; [unrolled: 1-line block ×3, first 2 shown]
	s_and_saveexec_b32 s1, s0
	s_cbranch_execz .LBB1_238
; %bb.231:
	v_dual_mov_b32 v12, 0 :: v_dual_mov_b32 v13, s4
	v_mov_b32_e32 v14, s5
	s_clause 0x1
	global_load_b64 v[15:16], v12, s[2:3] offset:32 glc
	global_load_b64 v[0:1], v12, s[2:3] offset:40
	s_waitcnt vmcnt(0)
	v_readfirstlane_b32 s6, v0
	v_readfirstlane_b32 s7, v1
	s_delay_alu instid0(VALU_DEP_1) | instskip(NEXT) | instid1(SALU_CYCLE_1)
	s_and_b64 s[6:7], s[6:7], s[4:5]
	s_mul_i32 s7, s7, 24
	s_mul_hi_u32 s10, s6, 24
	s_mul_i32 s6, s6, 24
	s_add_i32 s10, s10, s7
	v_add_co_u32 v6, vcc_lo, v6, s6
	v_add_co_ci_u32_e32 v7, vcc_lo, s10, v7, vcc_lo
	s_mov_b32 s6, exec_lo
	global_store_b64 v[6:7], v[15:16], off
	s_waitcnt_vscnt null, 0x0
	global_atomic_cmpswap_b64 v[2:3], v12, v[13:16], s[2:3] offset:32 glc
	s_waitcnt vmcnt(0)
	v_cmpx_ne_u64_e64 v[2:3], v[15:16]
	s_cbranch_execz .LBB1_234
; %bb.232:
	s_mov_b32 s7, 0
.LBB1_233:                              ; =>This Inner Loop Header: Depth=1
	v_dual_mov_b32 v0, s4 :: v_dual_mov_b32 v1, s5
	s_sleep 1
	global_store_b64 v[6:7], v[2:3], off
	s_waitcnt_vscnt null, 0x0
	global_atomic_cmpswap_b64 v[0:1], v12, v[0:3], s[2:3] offset:32 glc
	s_waitcnt vmcnt(0)
	v_cmp_eq_u64_e32 vcc_lo, v[0:1], v[2:3]
	v_dual_mov_b32 v3, v1 :: v_dual_mov_b32 v2, v0
	s_or_b32 s7, vcc_lo, s7
	s_delay_alu instid0(SALU_CYCLE_1)
	s_and_not1_b32 exec_lo, exec_lo, s7
	s_cbranch_execnz .LBB1_233
.LBB1_234:
	s_or_b32 exec_lo, exec_lo, s6
	v_mov_b32_e32 v3, 0
	s_mov_b32 s7, exec_lo
	s_mov_b32 s6, exec_lo
	v_mbcnt_lo_u32_b32 v2, s7, 0
	global_load_b64 v[0:1], v3, s[2:3] offset:16
	v_cmpx_eq_u32_e32 0, v2
	s_cbranch_execz .LBB1_236
; %bb.235:
	s_bcnt1_i32_b32 s7, s7
	s_delay_alu instid0(SALU_CYCLE_1)
	v_mov_b32_e32 v2, s7
	s_waitcnt vmcnt(0)
	global_atomic_add_u64 v[0:1], v[2:3], off offset:8
.LBB1_236:
	s_or_b32 exec_lo, exec_lo, s6
	s_waitcnt vmcnt(0)
	global_load_b64 v[2:3], v[0:1], off offset:16
	s_waitcnt vmcnt(0)
	v_cmp_eq_u64_e32 vcc_lo, 0, v[2:3]
	s_cbranch_vccnz .LBB1_238
; %bb.237:
	global_load_b32 v0, v[0:1], off offset:24
	s_waitcnt vmcnt(0)
	v_dual_mov_b32 v1, 0 :: v_dual_and_b32 v6, 0xffffff, v0
	s_waitcnt_vscnt null, 0x0
	global_store_b64 v[2:3], v[0:1], off
	v_readfirstlane_b32 m0, v6
	s_sendmsg sendmsg(MSG_INTERRUPT)
.LBB1_238:
	s_or_b32 exec_lo, exec_lo, s1
	s_branch .LBB1_242
	.p2align	6
.LBB1_239:                              ;   in Loop: Header=BB1_242 Depth=1
	s_or_b32 exec_lo, exec_lo, s1
	s_delay_alu instid0(VALU_DEP_1) | instskip(NEXT) | instid1(VALU_DEP_1)
	v_readfirstlane_b32 s1, v0
	s_cmp_eq_u32 s1, 0
	s_cbranch_scc1 .LBB1_241
; %bb.240:                              ;   in Loop: Header=BB1_242 Depth=1
	s_sleep 1
	s_cbranch_execnz .LBB1_242
	s_branch .LBB1_244
	.p2align	6
.LBB1_241:
	s_branch .LBB1_244
.LBB1_242:                              ; =>This Inner Loop Header: Depth=1
	v_mov_b32_e32 v0, 1
	s_and_saveexec_b32 s1, s0
	s_cbranch_execz .LBB1_239
; %bb.243:                              ;   in Loop: Header=BB1_242 Depth=1
	global_load_b32 v0, v[10:11], off offset:20 glc
	s_waitcnt vmcnt(0)
	buffer_gl1_inv
	buffer_gl0_inv
	v_and_b32_e32 v0, 1, v0
	s_branch .LBB1_239
.LBB1_244:
	global_load_b64 v[6:7], v[8:9], off
	s_and_saveexec_b32 s1, s0
	s_cbranch_execz .LBB1_248
; %bb.245:
	v_mov_b32_e32 v10, 0
	s_clause 0x2
	global_load_b64 v[2:3], v10, s[2:3] offset:40
	global_load_b64 v[11:12], v10, s[2:3] offset:24 glc
	global_load_b64 v[8:9], v10, s[2:3]
	s_waitcnt vmcnt(2)
	v_add_co_u32 v13, vcc_lo, v2, 1
	v_add_co_ci_u32_e32 v14, vcc_lo, 0, v3, vcc_lo
	s_delay_alu instid0(VALU_DEP_2) | instskip(NEXT) | instid1(VALU_DEP_2)
	v_add_co_u32 v0, vcc_lo, v13, s4
	v_add_co_ci_u32_e32 v1, vcc_lo, s5, v14, vcc_lo
	s_delay_alu instid0(VALU_DEP_1) | instskip(SKIP_1) | instid1(VALU_DEP_1)
	v_cmp_eq_u64_e32 vcc_lo, 0, v[0:1]
	v_dual_cndmask_b32 v1, v1, v14 :: v_dual_cndmask_b32 v0, v0, v13
	v_and_b32_e32 v3, v1, v3
	s_delay_alu instid0(VALU_DEP_2) | instskip(NEXT) | instid1(VALU_DEP_2)
	v_and_b32_e32 v2, v0, v2
	v_mul_lo_u32 v3, v3, 24
	s_delay_alu instid0(VALU_DEP_2) | instskip(SKIP_1) | instid1(VALU_DEP_2)
	v_mul_hi_u32 v13, v2, 24
	v_mul_lo_u32 v2, v2, 24
	v_add_nc_u32_e32 v3, v13, v3
	s_waitcnt vmcnt(0)
	s_delay_alu instid0(VALU_DEP_2) | instskip(SKIP_1) | instid1(VALU_DEP_3)
	v_add_co_u32 v8, vcc_lo, v8, v2
	v_mov_b32_e32 v2, v11
	v_add_co_ci_u32_e32 v9, vcc_lo, v9, v3, vcc_lo
	v_mov_b32_e32 v3, v12
	global_store_b64 v[8:9], v[11:12], off
	s_waitcnt_vscnt null, 0x0
	global_atomic_cmpswap_b64 v[2:3], v10, v[0:3], s[2:3] offset:24 glc
	s_waitcnt vmcnt(0)
	v_cmp_ne_u64_e32 vcc_lo, v[2:3], v[11:12]
	s_and_b32 exec_lo, exec_lo, vcc_lo
	s_cbranch_execz .LBB1_248
; %bb.246:
	s_mov_b32 s0, 0
.LBB1_247:                              ; =>This Inner Loop Header: Depth=1
	s_sleep 1
	global_store_b64 v[8:9], v[2:3], off
	s_waitcnt_vscnt null, 0x0
	global_atomic_cmpswap_b64 v[11:12], v10, v[0:3], s[2:3] offset:24 glc
	s_waitcnt vmcnt(0)
	v_cmp_eq_u64_e32 vcc_lo, v[11:12], v[2:3]
	v_dual_mov_b32 v2, v11 :: v_dual_mov_b32 v3, v12
	s_or_b32 s0, vcc_lo, s0
	s_delay_alu instid0(SALU_CYCLE_1)
	s_and_not1_b32 exec_lo, exec_lo, s0
	s_cbranch_execnz .LBB1_247
.LBB1_248:
	s_or_b32 exec_lo, exec_lo, s1
.LBB1_249:
	v_readfirstlane_b32 s0, v35
	v_mov_b32_e32 v10, 0
	v_mov_b32_e32 v11, 0
	s_delay_alu instid0(VALU_DEP_3) | instskip(NEXT) | instid1(VALU_DEP_1)
	v_cmp_eq_u32_e64 s0, s0, v35
	s_and_saveexec_b32 s1, s0
	s_cbranch_execz .LBB1_255
; %bb.250:
	s_waitcnt vmcnt(0)
	v_mov_b32_e32 v0, 0
	s_mov_b32 s4, exec_lo
	global_load_b64 v[12:13], v0, s[2:3] offset:24 glc
	s_waitcnt vmcnt(0)
	buffer_gl1_inv
	buffer_gl0_inv
	s_clause 0x1
	global_load_b64 v[1:2], v0, s[2:3] offset:40
	global_load_b64 v[8:9], v0, s[2:3]
	s_waitcnt vmcnt(1)
	v_and_b32_e32 v1, v1, v12
	v_and_b32_e32 v2, v2, v13
	s_delay_alu instid0(VALU_DEP_2) | instskip(NEXT) | instid1(VALU_DEP_2)
	v_mul_hi_u32 v3, v1, 24
	v_mul_lo_u32 v2, v2, 24
	v_mul_lo_u32 v1, v1, 24
	s_delay_alu instid0(VALU_DEP_2) | instskip(SKIP_1) | instid1(VALU_DEP_2)
	v_add_nc_u32_e32 v2, v3, v2
	s_waitcnt vmcnt(0)
	v_add_co_u32 v1, vcc_lo, v8, v1
	s_delay_alu instid0(VALU_DEP_2)
	v_add_co_ci_u32_e32 v2, vcc_lo, v9, v2, vcc_lo
	global_load_b64 v[10:11], v[1:2], off glc
	s_waitcnt vmcnt(0)
	global_atomic_cmpswap_b64 v[10:11], v0, v[10:13], s[2:3] offset:24 glc
	s_waitcnt vmcnt(0)
	buffer_gl1_inv
	buffer_gl0_inv
	v_cmpx_ne_u64_e64 v[10:11], v[12:13]
	s_cbranch_execz .LBB1_254
; %bb.251:
	s_mov_b32 s5, 0
	.p2align	6
.LBB1_252:                              ; =>This Inner Loop Header: Depth=1
	s_sleep 1
	s_clause 0x1
	global_load_b64 v[1:2], v0, s[2:3] offset:40
	global_load_b64 v[8:9], v0, s[2:3]
	v_dual_mov_b32 v13, v11 :: v_dual_mov_b32 v12, v10
	s_waitcnt vmcnt(1)
	s_delay_alu instid0(VALU_DEP_1) | instskip(SKIP_1) | instid1(VALU_DEP_1)
	v_and_b32_e32 v1, v1, v12
	s_waitcnt vmcnt(0)
	v_mad_u64_u32 v[10:11], null, v1, 24, v[8:9]
	s_delay_alu instid0(VALU_DEP_1) | instskip(NEXT) | instid1(VALU_DEP_1)
	v_dual_mov_b32 v1, v11 :: v_dual_and_b32 v8, v2, v13
	v_mad_u64_u32 v[2:3], null, v8, 24, v[1:2]
	s_delay_alu instid0(VALU_DEP_1)
	v_mov_b32_e32 v11, v2
	global_load_b64 v[10:11], v[10:11], off glc
	s_waitcnt vmcnt(0)
	global_atomic_cmpswap_b64 v[10:11], v0, v[10:13], s[2:3] offset:24 glc
	s_waitcnt vmcnt(0)
	buffer_gl1_inv
	buffer_gl0_inv
	v_cmp_eq_u64_e32 vcc_lo, v[10:11], v[12:13]
	s_or_b32 s5, vcc_lo, s5
	s_delay_alu instid0(SALU_CYCLE_1)
	s_and_not1_b32 exec_lo, exec_lo, s5
	s_cbranch_execnz .LBB1_252
; %bb.253:
	s_or_b32 exec_lo, exec_lo, s5
.LBB1_254:
	s_delay_alu instid0(SALU_CYCLE_1)
	s_or_b32 exec_lo, exec_lo, s4
.LBB1_255:
	s_delay_alu instid0(SALU_CYCLE_1)
	s_or_b32 exec_lo, exec_lo, s1
	s_waitcnt vmcnt(0)
	v_mov_b32_e32 v9, 0
	v_readfirstlane_b32 s4, v10
	v_readfirstlane_b32 s5, v11
	s_mov_b32 s1, exec_lo
	s_clause 0x1
	global_load_b64 v[12:13], v9, s[2:3] offset:40
	global_load_b128 v[0:3], v9, s[2:3]
	s_waitcnt vmcnt(1)
	v_readfirstlane_b32 s6, v12
	v_readfirstlane_b32 s7, v13
	s_delay_alu instid0(VALU_DEP_1) | instskip(NEXT) | instid1(SALU_CYCLE_1)
	s_and_b64 s[6:7], s[4:5], s[6:7]
	s_mul_i32 s10, s7, 24
	s_mul_hi_u32 s11, s6, 24
	s_mul_i32 s12, s6, 24
	s_add_i32 s11, s11, s10
	s_waitcnt vmcnt(0)
	v_add_co_u32 v10, vcc_lo, v0, s12
	v_add_co_ci_u32_e32 v11, vcc_lo, s11, v1, vcc_lo
	s_and_saveexec_b32 s10, s0
	s_cbranch_execz .LBB1_257
; %bb.256:
	v_dual_mov_b32 v8, s1 :: v_dual_mov_b32 v15, 1
	v_dual_mov_b32 v14, 2 :: v_dual_mov_b32 v13, v9
	s_delay_alu instid0(VALU_DEP_2)
	v_mov_b32_e32 v12, v8
	global_store_b128 v[10:11], v[12:15], off offset:8
.LBB1_257:
	s_or_b32 exec_lo, exec_lo, s10
	s_lshl_b64 s[6:7], s[6:7], 12
	s_mov_b32 s12, 0
	v_add_co_u32 v2, vcc_lo, v2, s6
	v_add_co_ci_u32_e32 v3, vcc_lo, s7, v3, vcc_lo
	s_mov_b32 s15, s12
	s_delay_alu instid0(VALU_DEP_2)
	v_add_co_u32 v12, vcc_lo, v2, v34
	s_mov_b32 s13, s12
	s_mov_b32 s14, s12
	v_and_or_b32 v6, 0xffffff1f, v6, 32
	v_dual_mov_b32 v8, 0x331 :: v_dual_mov_b32 v17, s15
	v_readfirstlane_b32 s6, v2
	v_readfirstlane_b32 s7, v3
	v_add_co_ci_u32_e32 v13, vcc_lo, 0, v3, vcc_lo
	v_dual_mov_b32 v16, s14 :: v_dual_mov_b32 v15, s13
	v_mov_b32_e32 v14, s12
	s_clause 0x3
	global_store_b128 v34, v[6:9], s[6:7]
	global_store_b128 v34, v[14:17], s[6:7] offset:16
	global_store_b128 v34, v[14:17], s[6:7] offset:32
	;; [unrolled: 1-line block ×3, first 2 shown]
	s_and_saveexec_b32 s1, s0
	s_cbranch_execz .LBB1_265
; %bb.258:
	v_dual_mov_b32 v8, 0 :: v_dual_mov_b32 v15, s5
	v_mov_b32_e32 v14, s4
	s_clause 0x1
	global_load_b64 v[16:17], v8, s[2:3] offset:32 glc
	global_load_b64 v[2:3], v8, s[2:3] offset:40
	s_waitcnt vmcnt(0)
	v_readfirstlane_b32 s6, v2
	v_readfirstlane_b32 s7, v3
	s_delay_alu instid0(VALU_DEP_1) | instskip(NEXT) | instid1(SALU_CYCLE_1)
	s_and_b64 s[6:7], s[6:7], s[4:5]
	s_mul_i32 s7, s7, 24
	s_mul_hi_u32 s10, s6, 24
	s_mul_i32 s6, s6, 24
	s_add_i32 s10, s10, s7
	v_add_co_u32 v6, vcc_lo, v0, s6
	v_add_co_ci_u32_e32 v7, vcc_lo, s10, v1, vcc_lo
	s_mov_b32 s6, exec_lo
	global_store_b64 v[6:7], v[16:17], off
	s_waitcnt_vscnt null, 0x0
	global_atomic_cmpswap_b64 v[2:3], v8, v[14:17], s[2:3] offset:32 glc
	s_waitcnt vmcnt(0)
	v_cmpx_ne_u64_e64 v[2:3], v[16:17]
	s_cbranch_execz .LBB1_261
; %bb.259:
	s_mov_b32 s7, 0
.LBB1_260:                              ; =>This Inner Loop Header: Depth=1
	v_dual_mov_b32 v0, s4 :: v_dual_mov_b32 v1, s5
	s_sleep 1
	global_store_b64 v[6:7], v[2:3], off
	s_waitcnt_vscnt null, 0x0
	global_atomic_cmpswap_b64 v[0:1], v8, v[0:3], s[2:3] offset:32 glc
	s_waitcnt vmcnt(0)
	v_cmp_eq_u64_e32 vcc_lo, v[0:1], v[2:3]
	v_dual_mov_b32 v3, v1 :: v_dual_mov_b32 v2, v0
	s_or_b32 s7, vcc_lo, s7
	s_delay_alu instid0(SALU_CYCLE_1)
	s_and_not1_b32 exec_lo, exec_lo, s7
	s_cbranch_execnz .LBB1_260
.LBB1_261:
	s_or_b32 exec_lo, exec_lo, s6
	v_mov_b32_e32 v3, 0
	s_mov_b32 s7, exec_lo
	s_mov_b32 s6, exec_lo
	v_mbcnt_lo_u32_b32 v2, s7, 0
	global_load_b64 v[0:1], v3, s[2:3] offset:16
	v_cmpx_eq_u32_e32 0, v2
	s_cbranch_execz .LBB1_263
; %bb.262:
	s_bcnt1_i32_b32 s7, s7
	s_delay_alu instid0(SALU_CYCLE_1)
	v_mov_b32_e32 v2, s7
	s_waitcnt vmcnt(0)
	global_atomic_add_u64 v[0:1], v[2:3], off offset:8
.LBB1_263:
	s_or_b32 exec_lo, exec_lo, s6
	s_waitcnt vmcnt(0)
	global_load_b64 v[2:3], v[0:1], off offset:16
	s_waitcnt vmcnt(0)
	v_cmp_eq_u64_e32 vcc_lo, 0, v[2:3]
	s_cbranch_vccnz .LBB1_265
; %bb.264:
	global_load_b32 v0, v[0:1], off offset:24
	s_waitcnt vmcnt(0)
	v_dual_mov_b32 v1, 0 :: v_dual_and_b32 v6, 0xffffff, v0
	s_waitcnt_vscnt null, 0x0
	global_store_b64 v[2:3], v[0:1], off
	v_readfirstlane_b32 m0, v6
	s_sendmsg sendmsg(MSG_INTERRUPT)
.LBB1_265:
	s_or_b32 exec_lo, exec_lo, s1
	s_branch .LBB1_269
	.p2align	6
.LBB1_266:                              ;   in Loop: Header=BB1_269 Depth=1
	s_or_b32 exec_lo, exec_lo, s1
	s_delay_alu instid0(VALU_DEP_1) | instskip(NEXT) | instid1(VALU_DEP_1)
	v_readfirstlane_b32 s1, v0
	s_cmp_eq_u32 s1, 0
	s_cbranch_scc1 .LBB1_268
; %bb.267:                              ;   in Loop: Header=BB1_269 Depth=1
	s_sleep 1
	s_cbranch_execnz .LBB1_269
	s_branch .LBB1_271
	.p2align	6
.LBB1_268:
	s_branch .LBB1_271
.LBB1_269:                              ; =>This Inner Loop Header: Depth=1
	v_mov_b32_e32 v0, 1
	s_and_saveexec_b32 s1, s0
	s_cbranch_execz .LBB1_266
; %bb.270:                              ;   in Loop: Header=BB1_269 Depth=1
	global_load_b32 v0, v[10:11], off offset:20 glc
	s_waitcnt vmcnt(0)
	buffer_gl1_inv
	buffer_gl0_inv
	v_and_b32_e32 v0, 1, v0
	s_branch .LBB1_266
.LBB1_271:
	global_load_b64 v[0:1], v[12:13], off
	s_and_saveexec_b32 s1, s0
	s_cbranch_execz .LBB1_275
; %bb.272:
	v_mov_b32_e32 v10, 0
	s_clause 0x2
	global_load_b64 v[2:3], v10, s[2:3] offset:40
	global_load_b64 v[11:12], v10, s[2:3] offset:24 glc
	global_load_b64 v[8:9], v10, s[2:3]
	s_waitcnt vmcnt(2)
	v_add_co_u32 v13, vcc_lo, v2, 1
	v_add_co_ci_u32_e32 v14, vcc_lo, 0, v3, vcc_lo
	s_delay_alu instid0(VALU_DEP_2) | instskip(NEXT) | instid1(VALU_DEP_2)
	v_add_co_u32 v6, vcc_lo, v13, s4
	v_add_co_ci_u32_e32 v7, vcc_lo, s5, v14, vcc_lo
	s_delay_alu instid0(VALU_DEP_1) | instskip(SKIP_1) | instid1(VALU_DEP_1)
	v_cmp_eq_u64_e32 vcc_lo, 0, v[6:7]
	v_dual_cndmask_b32 v7, v7, v14 :: v_dual_cndmask_b32 v6, v6, v13
	v_and_b32_e32 v3, v7, v3
	s_delay_alu instid0(VALU_DEP_2) | instskip(NEXT) | instid1(VALU_DEP_2)
	v_and_b32_e32 v2, v6, v2
	v_mul_lo_u32 v3, v3, 24
	s_delay_alu instid0(VALU_DEP_2) | instskip(SKIP_1) | instid1(VALU_DEP_2)
	v_mul_hi_u32 v13, v2, 24
	v_mul_lo_u32 v2, v2, 24
	v_add_nc_u32_e32 v3, v13, v3
	s_waitcnt vmcnt(0)
	s_delay_alu instid0(VALU_DEP_2) | instskip(SKIP_1) | instid1(VALU_DEP_3)
	v_add_co_u32 v2, vcc_lo, v8, v2
	v_mov_b32_e32 v8, v11
	v_add_co_ci_u32_e32 v3, vcc_lo, v9, v3, vcc_lo
	v_mov_b32_e32 v9, v12
	global_store_b64 v[2:3], v[11:12], off
	s_waitcnt_vscnt null, 0x0
	global_atomic_cmpswap_b64 v[8:9], v10, v[6:9], s[2:3] offset:24 glc
	s_waitcnt vmcnt(0)
	v_cmp_ne_u64_e32 vcc_lo, v[8:9], v[11:12]
	s_and_b32 exec_lo, exec_lo, vcc_lo
	s_cbranch_execz .LBB1_275
; %bb.273:
	s_mov_b32 s0, 0
.LBB1_274:                              ; =>This Inner Loop Header: Depth=1
	s_sleep 1
	global_store_b64 v[2:3], v[8:9], off
	s_waitcnt_vscnt null, 0x0
	global_atomic_cmpswap_b64 v[11:12], v10, v[6:9], s[2:3] offset:24 glc
	s_waitcnt vmcnt(0)
	v_cmp_eq_u64_e32 vcc_lo, v[11:12], v[8:9]
	v_dual_mov_b32 v8, v11 :: v_dual_mov_b32 v9, v12
	s_or_b32 s0, vcc_lo, s0
	s_delay_alu instid0(SALU_CYCLE_1)
	s_and_not1_b32 exec_lo, exec_lo, s0
	s_cbranch_execnz .LBB1_274
.LBB1_275:
	s_or_b32 exec_lo, exec_lo, s1
	v_dual_mov_b32 v7, v5 :: v_dual_mov_b32 v6, v4
	s_mov_b32 s0, 0
.LBB1_276:                              ; =>This Inner Loop Header: Depth=1
	flat_load_u8 v8, v[6:7]
	v_add_co_u32 v2, vcc_lo, v6, 1
	v_add_co_ci_u32_e32 v3, vcc_lo, 0, v7, vcc_lo
	s_delay_alu instid0(VALU_DEP_1) | instskip(SKIP_3) | instid1(SALU_CYCLE_1)
	v_dual_mov_b32 v7, v3 :: v_dual_mov_b32 v6, v2
	s_waitcnt vmcnt(0) lgkmcnt(0)
	v_cmp_eq_u16_e32 vcc_lo, 0, v8
	s_or_b32 s0, vcc_lo, s0
	s_and_not1_b32 exec_lo, exec_lo, s0
	s_cbranch_execnz .LBB1_276
; %bb.277:
	s_or_b32 exec_lo, exec_lo, s0
	s_delay_alu instid0(SALU_CYCLE_1)
	s_mov_b32 s0, exec_lo
	v_cmpx_ne_u64_e32 0, v[4:5]
	s_xor_b32 s10, exec_lo, s0
	s_cbranch_execz .LBB1_363
; %bb.278:
	v_sub_nc_u32_e32 v26, v2, v4
	v_dual_mov_b32 v7, 0 :: v_dual_and_b32 v32, 2, v0
	v_dual_mov_b32 v9, 1 :: v_dual_and_b32 v0, -3, v0
	v_mov_b32_e32 v8, 2
	s_delay_alu instid0(VALU_DEP_4)
	v_ashrrev_i32_e32 v27, 31, v26
	s_mov_b32 s12, 0
	s_mov_b32 s11, 0
	s_branch .LBB1_280
.LBB1_279:                              ;   in Loop: Header=BB1_280 Depth=1
	s_or_b32 exec_lo, exec_lo, s1
	v_sub_co_u32 v26, vcc_lo, v26, v28
	v_sub_co_ci_u32_e32 v27, vcc_lo, v27, v29, vcc_lo
	v_add_co_u32 v4, s0, v4, v28
	s_delay_alu instid0(VALU_DEP_1) | instskip(NEXT) | instid1(VALU_DEP_3)
	v_add_co_ci_u32_e64 v5, s0, v5, v29, s0
	v_cmp_eq_u64_e32 vcc_lo, 0, v[26:27]
	s_or_b32 s11, vcc_lo, s11
	s_delay_alu instid0(SALU_CYCLE_1)
	s_and_not1_b32 exec_lo, exec_lo, s11
	s_cbranch_execz .LBB1_362
.LBB1_280:                              ; =>This Loop Header: Depth=1
                                        ;     Child Loop BB1_283 Depth 2
                                        ;     Child Loop BB1_291 Depth 2
	;; [unrolled: 1-line block ×11, first 2 shown]
	s_delay_alu instid0(VALU_DEP_1)
	v_cmp_gt_u64_e32 vcc_lo, 56, v[26:27]
	s_mov_b32 s1, exec_lo
                                        ; implicit-def: $vgpr2_vgpr3
                                        ; implicit-def: $sgpr4
	v_dual_cndmask_b32 v29, 0, v27 :: v_dual_cndmask_b32 v28, 56, v26
	v_cmpx_gt_u64_e32 8, v[26:27]
	s_xor_b32 s1, exec_lo, s1
	s_cbranch_execz .LBB1_286
; %bb.281:                              ;   in Loop: Header=BB1_280 Depth=1
	s_waitcnt vmcnt(0)
	v_mov_b32_e32 v2, 0
	v_mov_b32_e32 v3, 0
	s_mov_b64 s[4:5], 0
	s_mov_b32 s6, exec_lo
	v_cmpx_ne_u64_e32 0, v[26:27]
	s_cbranch_execz .LBB1_285
; %bb.282:                              ;   in Loop: Header=BB1_280 Depth=1
	v_lshlrev_b64 v[10:11], 3, v[28:29]
	v_mov_b32_e32 v2, 0
	v_dual_mov_b32 v3, 0 :: v_dual_mov_b32 v12, v5
	v_mov_b32_e32 v11, v4
	s_mov_b32 s7, 0
	.p2align	6
.LBB1_283:                              ;   Parent Loop BB1_280 Depth=1
                                        ; =>  This Inner Loop Header: Depth=2
	flat_load_u8 v6, v[11:12]
	v_mov_b32_e32 v14, s12
	v_add_co_u32 v11, vcc_lo, v11, 1
	v_add_co_ci_u32_e32 v12, vcc_lo, 0, v12, vcc_lo
	s_waitcnt vmcnt(0) lgkmcnt(0)
	v_and_b32_e32 v13, 0xffff, v6
	s_delay_alu instid0(VALU_DEP_1) | instskip(SKIP_3) | instid1(VALU_DEP_2)
	v_lshlrev_b64 v[13:14], s4, v[13:14]
	s_add_u32 s4, s4, 8
	s_addc_u32 s5, s5, 0
	v_cmp_eq_u32_e64 s0, s4, v10
	v_or_b32_e32 v3, v14, v3
	s_delay_alu instid0(VALU_DEP_3) | instskip(NEXT) | instid1(VALU_DEP_3)
	v_or_b32_e32 v2, v13, v2
	s_or_b32 s7, s0, s7
	s_delay_alu instid0(SALU_CYCLE_1)
	s_and_not1_b32 exec_lo, exec_lo, s7
	s_cbranch_execnz .LBB1_283
; %bb.284:                              ;   in Loop: Header=BB1_280 Depth=1
	s_or_b32 exec_lo, exec_lo, s7
.LBB1_285:                              ;   in Loop: Header=BB1_280 Depth=1
	s_delay_alu instid0(SALU_CYCLE_1)
	s_or_b32 exec_lo, exec_lo, s6
	s_mov_b32 s4, 0
.LBB1_286:                              ;   in Loop: Header=BB1_280 Depth=1
	s_or_saveexec_b32 s0, s1
	v_dual_mov_b32 v6, s4 :: v_dual_mov_b32 v23, v5
	v_mov_b32_e32 v22, v4
	s_xor_b32 exec_lo, exec_lo, s0
	s_cbranch_execz .LBB1_288
; %bb.287:                              ;   in Loop: Header=BB1_280 Depth=1
	s_waitcnt vmcnt(0)
	flat_load_b64 v[2:3], v[4:5]
	v_add_co_u32 v22, vcc_lo, v4, 8
	v_add_co_ci_u32_e32 v23, vcc_lo, 0, v5, vcc_lo
	s_waitcnt vmcnt(0) lgkmcnt(0)
	v_and_b32_e32 v6, 0xff, v3
	v_and_b32_e32 v10, 0xff00, v3
	;; [unrolled: 1-line block ×4, first 2 shown]
	v_or3_b32 v2, v2, 0, 0
	s_delay_alu instid0(VALU_DEP_4) | instskip(SKIP_1) | instid1(VALU_DEP_2)
	v_or_b32_e32 v10, v6, v10
	v_add_nc_u32_e32 v6, -8, v28
	v_or3_b32 v3, v10, v11, v3
.LBB1_288:                              ;   in Loop: Header=BB1_280 Depth=1
	s_or_b32 exec_lo, exec_lo, s0
                                        ; implicit-def: $vgpr10_vgpr11
                                        ; implicit-def: $sgpr1
	s_delay_alu instid0(SALU_CYCLE_1) | instskip(NEXT) | instid1(VALU_DEP_2)
	s_mov_b32 s0, exec_lo
	v_cmpx_gt_u32_e32 8, v6
	s_xor_b32 s6, exec_lo, s0
	s_cbranch_execz .LBB1_294
; %bb.289:                              ;   in Loop: Header=BB1_280 Depth=1
	v_mov_b32_e32 v10, 0
	v_mov_b32_e32 v11, 0
	s_mov_b32 s7, exec_lo
	v_cmpx_ne_u32_e32 0, v6
	s_cbranch_execz .LBB1_293
; %bb.290:                              ;   in Loop: Header=BB1_280 Depth=1
	v_mov_b32_e32 v10, 0
	v_mov_b32_e32 v11, 0
	s_mov_b64 s[0:1], 0
	s_mov_b32 s13, 0
	s_mov_b64 s[4:5], 0
	.p2align	6
.LBB1_291:                              ;   Parent Loop BB1_280 Depth=1
                                        ; =>  This Inner Loop Header: Depth=2
	s_delay_alu instid0(SALU_CYCLE_1)
	v_add_co_u32 v12, vcc_lo, v22, s4
	v_add_co_ci_u32_e32 v13, vcc_lo, s5, v23, vcc_lo
	s_add_u32 s4, s4, 1
	s_addc_u32 s5, s5, 0
	v_cmp_eq_u32_e32 vcc_lo, s4, v6
	flat_load_u8 v12, v[12:13]
	s_waitcnt vmcnt(0) lgkmcnt(0)
	v_dual_mov_b32 v13, s12 :: v_dual_and_b32 v12, 0xffff, v12
	s_delay_alu instid0(VALU_DEP_1) | instskip(SKIP_3) | instid1(VALU_DEP_1)
	v_lshlrev_b64 v[12:13], s0, v[12:13]
	s_add_u32 s0, s0, 8
	s_addc_u32 s1, s1, 0
	s_or_b32 s13, vcc_lo, s13
	v_or_b32_e32 v11, v13, v11
	s_delay_alu instid0(VALU_DEP_2)
	v_or_b32_e32 v10, v12, v10
	s_and_not1_b32 exec_lo, exec_lo, s13
	s_cbranch_execnz .LBB1_291
; %bb.292:                              ;   in Loop: Header=BB1_280 Depth=1
	s_or_b32 exec_lo, exec_lo, s13
.LBB1_293:                              ;   in Loop: Header=BB1_280 Depth=1
	s_delay_alu instid0(SALU_CYCLE_1)
	s_or_b32 exec_lo, exec_lo, s7
	s_mov_b32 s1, 0
                                        ; implicit-def: $vgpr6
.LBB1_294:                              ;   in Loop: Header=BB1_280 Depth=1
	s_or_saveexec_b32 s0, s6
	v_mov_b32_e32 v14, s1
	s_xor_b32 exec_lo, exec_lo, s0
	s_cbranch_execz .LBB1_296
; %bb.295:                              ;   in Loop: Header=BB1_280 Depth=1
	flat_load_b64 v[10:11], v[22:23]
	v_add_co_u32 v22, vcc_lo, v22, 8
	v_add_nc_u32_e32 v14, -8, v6
	v_add_co_ci_u32_e32 v23, vcc_lo, 0, v23, vcc_lo
	s_waitcnt vmcnt(0) lgkmcnt(0)
	v_and_b32_e32 v12, 0xff, v11
	v_and_b32_e32 v13, 0xff00, v11
	;; [unrolled: 1-line block ×4, first 2 shown]
	v_or3_b32 v10, v10, 0, 0
	s_delay_alu instid0(VALU_DEP_4) | instskip(NEXT) | instid1(VALU_DEP_1)
	v_or_b32_e32 v12, v12, v13
	v_or3_b32 v11, v12, v15, v11
.LBB1_296:                              ;   in Loop: Header=BB1_280 Depth=1
	s_or_b32 exec_lo, exec_lo, s0
                                        ; implicit-def: $sgpr1
	s_delay_alu instid0(SALU_CYCLE_1)
	s_mov_b32 s0, exec_lo
	v_cmpx_gt_u32_e32 8, v14
	s_xor_b32 s6, exec_lo, s0
	s_cbranch_execz .LBB1_302
; %bb.297:                              ;   in Loop: Header=BB1_280 Depth=1
	v_mov_b32_e32 v12, 0
	v_mov_b32_e32 v13, 0
	s_mov_b32 s7, exec_lo
	v_cmpx_ne_u32_e32 0, v14
	s_cbranch_execz .LBB1_301
; %bb.298:                              ;   in Loop: Header=BB1_280 Depth=1
	v_mov_b32_e32 v12, 0
	v_mov_b32_e32 v13, 0
	s_mov_b64 s[0:1], 0
	s_mov_b32 s13, 0
	s_mov_b64 s[4:5], 0
	.p2align	6
.LBB1_299:                              ;   Parent Loop BB1_280 Depth=1
                                        ; =>  This Inner Loop Header: Depth=2
	s_delay_alu instid0(SALU_CYCLE_1)
	v_add_co_u32 v15, vcc_lo, v22, s4
	v_add_co_ci_u32_e32 v16, vcc_lo, s5, v23, vcc_lo
	s_add_u32 s4, s4, 1
	s_addc_u32 s5, s5, 0
	v_cmp_eq_u32_e32 vcc_lo, s4, v14
	flat_load_u8 v6, v[15:16]
	s_waitcnt vmcnt(0) lgkmcnt(0)
	v_dual_mov_b32 v16, s12 :: v_dual_and_b32 v15, 0xffff, v6
	s_delay_alu instid0(VALU_DEP_1) | instskip(SKIP_3) | instid1(VALU_DEP_1)
	v_lshlrev_b64 v[15:16], s0, v[15:16]
	s_add_u32 s0, s0, 8
	s_addc_u32 s1, s1, 0
	s_or_b32 s13, vcc_lo, s13
	v_or_b32_e32 v13, v16, v13
	s_delay_alu instid0(VALU_DEP_2)
	v_or_b32_e32 v12, v15, v12
	s_and_not1_b32 exec_lo, exec_lo, s13
	s_cbranch_execnz .LBB1_299
; %bb.300:                              ;   in Loop: Header=BB1_280 Depth=1
	s_or_b32 exec_lo, exec_lo, s13
.LBB1_301:                              ;   in Loop: Header=BB1_280 Depth=1
	s_delay_alu instid0(SALU_CYCLE_1)
	s_or_b32 exec_lo, exec_lo, s7
	s_mov_b32 s1, 0
                                        ; implicit-def: $vgpr14
.LBB1_302:                              ;   in Loop: Header=BB1_280 Depth=1
	s_or_saveexec_b32 s0, s6
	v_mov_b32_e32 v6, s1
	s_xor_b32 exec_lo, exec_lo, s0
	s_cbranch_execz .LBB1_304
; %bb.303:                              ;   in Loop: Header=BB1_280 Depth=1
	flat_load_b64 v[12:13], v[22:23]
	v_add_co_u32 v22, vcc_lo, v22, 8
	v_add_co_ci_u32_e32 v23, vcc_lo, 0, v23, vcc_lo
	s_waitcnt vmcnt(0) lgkmcnt(0)
	v_and_b32_e32 v6, 0xff, v13
	v_and_b32_e32 v15, 0xff00, v13
	;; [unrolled: 1-line block ×4, first 2 shown]
	v_or3_b32 v12, v12, 0, 0
	s_delay_alu instid0(VALU_DEP_4) | instskip(SKIP_1) | instid1(VALU_DEP_2)
	v_or_b32_e32 v15, v6, v15
	v_add_nc_u32_e32 v6, -8, v14
	v_or3_b32 v13, v15, v16, v13
.LBB1_304:                              ;   in Loop: Header=BB1_280 Depth=1
	s_or_b32 exec_lo, exec_lo, s0
                                        ; implicit-def: $vgpr14_vgpr15
                                        ; implicit-def: $sgpr1
	s_delay_alu instid0(SALU_CYCLE_1) | instskip(NEXT) | instid1(VALU_DEP_1)
	s_mov_b32 s0, exec_lo
	v_cmpx_gt_u32_e32 8, v6
	s_xor_b32 s6, exec_lo, s0
	s_cbranch_execz .LBB1_310
; %bb.305:                              ;   in Loop: Header=BB1_280 Depth=1
	v_mov_b32_e32 v14, 0
	v_mov_b32_e32 v15, 0
	s_mov_b32 s7, exec_lo
	v_cmpx_ne_u32_e32 0, v6
	s_cbranch_execz .LBB1_309
; %bb.306:                              ;   in Loop: Header=BB1_280 Depth=1
	v_mov_b32_e32 v14, 0
	v_mov_b32_e32 v15, 0
	s_mov_b64 s[0:1], 0
	s_mov_b32 s13, 0
	s_mov_b64 s[4:5], 0
	.p2align	6
.LBB1_307:                              ;   Parent Loop BB1_280 Depth=1
                                        ; =>  This Inner Loop Header: Depth=2
	s_delay_alu instid0(SALU_CYCLE_1)
	v_add_co_u32 v16, vcc_lo, v22, s4
	v_add_co_ci_u32_e32 v17, vcc_lo, s5, v23, vcc_lo
	s_add_u32 s4, s4, 1
	s_addc_u32 s5, s5, 0
	v_cmp_eq_u32_e32 vcc_lo, s4, v6
	flat_load_u8 v16, v[16:17]
	s_waitcnt vmcnt(0) lgkmcnt(0)
	v_dual_mov_b32 v17, s12 :: v_dual_and_b32 v16, 0xffff, v16
	s_delay_alu instid0(VALU_DEP_1) | instskip(SKIP_3) | instid1(VALU_DEP_1)
	v_lshlrev_b64 v[16:17], s0, v[16:17]
	s_add_u32 s0, s0, 8
	s_addc_u32 s1, s1, 0
	s_or_b32 s13, vcc_lo, s13
	v_or_b32_e32 v15, v17, v15
	s_delay_alu instid0(VALU_DEP_2)
	v_or_b32_e32 v14, v16, v14
	s_and_not1_b32 exec_lo, exec_lo, s13
	s_cbranch_execnz .LBB1_307
; %bb.308:                              ;   in Loop: Header=BB1_280 Depth=1
	s_or_b32 exec_lo, exec_lo, s13
.LBB1_309:                              ;   in Loop: Header=BB1_280 Depth=1
	s_delay_alu instid0(SALU_CYCLE_1)
	s_or_b32 exec_lo, exec_lo, s7
	s_mov_b32 s1, 0
                                        ; implicit-def: $vgpr6
.LBB1_310:                              ;   in Loop: Header=BB1_280 Depth=1
	s_or_saveexec_b32 s0, s6
	v_mov_b32_e32 v18, s1
	s_xor_b32 exec_lo, exec_lo, s0
	s_cbranch_execz .LBB1_312
; %bb.311:                              ;   in Loop: Header=BB1_280 Depth=1
	flat_load_b64 v[14:15], v[22:23]
	v_add_co_u32 v22, vcc_lo, v22, 8
	v_add_nc_u32_e32 v18, -8, v6
	v_add_co_ci_u32_e32 v23, vcc_lo, 0, v23, vcc_lo
	s_waitcnt vmcnt(0) lgkmcnt(0)
	v_and_b32_e32 v16, 0xff, v15
	v_and_b32_e32 v17, 0xff00, v15
	;; [unrolled: 1-line block ×4, first 2 shown]
	v_or3_b32 v14, v14, 0, 0
	s_delay_alu instid0(VALU_DEP_4) | instskip(NEXT) | instid1(VALU_DEP_1)
	v_or_b32_e32 v16, v16, v17
	v_or3_b32 v15, v16, v19, v15
.LBB1_312:                              ;   in Loop: Header=BB1_280 Depth=1
	s_or_b32 exec_lo, exec_lo, s0
                                        ; implicit-def: $sgpr1
	s_delay_alu instid0(SALU_CYCLE_1)
	s_mov_b32 s0, exec_lo
	v_cmpx_gt_u32_e32 8, v18
	s_xor_b32 s6, exec_lo, s0
	s_cbranch_execz .LBB1_318
; %bb.313:                              ;   in Loop: Header=BB1_280 Depth=1
	v_mov_b32_e32 v16, 0
	v_mov_b32_e32 v17, 0
	s_mov_b32 s7, exec_lo
	v_cmpx_ne_u32_e32 0, v18
	s_cbranch_execz .LBB1_317
; %bb.314:                              ;   in Loop: Header=BB1_280 Depth=1
	v_mov_b32_e32 v16, 0
	v_mov_b32_e32 v17, 0
	s_mov_b64 s[0:1], 0
	s_mov_b32 s13, 0
	s_mov_b64 s[4:5], 0
	.p2align	6
.LBB1_315:                              ;   Parent Loop BB1_280 Depth=1
                                        ; =>  This Inner Loop Header: Depth=2
	s_delay_alu instid0(SALU_CYCLE_1)
	v_add_co_u32 v19, vcc_lo, v22, s4
	v_add_co_ci_u32_e32 v20, vcc_lo, s5, v23, vcc_lo
	s_add_u32 s4, s4, 1
	s_addc_u32 s5, s5, 0
	v_cmp_eq_u32_e32 vcc_lo, s4, v18
	flat_load_u8 v6, v[19:20]
	s_waitcnt vmcnt(0) lgkmcnt(0)
	v_dual_mov_b32 v20, s12 :: v_dual_and_b32 v19, 0xffff, v6
	s_delay_alu instid0(VALU_DEP_1) | instskip(SKIP_3) | instid1(VALU_DEP_1)
	v_lshlrev_b64 v[19:20], s0, v[19:20]
	s_add_u32 s0, s0, 8
	s_addc_u32 s1, s1, 0
	s_or_b32 s13, vcc_lo, s13
	v_or_b32_e32 v17, v20, v17
	s_delay_alu instid0(VALU_DEP_2)
	v_or_b32_e32 v16, v19, v16
	s_and_not1_b32 exec_lo, exec_lo, s13
	s_cbranch_execnz .LBB1_315
; %bb.316:                              ;   in Loop: Header=BB1_280 Depth=1
	s_or_b32 exec_lo, exec_lo, s13
.LBB1_317:                              ;   in Loop: Header=BB1_280 Depth=1
	s_delay_alu instid0(SALU_CYCLE_1)
	s_or_b32 exec_lo, exec_lo, s7
	s_mov_b32 s1, 0
                                        ; implicit-def: $vgpr18
.LBB1_318:                              ;   in Loop: Header=BB1_280 Depth=1
	s_or_saveexec_b32 s0, s6
	v_mov_b32_e32 v6, s1
	s_xor_b32 exec_lo, exec_lo, s0
	s_cbranch_execz .LBB1_320
; %bb.319:                              ;   in Loop: Header=BB1_280 Depth=1
	flat_load_b64 v[16:17], v[22:23]
	v_add_co_u32 v22, vcc_lo, v22, 8
	v_add_co_ci_u32_e32 v23, vcc_lo, 0, v23, vcc_lo
	s_waitcnt vmcnt(0) lgkmcnt(0)
	v_and_b32_e32 v6, 0xff, v17
	v_and_b32_e32 v19, 0xff00, v17
	v_and_b32_e32 v20, 0xff0000, v17
	v_and_b32_e32 v17, 0xff000000, v17
	v_or3_b32 v16, v16, 0, 0
	s_delay_alu instid0(VALU_DEP_4) | instskip(SKIP_1) | instid1(VALU_DEP_2)
	v_or_b32_e32 v19, v6, v19
	v_add_nc_u32_e32 v6, -8, v18
	v_or3_b32 v17, v19, v20, v17
.LBB1_320:                              ;   in Loop: Header=BB1_280 Depth=1
	s_or_b32 exec_lo, exec_lo, s0
                                        ; implicit-def: $vgpr18_vgpr19
                                        ; implicit-def: $sgpr1
	s_delay_alu instid0(SALU_CYCLE_1) | instskip(NEXT) | instid1(VALU_DEP_1)
	s_mov_b32 s0, exec_lo
	v_cmpx_gt_u32_e32 8, v6
	s_xor_b32 s6, exec_lo, s0
	s_cbranch_execz .LBB1_326
; %bb.321:                              ;   in Loop: Header=BB1_280 Depth=1
	v_mov_b32_e32 v18, 0
	v_mov_b32_e32 v19, 0
	s_mov_b32 s7, exec_lo
	v_cmpx_ne_u32_e32 0, v6
	s_cbranch_execz .LBB1_325
; %bb.322:                              ;   in Loop: Header=BB1_280 Depth=1
	v_mov_b32_e32 v18, 0
	v_mov_b32_e32 v19, 0
	s_mov_b64 s[0:1], 0
	s_mov_b32 s13, 0
	s_mov_b64 s[4:5], 0
	.p2align	6
.LBB1_323:                              ;   Parent Loop BB1_280 Depth=1
                                        ; =>  This Inner Loop Header: Depth=2
	s_delay_alu instid0(SALU_CYCLE_1)
	v_add_co_u32 v20, vcc_lo, v22, s4
	v_add_co_ci_u32_e32 v21, vcc_lo, s5, v23, vcc_lo
	s_add_u32 s4, s4, 1
	s_addc_u32 s5, s5, 0
	v_cmp_eq_u32_e32 vcc_lo, s4, v6
	flat_load_u8 v20, v[20:21]
	s_waitcnt vmcnt(0) lgkmcnt(0)
	v_dual_mov_b32 v21, s12 :: v_dual_and_b32 v20, 0xffff, v20
	s_delay_alu instid0(VALU_DEP_1) | instskip(SKIP_3) | instid1(VALU_DEP_1)
	v_lshlrev_b64 v[20:21], s0, v[20:21]
	s_add_u32 s0, s0, 8
	s_addc_u32 s1, s1, 0
	s_or_b32 s13, vcc_lo, s13
	v_or_b32_e32 v19, v21, v19
	s_delay_alu instid0(VALU_DEP_2)
	v_or_b32_e32 v18, v20, v18
	s_and_not1_b32 exec_lo, exec_lo, s13
	s_cbranch_execnz .LBB1_323
; %bb.324:                              ;   in Loop: Header=BB1_280 Depth=1
	s_or_b32 exec_lo, exec_lo, s13
.LBB1_325:                              ;   in Loop: Header=BB1_280 Depth=1
	s_delay_alu instid0(SALU_CYCLE_1)
	s_or_b32 exec_lo, exec_lo, s7
	s_mov_b32 s1, 0
                                        ; implicit-def: $vgpr6
.LBB1_326:                              ;   in Loop: Header=BB1_280 Depth=1
	s_or_saveexec_b32 s0, s6
	v_mov_b32_e32 v24, s1
	s_xor_b32 exec_lo, exec_lo, s0
	s_cbranch_execz .LBB1_328
; %bb.327:                              ;   in Loop: Header=BB1_280 Depth=1
	flat_load_b64 v[18:19], v[22:23]
	v_add_co_u32 v22, vcc_lo, v22, 8
	v_add_nc_u32_e32 v24, -8, v6
	v_add_co_ci_u32_e32 v23, vcc_lo, 0, v23, vcc_lo
	s_waitcnt vmcnt(0) lgkmcnt(0)
	v_and_b32_e32 v20, 0xff, v19
	v_and_b32_e32 v21, 0xff00, v19
	;; [unrolled: 1-line block ×4, first 2 shown]
	v_or3_b32 v18, v18, 0, 0
	s_delay_alu instid0(VALU_DEP_4) | instskip(NEXT) | instid1(VALU_DEP_1)
	v_or_b32_e32 v20, v20, v21
	v_or3_b32 v19, v20, v25, v19
.LBB1_328:                              ;   in Loop: Header=BB1_280 Depth=1
	s_or_b32 exec_lo, exec_lo, s0
	s_delay_alu instid0(SALU_CYCLE_1)
	s_mov_b32 s0, exec_lo
	v_cmpx_gt_u32_e32 8, v24
	s_xor_b32 s4, exec_lo, s0
	s_cbranch_execz .LBB1_334
; %bb.329:                              ;   in Loop: Header=BB1_280 Depth=1
	v_mov_b32_e32 v20, 0
	v_mov_b32_e32 v21, 0
	s_mov_b32 s5, exec_lo
	v_cmpx_ne_u32_e32 0, v24
	s_cbranch_execz .LBB1_333
; %bb.330:                              ;   in Loop: Header=BB1_280 Depth=1
	v_mov_b32_e32 v20, 0
	v_mov_b32_e32 v21, 0
	s_mov_b64 s[0:1], 0
	s_mov_b32 s6, 0
	.p2align	6
.LBB1_331:                              ;   Parent Loop BB1_280 Depth=1
                                        ; =>  This Inner Loop Header: Depth=2
	flat_load_u8 v6, v[22:23]
	v_dual_mov_b32 v31, s12 :: v_dual_add_nc_u32 v24, -1, v24
	v_add_co_u32 v22, vcc_lo, v22, 1
	v_add_co_ci_u32_e32 v23, vcc_lo, 0, v23, vcc_lo
	s_delay_alu instid0(VALU_DEP_3) | instskip(SKIP_2) | instid1(VALU_DEP_1)
	v_cmp_eq_u32_e32 vcc_lo, 0, v24
	s_waitcnt vmcnt(0) lgkmcnt(0)
	v_and_b32_e32 v30, 0xffff, v6
	v_lshlrev_b64 v[30:31], s0, v[30:31]
	s_add_u32 s0, s0, 8
	s_addc_u32 s1, s1, 0
	s_or_b32 s6, vcc_lo, s6
	s_delay_alu instid0(VALU_DEP_1) | instskip(NEXT) | instid1(VALU_DEP_2)
	v_or_b32_e32 v21, v31, v21
	v_or_b32_e32 v20, v30, v20
	s_and_not1_b32 exec_lo, exec_lo, s6
	s_cbranch_execnz .LBB1_331
; %bb.332:                              ;   in Loop: Header=BB1_280 Depth=1
	s_or_b32 exec_lo, exec_lo, s6
.LBB1_333:                              ;   in Loop: Header=BB1_280 Depth=1
	s_delay_alu instid0(SALU_CYCLE_1)
	s_or_b32 exec_lo, exec_lo, s5
                                        ; implicit-def: $vgpr22_vgpr23
.LBB1_334:                              ;   in Loop: Header=BB1_280 Depth=1
	s_and_not1_saveexec_b32 s0, s4
	s_cbranch_execz .LBB1_336
; %bb.335:                              ;   in Loop: Header=BB1_280 Depth=1
	flat_load_b64 v[20:21], v[22:23]
	s_waitcnt vmcnt(0) lgkmcnt(0)
	v_and_b32_e32 v6, 0xff, v21
	v_and_b32_e32 v22, 0xff00, v21
	;; [unrolled: 1-line block ×4, first 2 shown]
	v_or3_b32 v20, v20, 0, 0
	s_delay_alu instid0(VALU_DEP_4) | instskip(NEXT) | instid1(VALU_DEP_1)
	v_or_b32_e32 v6, v6, v22
	v_or3_b32 v21, v6, v23, v21
.LBB1_336:                              ;   in Loop: Header=BB1_280 Depth=1
	s_or_b32 exec_lo, exec_lo, s0
	v_readfirstlane_b32 s0, v35
	v_mov_b32_e32 v30, 0
	v_mov_b32_e32 v31, 0
	s_delay_alu instid0(VALU_DEP_3) | instskip(NEXT) | instid1(VALU_DEP_1)
	v_cmp_eq_u32_e64 s0, s0, v35
	s_and_saveexec_b32 s1, s0
	s_cbranch_execz .LBB1_342
; %bb.337:                              ;   in Loop: Header=BB1_280 Depth=1
	global_load_b64 v[24:25], v7, s[2:3] offset:24 glc
	s_waitcnt vmcnt(0)
	buffer_gl1_inv
	buffer_gl0_inv
	s_clause 0x1
	global_load_b64 v[22:23], v7, s[2:3] offset:40
	global_load_b64 v[30:31], v7, s[2:3]
	s_mov_b32 s4, exec_lo
	s_waitcnt vmcnt(1)
	v_and_b32_e32 v6, v23, v25
	v_and_b32_e32 v22, v22, v24
	s_delay_alu instid0(VALU_DEP_2) | instskip(NEXT) | instid1(VALU_DEP_2)
	v_mul_lo_u32 v6, v6, 24
	v_mul_hi_u32 v23, v22, 24
	v_mul_lo_u32 v22, v22, 24
	s_delay_alu instid0(VALU_DEP_2) | instskip(SKIP_1) | instid1(VALU_DEP_2)
	v_add_nc_u32_e32 v6, v23, v6
	s_waitcnt vmcnt(0)
	v_add_co_u32 v22, vcc_lo, v30, v22
	s_delay_alu instid0(VALU_DEP_2)
	v_add_co_ci_u32_e32 v23, vcc_lo, v31, v6, vcc_lo
	global_load_b64 v[22:23], v[22:23], off glc
	s_waitcnt vmcnt(0)
	global_atomic_cmpswap_b64 v[30:31], v7, v[22:25], s[2:3] offset:24 glc
	s_waitcnt vmcnt(0)
	buffer_gl1_inv
	buffer_gl0_inv
	v_cmpx_ne_u64_e64 v[30:31], v[24:25]
	s_cbranch_execz .LBB1_341
; %bb.338:                              ;   in Loop: Header=BB1_280 Depth=1
	s_mov_b32 s5, 0
	.p2align	6
.LBB1_339:                              ;   Parent Loop BB1_280 Depth=1
                                        ; =>  This Inner Loop Header: Depth=2
	s_sleep 1
	s_clause 0x1
	global_load_b64 v[22:23], v7, s[2:3] offset:40
	global_load_b64 v[36:37], v7, s[2:3]
	v_dual_mov_b32 v24, v30 :: v_dual_mov_b32 v25, v31
	s_waitcnt vmcnt(1)
	s_delay_alu instid0(VALU_DEP_1) | instskip(NEXT) | instid1(VALU_DEP_2)
	v_and_b32_e32 v6, v22, v24
	v_and_b32_e32 v33, v23, v25
	s_waitcnt vmcnt(0)
	s_delay_alu instid0(VALU_DEP_2) | instskip(NEXT) | instid1(VALU_DEP_1)
	v_mad_u64_u32 v[30:31], null, v6, 24, v[36:37]
	v_mov_b32_e32 v6, v31
	s_delay_alu instid0(VALU_DEP_1) | instskip(NEXT) | instid1(VALU_DEP_1)
	v_mad_u64_u32 v[22:23], null, v33, 24, v[6:7]
	v_mov_b32_e32 v31, v22
	global_load_b64 v[22:23], v[30:31], off glc
	s_waitcnt vmcnt(0)
	global_atomic_cmpswap_b64 v[30:31], v7, v[22:25], s[2:3] offset:24 glc
	s_waitcnt vmcnt(0)
	buffer_gl1_inv
	buffer_gl0_inv
	v_cmp_eq_u64_e32 vcc_lo, v[30:31], v[24:25]
	s_or_b32 s5, vcc_lo, s5
	s_delay_alu instid0(SALU_CYCLE_1)
	s_and_not1_b32 exec_lo, exec_lo, s5
	s_cbranch_execnz .LBB1_339
; %bb.340:                              ;   in Loop: Header=BB1_280 Depth=1
	s_or_b32 exec_lo, exec_lo, s5
.LBB1_341:                              ;   in Loop: Header=BB1_280 Depth=1
	s_delay_alu instid0(SALU_CYCLE_1)
	s_or_b32 exec_lo, exec_lo, s4
.LBB1_342:                              ;   in Loop: Header=BB1_280 Depth=1
	s_delay_alu instid0(SALU_CYCLE_1)
	s_or_b32 exec_lo, exec_lo, s1
	s_clause 0x1
	global_load_b64 v[36:37], v7, s[2:3] offset:40
	global_load_b128 v[22:25], v7, s[2:3]
	v_readfirstlane_b32 s4, v30
	v_readfirstlane_b32 s5, v31
	s_mov_b32 s1, exec_lo
	s_waitcnt vmcnt(1)
	v_readfirstlane_b32 s6, v36
	v_readfirstlane_b32 s7, v37
	s_delay_alu instid0(VALU_DEP_1) | instskip(NEXT) | instid1(SALU_CYCLE_1)
	s_and_b64 s[6:7], s[4:5], s[6:7]
	s_mul_i32 s13, s7, 24
	s_mul_hi_u32 s14, s6, 24
	s_mul_i32 s15, s6, 24
	s_add_i32 s14, s14, s13
	s_waitcnt vmcnt(0)
	v_add_co_u32 v30, vcc_lo, v22, s15
	v_add_co_ci_u32_e32 v31, vcc_lo, s14, v23, vcc_lo
	s_and_saveexec_b32 s13, s0
	s_cbranch_execz .LBB1_344
; %bb.343:                              ;   in Loop: Header=BB1_280 Depth=1
	v_mov_b32_e32 v6, s1
	global_store_b128 v[30:31], v[6:9], off offset:8
.LBB1_344:                              ;   in Loop: Header=BB1_280 Depth=1
	s_or_b32 exec_lo, exec_lo, s13
	v_cmp_lt_u64_e32 vcc_lo, 56, v[26:27]
	v_or_b32_e32 v6, 0, v1
	v_or_b32_e32 v33, v0, v32
	v_lshl_add_u32 v36, v28, 2, 28
	s_lshl_b64 s[6:7], s[6:7], 12
	s_delay_alu instid0(SALU_CYCLE_1) | instskip(NEXT) | instid1(VALU_DEP_1)
	v_add_co_u32 v24, s1, v24, s6
	v_add_co_ci_u32_e64 v25, s1, s7, v25, s1
	v_dual_cndmask_b32 v1, v6, v1 :: v_dual_cndmask_b32 v0, v33, v0
	v_and_b32_e32 v6, 0x1e0, v36
	s_delay_alu instid0(VALU_DEP_4) | instskip(NEXT) | instid1(VALU_DEP_4)
	v_readfirstlane_b32 s6, v24
	v_readfirstlane_b32 s7, v25
	s_delay_alu instid0(VALU_DEP_3)
	v_and_or_b32 v0, 0xffffff1f, v0, v6
	s_clause 0x3
	global_store_b128 v34, v[0:3], s[6:7]
	global_store_b128 v34, v[10:13], s[6:7] offset:16
	global_store_b128 v34, v[14:17], s[6:7] offset:32
	;; [unrolled: 1-line block ×3, first 2 shown]
	s_and_saveexec_b32 s1, s0
	s_cbranch_execz .LBB1_352
; %bb.345:                              ;   in Loop: Header=BB1_280 Depth=1
	s_clause 0x1
	global_load_b64 v[14:15], v7, s[2:3] offset:32 glc
	global_load_b64 v[0:1], v7, s[2:3] offset:40
	v_dual_mov_b32 v12, s4 :: v_dual_mov_b32 v13, s5
	s_waitcnt vmcnt(0)
	v_readfirstlane_b32 s6, v0
	v_readfirstlane_b32 s7, v1
	s_delay_alu instid0(VALU_DEP_1) | instskip(NEXT) | instid1(SALU_CYCLE_1)
	s_and_b64 s[6:7], s[6:7], s[4:5]
	s_mul_i32 s7, s7, 24
	s_mul_hi_u32 s13, s6, 24
	s_mul_i32 s6, s6, 24
	s_add_i32 s13, s13, s7
	v_add_co_u32 v10, vcc_lo, v22, s6
	v_add_co_ci_u32_e32 v11, vcc_lo, s13, v23, vcc_lo
	s_mov_b32 s6, exec_lo
	global_store_b64 v[10:11], v[14:15], off
	s_waitcnt_vscnt null, 0x0
	global_atomic_cmpswap_b64 v[2:3], v7, v[12:15], s[2:3] offset:32 glc
	s_waitcnt vmcnt(0)
	v_cmpx_ne_u64_e64 v[2:3], v[14:15]
	s_cbranch_execz .LBB1_348
; %bb.346:                              ;   in Loop: Header=BB1_280 Depth=1
	s_mov_b32 s7, 0
.LBB1_347:                              ;   Parent Loop BB1_280 Depth=1
                                        ; =>  This Inner Loop Header: Depth=2
	v_dual_mov_b32 v0, s4 :: v_dual_mov_b32 v1, s5
	s_sleep 1
	global_store_b64 v[10:11], v[2:3], off
	s_waitcnt_vscnt null, 0x0
	global_atomic_cmpswap_b64 v[0:1], v7, v[0:3], s[2:3] offset:32 glc
	s_waitcnt vmcnt(0)
	v_cmp_eq_u64_e32 vcc_lo, v[0:1], v[2:3]
	v_dual_mov_b32 v3, v1 :: v_dual_mov_b32 v2, v0
	s_or_b32 s7, vcc_lo, s7
	s_delay_alu instid0(SALU_CYCLE_1)
	s_and_not1_b32 exec_lo, exec_lo, s7
	s_cbranch_execnz .LBB1_347
.LBB1_348:                              ;   in Loop: Header=BB1_280 Depth=1
	s_or_b32 exec_lo, exec_lo, s6
	global_load_b64 v[0:1], v7, s[2:3] offset:16
	s_mov_b32 s7, exec_lo
	s_mov_b32 s6, exec_lo
	v_mbcnt_lo_u32_b32 v2, s7, 0
	s_delay_alu instid0(VALU_DEP_1)
	v_cmpx_eq_u32_e32 0, v2
	s_cbranch_execz .LBB1_350
; %bb.349:                              ;   in Loop: Header=BB1_280 Depth=1
	s_bcnt1_i32_b32 s7, s7
	s_delay_alu instid0(SALU_CYCLE_1)
	v_mov_b32_e32 v6, s7
	s_waitcnt vmcnt(0)
	global_atomic_add_u64 v[0:1], v[6:7], off offset:8
.LBB1_350:                              ;   in Loop: Header=BB1_280 Depth=1
	s_or_b32 exec_lo, exec_lo, s6
	s_waitcnt vmcnt(0)
	global_load_b64 v[2:3], v[0:1], off offset:16
	s_waitcnt vmcnt(0)
	v_cmp_eq_u64_e32 vcc_lo, 0, v[2:3]
	s_cbranch_vccnz .LBB1_352
; %bb.351:                              ;   in Loop: Header=BB1_280 Depth=1
	global_load_b32 v6, v[0:1], off offset:24
	s_waitcnt vmcnt(0)
	v_and_b32_e32 v0, 0xffffff, v6
	s_waitcnt_vscnt null, 0x0
	global_store_b64 v[2:3], v[6:7], off
	v_readfirstlane_b32 m0, v0
	s_sendmsg sendmsg(MSG_INTERRUPT)
.LBB1_352:                              ;   in Loop: Header=BB1_280 Depth=1
	s_or_b32 exec_lo, exec_lo, s1
	v_add_co_u32 v0, vcc_lo, v24, v34
	v_add_co_ci_u32_e32 v1, vcc_lo, 0, v25, vcc_lo
	s_branch .LBB1_356
	.p2align	6
.LBB1_353:                              ;   in Loop: Header=BB1_356 Depth=2
	s_or_b32 exec_lo, exec_lo, s1
	s_delay_alu instid0(VALU_DEP_1) | instskip(NEXT) | instid1(VALU_DEP_1)
	v_readfirstlane_b32 s1, v2
	s_cmp_eq_u32 s1, 0
	s_cbranch_scc1 .LBB1_355
; %bb.354:                              ;   in Loop: Header=BB1_356 Depth=2
	s_sleep 1
	s_cbranch_execnz .LBB1_356
	s_branch .LBB1_358
	.p2align	6
.LBB1_355:                              ;   in Loop: Header=BB1_280 Depth=1
	s_branch .LBB1_358
.LBB1_356:                              ;   Parent Loop BB1_280 Depth=1
                                        ; =>  This Inner Loop Header: Depth=2
	v_mov_b32_e32 v2, 1
	s_and_saveexec_b32 s1, s0
	s_cbranch_execz .LBB1_353
; %bb.357:                              ;   in Loop: Header=BB1_356 Depth=2
	global_load_b32 v2, v[30:31], off offset:20 glc
	s_waitcnt vmcnt(0)
	buffer_gl1_inv
	buffer_gl0_inv
	v_and_b32_e32 v2, 1, v2
	s_branch .LBB1_353
.LBB1_358:                              ;   in Loop: Header=BB1_280 Depth=1
	global_load_b128 v[0:3], v[0:1], off
	s_and_saveexec_b32 s1, s0
	s_cbranch_execz .LBB1_279
; %bb.359:                              ;   in Loop: Header=BB1_280 Depth=1
	s_clause 0x2
	global_load_b64 v[2:3], v7, s[2:3] offset:40
	global_load_b64 v[14:15], v7, s[2:3] offset:24 glc
	global_load_b64 v[12:13], v7, s[2:3]
	s_waitcnt vmcnt(2)
	v_add_co_u32 v6, vcc_lo, v2, 1
	v_add_co_ci_u32_e32 v16, vcc_lo, 0, v3, vcc_lo
	s_delay_alu instid0(VALU_DEP_2) | instskip(NEXT) | instid1(VALU_DEP_2)
	v_add_co_u32 v10, vcc_lo, v6, s4
	v_add_co_ci_u32_e32 v11, vcc_lo, s5, v16, vcc_lo
	s_delay_alu instid0(VALU_DEP_1) | instskip(SKIP_1) | instid1(VALU_DEP_1)
	v_cmp_eq_u64_e32 vcc_lo, 0, v[10:11]
	v_dual_cndmask_b32 v11, v11, v16 :: v_dual_cndmask_b32 v10, v10, v6
	v_and_b32_e32 v3, v11, v3
	s_delay_alu instid0(VALU_DEP_2) | instskip(NEXT) | instid1(VALU_DEP_1)
	v_and_b32_e32 v2, v10, v2
	v_mul_hi_u32 v6, v2, 24
	v_mul_lo_u32 v2, v2, 24
	s_waitcnt vmcnt(0)
	s_delay_alu instid0(VALU_DEP_1) | instskip(SKIP_2) | instid1(VALU_DEP_1)
	v_add_co_u32 v2, vcc_lo, v12, v2
	v_mov_b32_e32 v12, v14
	v_mul_lo_u32 v3, v3, 24
	v_add_nc_u32_e32 v3, v6, v3
	s_delay_alu instid0(VALU_DEP_1)
	v_add_co_ci_u32_e32 v3, vcc_lo, v13, v3, vcc_lo
	v_mov_b32_e32 v13, v15
	global_store_b64 v[2:3], v[14:15], off
	s_waitcnt_vscnt null, 0x0
	global_atomic_cmpswap_b64 v[12:13], v7, v[10:13], s[2:3] offset:24 glc
	s_waitcnt vmcnt(0)
	v_cmp_ne_u64_e32 vcc_lo, v[12:13], v[14:15]
	s_and_b32 exec_lo, exec_lo, vcc_lo
	s_cbranch_execz .LBB1_279
; %bb.360:                              ;   in Loop: Header=BB1_280 Depth=1
	s_mov_b32 s0, 0
.LBB1_361:                              ;   Parent Loop BB1_280 Depth=1
                                        ; =>  This Inner Loop Header: Depth=2
	s_sleep 1
	global_store_b64 v[2:3], v[12:13], off
	s_waitcnt_vscnt null, 0x0
	global_atomic_cmpswap_b64 v[14:15], v7, v[10:13], s[2:3] offset:24 glc
	s_waitcnt vmcnt(0)
	v_cmp_eq_u64_e32 vcc_lo, v[14:15], v[12:13]
	v_dual_mov_b32 v12, v14 :: v_dual_mov_b32 v13, v15
	s_or_b32 s0, vcc_lo, s0
	s_delay_alu instid0(SALU_CYCLE_1)
	s_and_not1_b32 exec_lo, exec_lo, s0
	s_cbranch_execnz .LBB1_361
	s_branch .LBB1_279
.LBB1_362:
	s_or_b32 exec_lo, exec_lo, s11
                                        ; implicit-def: $vgpr34
                                        ; implicit-def: $vgpr35
.LBB1_363:
	s_and_not1_saveexec_b32 s1, s10
	s_cbranch_execz .LBB1_391
; %bb.364:
	v_readfirstlane_b32 s0, v35
	v_mov_b32_e32 v8, 0
	v_mov_b32_e32 v9, 0
	s_delay_alu instid0(VALU_DEP_3) | instskip(NEXT) | instid1(VALU_DEP_1)
	v_cmp_eq_u32_e64 s0, s0, v35
	s_and_saveexec_b32 s4, s0
	s_cbranch_execz .LBB1_370
; %bb.365:
	s_waitcnt vmcnt(0)
	v_mov_b32_e32 v2, 0
	s_mov_b32 s5, exec_lo
	global_load_b64 v[5:6], v2, s[2:3] offset:24 glc
	s_waitcnt vmcnt(0)
	buffer_gl1_inv
	buffer_gl0_inv
	s_clause 0x1
	global_load_b64 v[3:4], v2, s[2:3] offset:40
	global_load_b64 v[7:8], v2, s[2:3]
	s_waitcnt vmcnt(1)
	v_and_b32_e32 v3, v3, v5
	v_and_b32_e32 v4, v4, v6
	s_delay_alu instid0(VALU_DEP_2) | instskip(NEXT) | instid1(VALU_DEP_2)
	v_mul_hi_u32 v9, v3, 24
	v_mul_lo_u32 v4, v4, 24
	v_mul_lo_u32 v3, v3, 24
	s_delay_alu instid0(VALU_DEP_2) | instskip(SKIP_1) | instid1(VALU_DEP_2)
	v_add_nc_u32_e32 v4, v9, v4
	s_waitcnt vmcnt(0)
	v_add_co_u32 v3, vcc_lo, v7, v3
	s_delay_alu instid0(VALU_DEP_2)
	v_add_co_ci_u32_e32 v4, vcc_lo, v8, v4, vcc_lo
	global_load_b64 v[3:4], v[3:4], off glc
	s_waitcnt vmcnt(0)
	global_atomic_cmpswap_b64 v[8:9], v2, v[3:6], s[2:3] offset:24 glc
	s_waitcnt vmcnt(0)
	buffer_gl1_inv
	buffer_gl0_inv
	v_cmpx_ne_u64_e64 v[8:9], v[5:6]
	s_cbranch_execz .LBB1_369
; %bb.366:
	s_mov_b32 s6, 0
	.p2align	6
.LBB1_367:                              ; =>This Inner Loop Header: Depth=1
	s_sleep 1
	s_clause 0x1
	global_load_b64 v[3:4], v2, s[2:3] offset:40
	global_load_b64 v[10:11], v2, s[2:3]
	v_dual_mov_b32 v5, v8 :: v_dual_mov_b32 v6, v9
	s_waitcnt vmcnt(1)
	s_delay_alu instid0(VALU_DEP_1) | instskip(NEXT) | instid1(VALU_DEP_2)
	v_and_b32_e32 v3, v3, v5
	v_and_b32_e32 v4, v4, v6
	s_waitcnt vmcnt(0)
	s_delay_alu instid0(VALU_DEP_2) | instskip(NEXT) | instid1(VALU_DEP_1)
	v_mad_u64_u32 v[7:8], null, v3, 24, v[10:11]
	v_mov_b32_e32 v3, v8
	s_delay_alu instid0(VALU_DEP_1)
	v_mad_u64_u32 v[8:9], null, v4, 24, v[3:4]
	global_load_b64 v[3:4], v[7:8], off glc
	s_waitcnt vmcnt(0)
	global_atomic_cmpswap_b64 v[8:9], v2, v[3:6], s[2:3] offset:24 glc
	s_waitcnt vmcnt(0)
	buffer_gl1_inv
	buffer_gl0_inv
	v_cmp_eq_u64_e32 vcc_lo, v[8:9], v[5:6]
	s_or_b32 s6, vcc_lo, s6
	s_delay_alu instid0(SALU_CYCLE_1)
	s_and_not1_b32 exec_lo, exec_lo, s6
	s_cbranch_execnz .LBB1_367
; %bb.368:
	s_or_b32 exec_lo, exec_lo, s6
.LBB1_369:
	s_delay_alu instid0(SALU_CYCLE_1)
	s_or_b32 exec_lo, exec_lo, s5
.LBB1_370:
	s_delay_alu instid0(SALU_CYCLE_1)
	s_or_b32 exec_lo, exec_lo, s4
	s_waitcnt vmcnt(0)
	v_mov_b32_e32 v2, 0
	v_readfirstlane_b32 s4, v8
	v_readfirstlane_b32 s5, v9
	s_mov_b32 s10, exec_lo
	s_clause 0x1
	global_load_b64 v[10:11], v2, s[2:3] offset:40
	global_load_b128 v[4:7], v2, s[2:3]
	s_waitcnt vmcnt(1)
	v_readfirstlane_b32 s6, v10
	v_readfirstlane_b32 s7, v11
	s_delay_alu instid0(VALU_DEP_1) | instskip(NEXT) | instid1(SALU_CYCLE_1)
	s_and_b64 s[6:7], s[4:5], s[6:7]
	s_mul_i32 s11, s7, 24
	s_mul_hi_u32 s12, s6, 24
	s_mul_i32 s13, s6, 24
	s_add_i32 s12, s12, s11
	s_waitcnt vmcnt(0)
	v_add_co_u32 v8, vcc_lo, v4, s13
	v_add_co_ci_u32_e32 v9, vcc_lo, s12, v5, vcc_lo
	s_and_saveexec_b32 s11, s0
	s_cbranch_execz .LBB1_372
; %bb.371:
	v_dual_mov_b32 v10, s10 :: v_dual_mov_b32 v11, v2
	v_dual_mov_b32 v12, 2 :: v_dual_mov_b32 v13, 1
	global_store_b128 v[8:9], v[10:13], off offset:8
.LBB1_372:
	s_or_b32 exec_lo, exec_lo, s11
	s_lshl_b64 s[6:7], s[6:7], 12
	s_mov_b32 s12, 0
	v_add_co_u32 v6, vcc_lo, v6, s6
	v_add_co_ci_u32_e32 v7, vcc_lo, s7, v7, vcc_lo
	s_mov_b32 s13, s12
	s_delay_alu instid0(VALU_DEP_2)
	v_readfirstlane_b32 s6, v6
	v_add_co_u32 v6, vcc_lo, v6, v34
	s_mov_b32 s14, s12
	s_mov_b32 s15, s12
	v_and_or_b32 v0, 0xffffff1f, v0, 32
	v_dual_mov_b32 v3, v2 :: v_dual_mov_b32 v10, s12
	v_readfirstlane_b32 s7, v7
	v_add_co_ci_u32_e32 v7, vcc_lo, 0, v7, vcc_lo
	v_dual_mov_b32 v11, s13 :: v_dual_mov_b32 v12, s14
	v_mov_b32_e32 v13, s15
	s_clause 0x3
	global_store_b128 v34, v[0:3], s[6:7]
	global_store_b128 v34, v[10:13], s[6:7] offset:16
	global_store_b128 v34, v[10:13], s[6:7] offset:32
	;; [unrolled: 1-line block ×3, first 2 shown]
	s_and_saveexec_b32 s6, s0
	s_cbranch_execz .LBB1_380
; %bb.373:
	v_dual_mov_b32 v10, 0 :: v_dual_mov_b32 v11, s4
	v_mov_b32_e32 v12, s5
	s_clause 0x1
	global_load_b64 v[13:14], v10, s[2:3] offset:32 glc
	global_load_b64 v[0:1], v10, s[2:3] offset:40
	s_waitcnt vmcnt(0)
	v_readfirstlane_b32 s10, v0
	v_readfirstlane_b32 s11, v1
	s_delay_alu instid0(VALU_DEP_1) | instskip(NEXT) | instid1(SALU_CYCLE_1)
	s_and_b64 s[10:11], s[10:11], s[4:5]
	s_mul_i32 s7, s11, 24
	s_mul_hi_u32 s11, s10, 24
	s_mul_i32 s10, s10, 24
	s_add_i32 s11, s11, s7
	v_add_co_u32 v4, vcc_lo, v4, s10
	v_add_co_ci_u32_e32 v5, vcc_lo, s11, v5, vcc_lo
	s_mov_b32 s7, exec_lo
	global_store_b64 v[4:5], v[13:14], off
	s_waitcnt_vscnt null, 0x0
	global_atomic_cmpswap_b64 v[2:3], v10, v[11:14], s[2:3] offset:32 glc
	s_waitcnt vmcnt(0)
	v_cmpx_ne_u64_e64 v[2:3], v[13:14]
	s_cbranch_execz .LBB1_376
; %bb.374:
	s_mov_b32 s10, 0
.LBB1_375:                              ; =>This Inner Loop Header: Depth=1
	v_dual_mov_b32 v0, s4 :: v_dual_mov_b32 v1, s5
	s_sleep 1
	global_store_b64 v[4:5], v[2:3], off
	s_waitcnt_vscnt null, 0x0
	global_atomic_cmpswap_b64 v[0:1], v10, v[0:3], s[2:3] offset:32 glc
	s_waitcnt vmcnt(0)
	v_cmp_eq_u64_e32 vcc_lo, v[0:1], v[2:3]
	v_dual_mov_b32 v3, v1 :: v_dual_mov_b32 v2, v0
	s_or_b32 s10, vcc_lo, s10
	s_delay_alu instid0(SALU_CYCLE_1)
	s_and_not1_b32 exec_lo, exec_lo, s10
	s_cbranch_execnz .LBB1_375
.LBB1_376:
	s_or_b32 exec_lo, exec_lo, s7
	v_mov_b32_e32 v3, 0
	s_mov_b32 s10, exec_lo
	s_mov_b32 s7, exec_lo
	v_mbcnt_lo_u32_b32 v2, s10, 0
	global_load_b64 v[0:1], v3, s[2:3] offset:16
	v_cmpx_eq_u32_e32 0, v2
	s_cbranch_execz .LBB1_378
; %bb.377:
	s_bcnt1_i32_b32 s10, s10
	s_delay_alu instid0(SALU_CYCLE_1)
	v_mov_b32_e32 v2, s10
	s_waitcnt vmcnt(0)
	global_atomic_add_u64 v[0:1], v[2:3], off offset:8
.LBB1_378:
	s_or_b32 exec_lo, exec_lo, s7
	s_waitcnt vmcnt(0)
	global_load_b64 v[2:3], v[0:1], off offset:16
	s_waitcnt vmcnt(0)
	v_cmp_eq_u64_e32 vcc_lo, 0, v[2:3]
	s_cbranch_vccnz .LBB1_380
; %bb.379:
	global_load_b32 v0, v[0:1], off offset:24
	s_waitcnt vmcnt(0)
	v_dual_mov_b32 v1, 0 :: v_dual_and_b32 v4, 0xffffff, v0
	s_waitcnt_vscnt null, 0x0
	global_store_b64 v[2:3], v[0:1], off
	v_readfirstlane_b32 m0, v4
	s_sendmsg sendmsg(MSG_INTERRUPT)
.LBB1_380:
	s_or_b32 exec_lo, exec_lo, s6
	s_branch .LBB1_384
	.p2align	6
.LBB1_381:                              ;   in Loop: Header=BB1_384 Depth=1
	s_or_b32 exec_lo, exec_lo, s6
	s_delay_alu instid0(VALU_DEP_1) | instskip(NEXT) | instid1(VALU_DEP_1)
	v_readfirstlane_b32 s6, v0
	s_cmp_eq_u32 s6, 0
	s_cbranch_scc1 .LBB1_383
; %bb.382:                              ;   in Loop: Header=BB1_384 Depth=1
	s_sleep 1
	s_cbranch_execnz .LBB1_384
	s_branch .LBB1_386
	.p2align	6
.LBB1_383:
	s_branch .LBB1_386
.LBB1_384:                              ; =>This Inner Loop Header: Depth=1
	v_mov_b32_e32 v0, 1
	s_and_saveexec_b32 s6, s0
	s_cbranch_execz .LBB1_381
; %bb.385:                              ;   in Loop: Header=BB1_384 Depth=1
	global_load_b32 v0, v[8:9], off offset:20 glc
	s_waitcnt vmcnt(0)
	buffer_gl1_inv
	buffer_gl0_inv
	v_and_b32_e32 v0, 1, v0
	s_branch .LBB1_381
.LBB1_386:
	global_load_b64 v[0:1], v[6:7], off
	s_and_saveexec_b32 s6, s0
	s_cbranch_execz .LBB1_390
; %bb.387:
	v_mov_b32_e32 v8, 0
	s_clause 0x2
	global_load_b64 v[4:5], v8, s[2:3] offset:40
	global_load_b64 v[9:10], v8, s[2:3] offset:24 glc
	global_load_b64 v[6:7], v8, s[2:3]
	s_waitcnt vmcnt(2)
	v_add_co_u32 v11, vcc_lo, v4, 1
	v_add_co_ci_u32_e32 v12, vcc_lo, 0, v5, vcc_lo
	s_delay_alu instid0(VALU_DEP_2) | instskip(NEXT) | instid1(VALU_DEP_2)
	v_add_co_u32 v2, vcc_lo, v11, s4
	v_add_co_ci_u32_e32 v3, vcc_lo, s5, v12, vcc_lo
	s_delay_alu instid0(VALU_DEP_1) | instskip(SKIP_1) | instid1(VALU_DEP_1)
	v_cmp_eq_u64_e32 vcc_lo, 0, v[2:3]
	v_dual_cndmask_b32 v3, v3, v12 :: v_dual_cndmask_b32 v2, v2, v11
	v_and_b32_e32 v5, v3, v5
	s_delay_alu instid0(VALU_DEP_2) | instskip(NEXT) | instid1(VALU_DEP_2)
	v_and_b32_e32 v4, v2, v4
	v_mul_lo_u32 v5, v5, 24
	s_delay_alu instid0(VALU_DEP_2) | instskip(SKIP_1) | instid1(VALU_DEP_2)
	v_mul_hi_u32 v11, v4, 24
	v_mul_lo_u32 v4, v4, 24
	v_add_nc_u32_e32 v5, v11, v5
	s_waitcnt vmcnt(0)
	s_delay_alu instid0(VALU_DEP_2) | instskip(SKIP_1) | instid1(VALU_DEP_3)
	v_add_co_u32 v6, vcc_lo, v6, v4
	v_mov_b32_e32 v4, v9
	v_add_co_ci_u32_e32 v7, vcc_lo, v7, v5, vcc_lo
	v_mov_b32_e32 v5, v10
	global_store_b64 v[6:7], v[9:10], off
	s_waitcnt_vscnt null, 0x0
	global_atomic_cmpswap_b64 v[4:5], v8, v[2:5], s[2:3] offset:24 glc
	s_waitcnt vmcnt(0)
	v_cmp_ne_u64_e32 vcc_lo, v[4:5], v[9:10]
	s_and_b32 exec_lo, exec_lo, vcc_lo
	s_cbranch_execz .LBB1_390
; %bb.388:
	s_mov_b32 s0, 0
.LBB1_389:                              ; =>This Inner Loop Header: Depth=1
	s_sleep 1
	global_store_b64 v[6:7], v[4:5], off
	s_waitcnt_vscnt null, 0x0
	global_atomic_cmpswap_b64 v[9:10], v8, v[2:5], s[2:3] offset:24 glc
	s_waitcnt vmcnt(0)
	v_cmp_eq_u64_e32 vcc_lo, v[9:10], v[4:5]
	v_dual_mov_b32 v4, v9 :: v_dual_mov_b32 v5, v10
	s_or_b32 s0, vcc_lo, s0
	s_delay_alu instid0(SALU_CYCLE_1)
	s_and_not1_b32 exec_lo, exec_lo, s0
	s_cbranch_execnz .LBB1_389
.LBB1_390:
	s_or_b32 exec_lo, exec_lo, s6
.LBB1_391:
	s_delay_alu instid0(SALU_CYCLE_1)
	s_or_b32 exec_lo, exec_lo, s1
	s_getpc_b64 s[0:1]
	s_add_u32 s0, s0, .str.1@rel32@lo+4
	s_addc_u32 s1, s1, .str.1@rel32@hi+12
	s_getpc_b64 s[2:3]
	s_add_u32 s2, s2, .str.1@rel32@lo+32
	s_addc_u32 s3, s3, .str.1@rel32@hi+40
	s_sub_i32 s4, s2, s0
	s_getpc_b64 s[2:3]
	s_add_u32 s2, s2, __ockl_fprintf_append_string_n@rel32@lo+4
	s_addc_u32 s3, s3, __ockl_fprintf_append_string_n@rel32@hi+12
	s_ashr_i32 s5, s4, 31
	s_waitcnt vmcnt(0)
	v_dual_mov_b32 v2, s0 :: v_dual_mov_b32 v3, s1
	v_dual_mov_b32 v4, s4 :: v_dual_mov_b32 v5, s5
	v_mov_b32_e32 v6, 1
	s_swappc_b64 s[30:31], s[2:3]
	s_trap 2
	s_sendmsg_rtn_b32 s0, sendmsg(MSG_RTN_GET_DOORBELL)
	s_mov_b32 ttmp2, m0
	s_waitcnt lgkmcnt(0)
	s_and_b32 s0, s0, 0x3ff
	s_delay_alu instid0(SALU_CYCLE_1) | instskip(NEXT) | instid1(SALU_CYCLE_1)
	s_bitset1_b32 s0, 10
	s_mov_b32 m0, s0
	s_sendmsg sendmsg(MSG_INTERRUPT)
	s_mov_b32 m0, ttmp2
.LBB1_392:                              ; =>This Inner Loop Header: Depth=1
	s_sethalt 5
	s_branch .LBB1_392
.Lfunc_end1:
	.size	__assert_fail, .Lfunc_end1-__assert_fail
                                        ; -- End function
	.section	.AMDGPU.csdata,"",@progbits
; Function info:
; codeLenInByte = 16148
; NumSgprs: 36
; NumVgprs: 41
; ScratchSize: 64
; MemoryBound: 0
	.text
	.p2align	2                               ; -- Begin function _ZN12_GLOBAL__N_17runRingI11rccl_float813FuncPreMulSumIS1_E11ProtoSimpleILi1ELi1ELi0ELi1ELi0ELi0EELi0ELi1ELi0EEEviiP15ncclDevWorkColl
	.type	_ZN12_GLOBAL__N_17runRingI11rccl_float813FuncPreMulSumIS1_E11ProtoSimpleILi1ELi1ELi0ELi1ELi0ELi0EELi0ELi1ELi0EEEviiP15ncclDevWorkColl,@function
_ZN12_GLOBAL__N_17runRingI11rccl_float813FuncPreMulSumIS1_E11ProtoSimpleILi1ELi1ELi0ELi1ELi0ELi0EELi0ELi1ELi0EEEviiP15ncclDevWorkColl: ; @_ZN12_GLOBAL__N_17runRingI11rccl_float813FuncPreMulSumIS1_E11ProtoSimpleILi1ELi1ELi0ELi1ELi0ELi0EELi0ELi1ELi0EEEviiP15ncclDevWorkColl
; %bb.0:
	s_waitcnt vmcnt(0) expcnt(0) lgkmcnt(0)
	s_mov_b32 s0, s33
	s_mov_b32 s33, s32
	s_or_saveexec_b32 s1, -1
	scratch_store_b32 off, v41, s33 offset:4 ; 4-byte Folded Spill
	s_mov_b32 exec_lo, s1
	v_writelane_b32 v41, s0, 2
	s_add_i32 s32, s32, 16
	scratch_store_b32 off, v40, s33         ; 4-byte Folded Spill
	v_writelane_b32 v41, s30, 0
	v_writelane_b32 v41, s31, 1
	s_cbranch_execz .LBB2_1
; %bb.5253:
	s_getpc_b64 s[34:35]
.Lpost_getpc0:
	s_add_u32 s34, s34, (.LBB2_4955-.Lpost_getpc0)&4294967295
	s_addc_u32 s35, s35, (.LBB2_4955-.Lpost_getpc0)>>32
	s_setpc_b64 s[34:35]
.LBB2_1:
	ds_load_b64 v[32:33], v0
	ds_load_b32 v9, v0
	flat_load_b64 v[6:7], v[2:3]
	s_mov_b32 s0, exec_lo
                                        ; implicit-def: $vgpr26_vgpr27
                                        ; implicit-def: $vgpr14_vgpr15
	s_waitcnt lgkmcnt(2)
	v_ashrrev_i32_e32 v5, 31, v33
	v_mov_b32_e32 v4, v33
	s_delay_alu instid0(VALU_DEP_1) | instskip(NEXT) | instid1(VALU_DEP_1)
	v_lshlrev_b64 v[4:5], 2, v[4:5]
	v_add_co_u32 v4, vcc_lo, v32, v4
	s_delay_alu instid0(VALU_DEP_2) | instskip(NEXT) | instid1(VALU_DEP_2)
	v_add_co_ci_u32_e32 v5, vcc_lo, v33, v5, vcc_lo
	v_add_co_u32 v4, vcc_lo, -4, v4
	s_delay_alu instid0(VALU_DEP_2)
	v_add_co_ci_u32_e32 v5, vcc_lo, -1, v5, vcc_lo
	flat_load_u16 v25, v[2:3] offset:8
	flat_load_b32 v36, v[4:5]
                                        ; implicit-def: $vgpr4_vgpr5
	s_waitcnt vmcnt(2) lgkmcnt(2)
	v_and_b32_e32 v8, 0xff, v6
	v_mov_b32_e32 v24, v7
	s_delay_alu instid0(VALU_DEP_2)
	v_cmpx_ne_u32_e64 v8, v9
	s_xor_b32 s0, exec_lo, s0
	s_cbranch_execz .LBB2_2
; %bb.5255:
	s_getpc_b64 s[34:35]
.Lpost_getpc1:
	s_add_u32 s34, s34, (.LBB2_4957-.Lpost_getpc1)&4294967295
	s_addc_u32 s35, s35, (.LBB2_4957-.Lpost_getpc1)>>32
	s_setpc_b64 s[34:35]
.LBB2_2:
	s_and_not1_saveexec_b32 s0, s0
	s_cbranch_execz .LBB2_3
; %bb.5257:
	s_getpc_b64 s[34:35]
.Lpost_getpc2:
	s_add_u32 s34, s34, (.LBB2_4962-.Lpost_getpc2)&4294967295
	s_addc_u32 s35, s35, (.LBB2_4962-.Lpost_getpc2)>>32
	s_setpc_b64 s[34:35]
.LBB2_3:
	s_or_b32 exec_lo, exec_lo, s0
	s_cbranch_execz .LBB2_4
; %bb.5259:
	s_getpc_b64 s[34:35]
.Lpost_getpc3:
	s_add_u32 s34, s34, (.LBB2_4963-.Lpost_getpc3)&4294967295
	s_addc_u32 s35, s35, (.LBB2_4963-.Lpost_getpc3)>>32
	s_setpc_b64 s[34:35]
.LBB2_4:
	ds_load_b64 v[6:7], v0
	s_mov_b32 s1, exec_lo
	s_waitcnt lgkmcnt(0)
	v_cmp_ne_u32_e32 vcc_lo, -1, v6
	v_cndmask_b32_e64 v35, 0, 1, vcc_lo
	v_cmp_ne_u32_e32 vcc_lo, -1, v7
	s_delay_alu instid0(VALU_DEP_2) | instskip(NEXT) | instid1(VALU_DEP_1)
	v_add_co_ci_u32_e64 v6, s0, 0, v35, vcc_lo
	v_lshlrev_b32_e32 v7, 1, v6
	s_delay_alu instid0(VALU_DEP_1)
	v_cmpx_le_i32_e64 v7, v1
	s_xor_b32 s13, exec_lo, s1
	s_cbranch_execnz .LBB2_5
; %bb.5261:
	s_getpc_b64 s[34:35]
.Lpost_getpc4:
	s_add_u32 s34, s34, (.LBB2_5176-.Lpost_getpc4)&4294967295
	s_addc_u32 s35, s35, (.LBB2_5176-.Lpost_getpc4)>>32
	s_setpc_b64 s[34:35]
.LBB2_5:
	s_clause 0x1
	flat_load_b128 v[10:13], v[2:3] offset:16
	flat_load_b64 v[33:34], v[2:3] offset:104
	s_cbranch_execz .LBB2_6
; %bb.5263:
	s_getpc_b64 s[34:35]
.Lpost_getpc5:
	s_add_u32 s34, s34, (.LBB2_4965-.Lpost_getpc5)&4294967295
	s_addc_u32 s35, s35, (.LBB2_4965-.Lpost_getpc5)>>32
	s_setpc_b64 s[34:35]
.LBB2_6:
	s_load_b32 s0, s[8:9], 0x0
	v_mov_b32_e32 v2, 0
	v_mov_b32_e32 v30, 4
	s_waitcnt lgkmcnt(0)
	s_cmp_lt_u32 s12, s0
	s_cselect_b32 s0, 12, 18
	s_delay_alu instid0(SALU_CYCLE_1)
	s_add_u32 s0, s8, s0
	s_addc_u32 s1, s9, 0
	global_load_u16 v37, v2, s[0:1]
	ds_load_b32 v2, v0
	s_mov_b32 s1, exec_lo
	s_waitcnt lgkmcnt(0)
	v_readfirstlane_b32 s14, v2
	v_cmpx_ge_i32_e64 v0, v35
	s_cbranch_execz .LBB2_16
; %bb.7:
	v_cmp_le_u32_e64 s0, v6, v0
                                        ; implicit-def: $vgpr30
	s_delay_alu instid0(VALU_DEP_1) | instskip(NEXT) | instid1(SALU_CYCLE_1)
	s_and_saveexec_b32 s2, s0
	s_xor_b32 s0, exec_lo, s2
	s_cbranch_execz .LBB2_13
; %bb.8:
	v_cndmask_b32_e64 v2, 0, 1, vcc_lo
	s_mov_b32 s2, exec_lo
                                        ; implicit-def: $sgpr3
	s_delay_alu instid0(VALU_DEP_1) | instskip(NEXT) | instid1(VALU_DEP_1)
	v_sub_nc_u32_e32 v2, v1, v2
	v_cmpx_ge_u32_e64 v0, v2
	s_xor_b32 s2, exec_lo, s2
; %bb.9:
	s_mov_b32 s3, 16
                                        ; implicit-def: $vgpr6
; %bb.10:
	s_or_saveexec_b32 s2, s2
	v_mov_b32_e32 v30, s3
	s_xor_b32 exec_lo, exec_lo, s2
; %bb.11:
	v_sub_nc_u32_e32 v2, v1, v6
	s_delay_alu instid0(VALU_DEP_1) | instskip(SKIP_1) | instid1(VALU_DEP_1)
	v_cmp_ge_i32_e32 vcc_lo, v0, v2
	v_cndmask_b32_e64 v2, 0, 1, vcc_lo
	v_lshlrev_b32_e32 v30, 5, v2
; %bb.12:
	s_or_b32 exec_lo, exec_lo, s2
.LBB2_13:
	s_and_not1_saveexec_b32 s0, s0
; %bb.14:
	v_mov_b32_e32 v30, 8
; %bb.15:
	s_or_b32 exec_lo, exec_lo, s0
.LBB2_16:
	s_delay_alu instid0(SALU_CYCLE_1) | instskip(NEXT) | instid1(VALU_DEP_1)
	s_or_b32 exec_lo, exec_lo, s1
	v_dual_mov_b32 v27, -1 :: v_dual_and_b32 v2, 36, v30
	s_delay_alu instid0(VALU_DEP_1)
	v_cmp_ne_u32_e32 vcc_lo, 0, v2
	s_and_saveexec_b32 s0, vcc_lo
	s_cbranch_execz .LBB2_19
; %bb.17:
	s_cbranch_execz .LBB2_18
; %bb.5265:
	s_getpc_b64 s[34:35]
.Lpost_getpc6:
	s_add_u32 s34, s34, (.LBB2_4967-.Lpost_getpc6)&4294967295
	s_addc_u32 s35, s35, (.LBB2_4967-.Lpost_getpc6)>>32
	s_setpc_b64 s[34:35]
.LBB2_18:
	ds_load_b32 v27, v0
.LBB2_19:
	s_or_b32 exec_lo, exec_lo, s0
	v_and_b32_e32 v2, 24, v30
	s_mov_b32 s1, exec_lo
	s_delay_alu instid0(VALU_DEP_1)
	v_cmpx_ne_u32_e32 0, v2
	s_cbranch_execz .LBB2_22
; %bb.20:
	s_cbranch_execz .LBB2_21
; %bb.5267:
	s_getpc_b64 s[34:35]
.Lpost_getpc7:
	s_add_u32 s34, s34, (.LBB2_4969-.Lpost_getpc7)&4294967295
	s_addc_u32 s35, s35, (.LBB2_4969-.Lpost_getpc7)>>32
	s_setpc_b64 s[34:35]
.LBB2_21:
	s_waitcnt lgkmcnt(0)
	ds_load_b32 v27, v0
.LBB2_22:
	s_or_b32 exec_lo, exec_lo, s1
	s_waitcnt vmcnt(4)
	v_lshrrev_b64 v[2:3], 31, v[24:25]
	v_mov_b32_e32 v16, 0
	v_mov_b32_e32 v17, 0
	s_delay_alu instid0(VALU_DEP_2) | instskip(NEXT) | instid1(VALU_DEP_4)
	v_mov_b32_e32 v6, v16
                                        ; implicit-def: $vgpr55
                                        ; implicit-def: $vgpr22_vgpr23
                                        ; implicit-def: $vgpr20_vgpr21
                                        ; implicit-def: $vgpr18_vgpr19
	v_and_b32_e32 v25, 3, v2
	s_delay_alu instid0(VALU_DEP_3)
	v_mov_b32_e32 v7, v17
                                        ; implicit-def: $vgpr2_vgpr3
	s_and_saveexec_b32 s0, vcc_lo
	s_cbranch_execz .LBB2_35
; %bb.23:
	s_cbranch_execz .LBB2_24
; %bb.5269:
	s_getpc_b64 s[34:35]
.Lpost_getpc8:
	s_add_u32 s34, s34, (.LBB2_4971-.Lpost_getpc8)&4294967295
	s_addc_u32 s35, s35, (.LBB2_4971-.Lpost_getpc8)>>32
	s_setpc_b64 s[34:35]
.LBB2_24:
	ds_load_b64 v[2:3], v0
	s_waitcnt lgkmcnt(1)
	v_ashrrev_i32_e32 v28, 31, v27
	v_and_b32_e32 v8, 0xffff, v25
	s_delay_alu instid0(VALU_DEP_2) | instskip(SKIP_1) | instid1(VALU_DEP_1)
	v_lshlrev_b64 v[6:7], 3, v[27:28]
	s_waitcnt lgkmcnt(0)
	v_add_co_u32 v2, vcc_lo, v2, v6
	s_delay_alu instid0(VALU_DEP_2)
	v_add_co_ci_u32_e32 v3, vcc_lo, v3, v7, vcc_lo
	flat_load_b64 v[2:3], v[2:3]
	s_waitcnt vmcnt(0) lgkmcnt(0)
	v_mad_u64_u32 v[6:7], null, 0xa8, v8, v[2:3]
	flat_load_b32 v2, v[6:7] offset:640
	v_add_co_u32 v16, vcc_lo, 0x1f8, v6
	v_add_co_ci_u32_e32 v17, vcc_lo, 0, v7, vcc_lo
	s_waitcnt vmcnt(0) lgkmcnt(0)
	v_cmp_eq_u32_e32 vcc_lo, 1, v2
                                        ; implicit-def: $vgpr2_vgpr3
	s_and_saveexec_b32 s1, vcc_lo
	s_cbranch_execz .LBB2_27
; %bb.25:
	flat_load_b64 v[2:3], v[16:17] offset:144
	s_waitcnt vmcnt(0) lgkmcnt(0)
	flat_load_b64 v[6:7], v[2:3]
	s_cbranch_execz .LBB2_26
; %bb.5271:
	s_getpc_b64 s[34:35]
.Lpost_getpc9:
	s_add_u32 s34, s34, (.LBB2_4977-.Lpost_getpc9)&4294967295
	s_addc_u32 s35, s35, (.LBB2_4977-.Lpost_getpc9)>>32
	s_setpc_b64 s[34:35]
.LBB2_26:
	s_waitcnt vmcnt(0) lgkmcnt(0)
	ds_store_b64 v0, v[6:7]
	flat_load_b64 v[6:7], v[2:3] offset:8
	v_or_b32_e32 v30, 0x2000, v30
	s_waitcnt vmcnt(0) lgkmcnt(0)
	ds_store_b64 v0, v[6:7]
	flat_load_b64 v[6:7], v[2:3] offset:16
	s_waitcnt vmcnt(0) lgkmcnt(0)
	ds_store_b64 v0, v[6:7]
.LBB2_27:
	s_or_b32 exec_lo, exec_lo, s1
	flat_load_b64 v[8:9], v[16:17] offset:104
	v_and_b32_e32 v6, 32, v30
	s_mov_b32 s1, exec_lo
                                        ; implicit-def: $vgpr18_vgpr19
	s_delay_alu instid0(VALU_DEP_1)
	v_cmpx_ne_u32_e32 0, v6
	s_cbranch_execz .LBB2_29
; %bb.28:
	flat_load_b64 v[18:19], v[16:17] offset:56
	s_waitcnt vmcnt(0) lgkmcnt(0)
	s_waitcnt_vscnt null, 0x0
	flat_store_b64 v[18:19], v[8:9]
.LBB2_29:
	s_or_b32 exec_lo, exec_lo, s1
	v_and_b32_e32 v20, 4, v30
	v_mov_b32_e32 v6, 0
	v_mov_b32_e32 v7, 0
                                        ; implicit-def: $vgpr55
                                        ; implicit-def: $vgpr22_vgpr23
	s_delay_alu instid0(VALU_DEP_3)
	v_cmp_ne_u32_e32 vcc_lo, 0, v20
                                        ; implicit-def: $vgpr20_vgpr21
	s_and_saveexec_b32 s1, vcc_lo
	s_cbranch_execz .LBB2_34
; %bb.30:
	v_and_b32_e32 v6, 0x800, v30
	s_mov_b32 s2, exec_lo
	s_delay_alu instid0(VALU_DEP_1)
	v_cmpx_eq_u32_e32 0, v6
	s_cbranch_execz .LBB2_33
; %bb.31:
	s_cbranch_execz .LBB2_32
; %bb.5273:
	s_getpc_b64 s[34:35]
.Lpost_getpc10:
	s_add_u32 s34, s34, (.LBB2_4981-.Lpost_getpc10)&4294967295
	s_addc_u32 s35, s35, (.LBB2_4981-.Lpost_getpc10)>>32
	s_setpc_b64 s[34:35]
.LBB2_32:
	ds_store_b64 v0, v[16:17]
.LBB2_33:
	s_or_b32 exec_lo, exec_lo, s2
	flat_load_b64 v[18:19], v[16:17] offset:48
	v_or_b32_e32 v28, 0x100, v30
	s_waitcnt vmcnt(0) lgkmcnt(0)
	flat_load_b64 v[22:23], v[18:19] glc
	s_clause 0x2
	flat_load_b64 v[6:7], v[16:17] offset:96
	flat_load_b32 v55, v[16:17] offset:72
	flat_load_b64 v[20:21], v[16:17] offset:16
	s_waitcnt vmcnt(2) lgkmcnt(2)
	v_cmp_eq_u64_e32 vcc_lo, 0, v[6:7]
	v_cndmask_b32_e32 v30, v28, v30, vcc_lo
.LBB2_34:
	s_or_b32 exec_lo, exec_lo, s1
.LBB2_35:
	s_delay_alu instid0(SALU_CYCLE_1) | instskip(NEXT) | instid1(VALU_DEP_1)
	s_or_b32 exec_lo, exec_lo, s0
	v_and_b32_e32 v28, 24, v30
	s_delay_alu instid0(VALU_DEP_1)
	v_cmp_ne_u32_e32 vcc_lo, 0, v28
                                        ; implicit-def: $vgpr28_vgpr29
	s_and_saveexec_b32 s0, vcc_lo
	s_cbranch_execz .LBB2_45
; %bb.36:
	s_cbranch_execz .LBB2_37
; %bb.5275:
	s_getpc_b64 s[34:35]
.Lpost_getpc11:
	s_add_u32 s34, s34, (.LBB2_4973-.Lpost_getpc11)&4294967295
	s_addc_u32 s35, s35, (.LBB2_4973-.Lpost_getpc11)>>32
	s_setpc_b64 s[34:35]
.LBB2_37:
	ds_load_b64 v[6:7], v0
	s_waitcnt lgkmcnt(1)
	v_ashrrev_i32_e32 v28, 31, v27
	s_mov_b32 s1, exec_lo
	s_waitcnt vmcnt(0)
	s_delay_alu instid0(VALU_DEP_1) | instskip(SKIP_1) | instid1(VALU_DEP_1)
	v_lshlrev_b64 v[8:9], 3, v[27:28]
                                        ; implicit-def: $vgpr28_vgpr29
	s_waitcnt lgkmcnt(0)
	v_add_co_u32 v6, vcc_lo, v6, v8
	s_delay_alu instid0(VALU_DEP_2)
	v_add_co_ci_u32_e32 v7, vcc_lo, v7, v9, vcc_lo
	v_and_b32_e32 v8, 0xffff, v25
	v_or_b32_e32 v25, 0x100, v30
	flat_load_b64 v[6:7], v[6:7]
	s_waitcnt vmcnt(0) lgkmcnt(0)
	v_mad_u64_u32 v[16:17], null, 0xa8, v8, v[6:7]
	flat_load_b128 v[6:9], v[16:17] offset:96
	s_waitcnt vmcnt(0) lgkmcnt(0)
	v_cmp_eq_u64_e32 vcc_lo, 0, v[6:7]
	v_cndmask_b32_e32 v30, v25, v30, vcc_lo
	s_delay_alu instid0(VALU_DEP_1) | instskip(NEXT) | instid1(VALU_DEP_1)
	v_and_b32_e32 v25, 16, v30
	v_cmpx_ne_u32_e32 0, v25
; %bb.38:
	s_clause 0x2
	flat_load_b64 v[28:29], v[16:17] offset:120
	flat_load_b64 v[18:19], v[16:17] offset:48
	;; [unrolled: 1-line block ×3, first 2 shown]
; %bb.39:
	s_or_b32 exec_lo, exec_lo, s1
	v_and_b32_e32 v25, 8, v30
	s_mov_b32 s1, exec_lo
	s_delay_alu instid0(VALU_DEP_1)
	v_cmpx_ne_u32_e32 0, v25
	s_cbranch_execz .LBB2_44
; %bb.40:
	s_waitcnt vmcnt(1) lgkmcnt(1)
	v_and_b32_e32 v18, 0x800, v30
	s_mov_b32 s2, exec_lo
	s_delay_alu instid0(VALU_DEP_1)
	v_cmpx_eq_u32_e32 0, v18
	s_cbranch_execz .LBB2_43
; %bb.41:
	s_cbranch_execz .LBB2_42
; %bb.5277:
	s_getpc_b64 s[34:35]
.Lpost_getpc12:
	s_add_u32 s34, s34, (.LBB2_4998-.Lpost_getpc12)&4294967295
	s_addc_u32 s35, s35, (.LBB2_4998-.Lpost_getpc12)>>32
	s_setpc_b64 s[34:35]
.LBB2_42:
	ds_store_b64 v0, v[16:17]
.LBB2_43:
	s_or_b32 exec_lo, exec_lo, s2
	flat_load_b64 v[18:19], v[16:17] offset:56
	s_waitcnt vmcnt(0) lgkmcnt(0)
	flat_load_b64 v[22:23], v[18:19] glc
	s_clause 0x1
	flat_load_b32 v55, v[16:17] offset:72
	flat_load_b64 v[20:21], v[16:17] offset:16
.LBB2_44:
	s_or_b32 exec_lo, exec_lo, s1
.LBB2_45:
	s_delay_alu instid0(SALU_CYCLE_1) | instskip(SKIP_1) | instid1(VALU_DEP_1)
	s_or_b32 exec_lo, exec_lo, s0
	v_cmp_eq_u32_e64 s0, 0, v0
	s_and_saveexec_b32 s1, s0
	s_cbranch_execz .LBB2_48
; %bb.46:
	s_waitcnt vmcnt(2)
	ds_store_2addr_b64 v0, v[12:13], v[10:11] offset1:1
	s_cbranch_execz .LBB2_47
; %bb.5279:
	s_getpc_b64 s[34:35]
.Lpost_getpc13:
	s_add_u32 s34, s34, (.LBB2_4975-.Lpost_getpc13)&4294967295
	s_addc_u32 s35, s35, (.LBB2_4975-.Lpost_getpc13)>>32
	s_setpc_b64 s[34:35]
.LBB2_47:
	v_mov_b32_e32 v10, 0
	s_delay_alu instid0(VALU_DEP_1)
	v_mov_b32_e32 v11, v10
	ds_store_b64 v0, v[10:11]
	s_waitcnt vmcnt(1)
	ds_store_b64 v0, v[33:34]
.LBB2_48:
	s_or_b32 exec_lo, exec_lo, s1
	s_waitcnt vmcnt(2)
	v_bfe_u32 v10, v24, 1, 30
	s_waitcnt lgkmcnt(0)
	v_dual_mov_b32 v27, 0 :: v_dual_and_b32 v26, 0x3ffffe00, v26
	s_waitcnt vmcnt(0)
	v_and_b32_e32 v54, 0xffff, v37
                                        ; implicit-def: $vgpr24_vgpr25
	s_mov_b32 s1, exec_lo
	v_cmpx_ne_u32_e64 v36, v10
	s_xor_b32 s15, exec_lo, s1
	s_cbranch_execnz .LBB2_49
; %bb.5281:
	s_getpc_b64 s[34:35]
.Lpost_getpc14:
	s_add_u32 s34, s34, (.LBB2_3802-.Lpost_getpc14)&4294967295
	s_addc_u32 s35, s35, (.LBB2_3802-.Lpost_getpc14)>>32
	s_setpc_b64 s[34:35]
.LBB2_49:
	v_cmp_ne_u64_e64 s1, 0, v[4:5]
                                        ; implicit-def: $vgpr24_vgpr25
	s_mov_b32 s2, exec_lo
	v_cmpx_ne_u32_e64 v32, v10
	s_xor_b32 s16, exec_lo, s2
	s_cbranch_execz .LBB2_1931
; %bb.50:
	v_mov_b32_e32 v24, 0
	v_mov_b32_e32 v25, 0
	s_and_saveexec_b32 s17, s1
	s_cbranch_execz .LBB2_1930
; %bb.51:
	v_cmp_ge_i32_e64 s2, v0, v1
	s_cbranch_execz .LBB2_52
; %bb.5283:
	s_getpc_b64 s[34:35]
.Lpost_getpc15:
	s_add_u32 s34, s34, (.LBB2_4996-.Lpost_getpc15)&4294967295
	s_addc_u32 s35, s35, (.LBB2_4996-.Lpost_getpc15)>>32
	s_setpc_b64 s[34:35]
.LBB2_52:
	v_ashrrev_i32_e32 v10, 31, v0
	v_lshrrev_b32_e32 v53, 5, v1
	v_and_b32_e32 v11, 31, v31
	v_lshlrev_b32_e32 v64, 4, v0
	s_ashr_i32 s5, s14, 31
	v_lshrrev_b32_e32 v10, 27, v10
	s_lshr_b32 s5, s5, 24
	v_and_b32_e32 v71, 0xffffffe0, v1
	s_add_i32 s11, s14, s5
	v_cmp_eq_u32_e32 vcc_lo, 32, v1
	v_dual_mov_b32 v33, 0 :: v_dual_add_nc_u32 v10, v0, v10
	v_ashrrev_i32_e32 v52, 31, v55
	v_cmp_ne_u32_e64 s3, 32, v1
	v_cmp_ne_u32_e64 s4, v54, v1
	s_delay_alu instid0(VALU_DEP_4) | instskip(SKIP_3) | instid1(VALU_DEP_3)
	v_dual_mov_b32 v83, 1 :: v_dual_and_b32 v12, 0xffffffe0, v10
	v_ashrrev_i32_e32 v10, 5, v10
	v_ashrrev_i32_e32 v82, 31, v71
	s_ashr_i32 s19, s11, 8
	v_sub_nc_u32_e32 v66, v0, v12
	v_lshl_add_u32 v12, v53, 8, 0xffffff00
	v_sub_nc_u32_e32 v68, 0, v10
	s_mov_b32 s18, 0
	s_xor_b32 s20, vcc_lo, -1
	v_cmp_le_i32_e64 s6, v66, v35
	v_cmp_lt_i32_e64 s7, v66, v35
	v_mov_b32_e32 v34, 0
	v_mov_b32_e32 v35, 0
	s_delay_alu instid0(VALU_DEP_2) | instskip(SKIP_3) | instid1(VALU_DEP_4)
	v_dual_mov_b32 v24, v34 :: v_dual_lshlrev_b32 v65, 9, v53
	v_cmp_eq_u32_e64 s5, 0, v11
	v_ashrrev_i32_e32 v10, 31, v12
	v_ashrrev_i32_e32 v67, 31, v64
	v_add_nc_u32_e32 v11, 0xfffffe00, v65
	v_mov_b32_e32 v25, v35
	s_delay_alu instid0(VALU_DEP_2) | instskip(SKIP_1) | instid1(VALU_DEP_1)
	v_ashrrev_i32_e32 v13, 31, v11
	v_add_co_u32 v69, s10, 0x200, v11
	v_add_co_ci_u32_e64 v70, s10, 0, v13, s10
	v_add_co_u32 v80, s10, 0x100, v12
	s_delay_alu instid0(VALU_DEP_1)
	v_add_co_ci_u32_e64 v81, s10, 0, v10, s10
	v_cmp_eq_u64_e64 s10, 0, v[28:29]
.LBB2_53:                               ; =>This Loop Header: Depth=1
                                        ;     Child Loop BB2_63 Depth 2
                                        ;     Child Loop BB2_93 Depth 2
	;; [unrolled: 1-line block ×10, first 2 shown]
	v_sub_co_u32 v10, vcc_lo, v4, v34
	v_sub_co_ci_u32_e32 v11, vcc_lo, v5, v35, vcc_lo
	v_mov_b32_e32 v12, 0
	s_delay_alu instid0(VALU_DEP_2) | instskip(SKIP_2) | instid1(VALU_DEP_2)
	v_cmp_lt_u64_e32 vcc_lo, v[26:27], v[10:11]
	v_cndmask_b32_e32 v36, v10, v26, vcc_lo
	v_cndmask_b32_e64 v37, v11, 0, vcc_lo
	v_add_nc_u32_e32 v10, 15, v36
	s_delay_alu instid0(VALU_DEP_2) | instskip(NEXT) | instid1(VALU_DEP_2)
	v_cmp_eq_u64_e32 vcc_lo, 0, v[36:37]
	v_and_b32_e32 v10, 0x7ffffff0, v10
	s_or_b32 s21, s2, vcc_lo
	s_delay_alu instid0(SALU_CYCLE_1) | instskip(NEXT) | instid1(VALU_DEP_1)
	s_xor_b32 s11, s21, -1
	v_max_i32_e32 v37, s19, v10
	s_and_saveexec_b32 s22, s11
	s_cbranch_execz .LBB2_1868
; %bb.54:                               ;   in Loop: Header=BB2_53 Depth=1
	s_and_saveexec_b32 s11, s0
	s_cbranch_execz .LBB2_57
; %bb.55:                               ;   in Loop: Header=BB2_53 Depth=1
	s_cbranch_execz .LBB2_56
; %bb.5285:
	s_getpc_b64 s[34:35]
.Lpost_getpc16:
	s_add_u32 s34, s34, (.LBB2_5024-.Lpost_getpc16)&4294967295
	s_addc_u32 s35, s35, (.LBB2_5024-.Lpost_getpc16)>>32
	s_setpc_b64 s[34:35]
.LBB2_56:                               ;   in Loop: Header=BB2_53 Depth=1
	ds_load_b64 v[10:11], v0
	v_mov_b32_e32 v32, v33
	s_waitcnt lgkmcnt(0)
	v_add_co_u32 v10, vcc_lo, v10, v14
	v_add_co_ci_u32_e32 v11, vcc_lo, v11, v15, vcc_lo
	s_delay_alu instid0(VALU_DEP_2) | instskip(NEXT) | instid1(VALU_DEP_2)
	v_add_co_u32 v10, vcc_lo, v10, v34
	v_add_co_ci_u32_e32 v11, vcc_lo, v11, v35, vcc_lo
	ds_store_b64 v0, v[10:11]
	ds_store_b64 v0, v[32:33]
.LBB2_57:                               ;   in Loop: Header=BB2_53 Depth=1
	s_or_b32 exec_lo, exec_lo, s11
	v_and_b32_e32 v10, 12, v30
	s_mov_b32 s12, -1
	s_mov_b32 s11, exec_lo
	s_delay_alu instid0(VALU_DEP_1)
	v_cmpx_ne_u32_e32 0, v10
	s_cbranch_execz .LBB2_71
; %bb.58:                               ;   in Loop: Header=BB2_53 Depth=1
	v_dual_mov_b32 v13, 1 :: v_dual_and_b32 v12, 8, v30
	s_mov_b32 s12, exec_lo
	s_delay_alu instid0(VALU_DEP_1) | instskip(SKIP_3) | instid1(VALU_DEP_1)
	v_add_co_u32 v38, vcc_lo, v22, v12
	v_add_co_ci_u32_e32 v39, vcc_lo, 0, v23, vcc_lo
	v_add_co_u32 v10, vcc_lo, v8, 1
	v_add_co_ci_u32_e32 v11, vcc_lo, 0, v9, vcc_lo
	v_cmpx_lt_u64_e64 v[38:39], v[10:11]
	s_cbranch_execz .LBB2_70
; %bb.59:                               ;   in Loop: Header=BB2_53 Depth=1
	v_mov_b32_e32 v13, 0
	s_mov_b32 s23, 0
                                        ; implicit-def: $sgpr24
	s_branch .LBB2_63
.LBB2_60:                               ;   in Loop: Header=BB2_63 Depth=2
	s_or_b32 exec_lo, exec_lo, s28
	v_mov_b32_e32 v32, 0
	s_or_not1_b32 s27, s27, exec_lo
.LBB2_61:                               ;   in Loop: Header=BB2_63 Depth=2
	s_or_b32 exec_lo, exec_lo, s26
	s_delay_alu instid0(VALU_DEP_1) | instskip(SKIP_2) | instid1(SALU_CYCLE_1)
	v_mov_b32_e32 v13, v32
	s_and_not1_b32 s24, s24, exec_lo
	s_and_b32 s26, s27, exec_lo
	s_or_b32 s24, s24, s26
.LBB2_62:                               ;   in Loop: Header=BB2_63 Depth=2
	s_or_b32 exec_lo, exec_lo, s25
	s_waitcnt vmcnt(0) lgkmcnt(0)
	v_add_co_u32 v38, vcc_lo, v22, v12
	v_add_co_ci_u32_e32 v39, vcc_lo, 0, v23, vcc_lo
	s_xor_b32 s25, s24, -1
	s_delay_alu instid0(VALU_DEP_1) | instskip(SKIP_1) | instid1(SALU_CYCLE_1)
	v_cmp_ge_u64_e32 vcc_lo, v[38:39], v[10:11]
	s_or_b32 s25, s25, vcc_lo
	s_and_b32 s25, exec_lo, s25
	s_delay_alu instid0(SALU_CYCLE_1) | instskip(NEXT) | instid1(SALU_CYCLE_1)
	s_or_b32 s23, s25, s23
	s_and_not1_b32 exec_lo, exec_lo, s23
	s_cbranch_execz .LBB2_69
.LBB2_63:                               ;   Parent Loop BB2_53 Depth=1
                                        ; =>  This Inner Loop Header: Depth=2
	s_sleep 1
	flat_load_b64 v[22:23], v[18:19] glc
	v_and_b32_e32 v32, 64, v30
	s_and_not1_b32 s24, s24, exec_lo
	s_mov_b32 s25, exec_lo
	s_delay_alu instid0(VALU_DEP_1)
	v_cmpx_eq_u32_e32 0, v32
	s_cbranch_execz .LBB2_62
; %bb.64:                               ;   in Loop: Header=BB2_63 Depth=2
	v_add_nc_u32_e32 v32, 1, v13
	s_mov_b32 s27, -1
	s_mov_b32 s26, exec_lo
	v_cmpx_lt_i32_e32 0x270e, v13
	s_cbranch_execz .LBB2_61
; %bb.65:                               ;   in Loop: Header=BB2_63 Depth=2
	s_cbranch_execz .LBB2_66
; %bb.5287:
	s_getpc_b64 s[34:35]
.Lpost_getpc17:
	s_add_u32 s34, s34, (.LBB2_5046-.Lpost_getpc17)&4294967295
	s_addc_u32 s35, s35, (.LBB2_5046-.Lpost_getpc17)>>32
	s_setpc_b64 s[34:35]
.LBB2_66:                               ;   in Loop: Header=BB2_63 Depth=2
	ds_load_b64 v[38:39], v0
	s_mov_b32 s28, exec_lo
	s_waitcnt vmcnt(0) lgkmcnt(0)
	s_waitcnt_vscnt null, 0x0
	flat_load_b32 v13, v[38:39] glc
	s_waitcnt vmcnt(0) lgkmcnt(0)
	buffer_gl1_inv
	buffer_gl0_inv
	v_cmpx_ne_u32_e32 0, v13
	s_cbranch_execz .LBB2_60
; %bb.67:                               ;   in Loop: Header=BB2_63 Depth=2
	ds_store_b32 v0, v13
	s_cbranch_execz .LBB2_68
; %bb.5289:
	s_getpc_b64 s[34:35]
.Lpost_getpc18:
	s_add_u32 s34, s34, (.LBB2_5079-.Lpost_getpc18)&4294967295
	s_addc_u32 s35, s35, (.LBB2_5079-.Lpost_getpc18)>>32
	s_setpc_b64 s[34:35]
.LBB2_68:                               ;   in Loop: Header=BB2_63 Depth=2
	v_or_b32_e32 v30, 64, v30
	s_xor_b32 s27, exec_lo, -1
	s_branch .LBB2_60
.LBB2_69:                               ;   in Loop: Header=BB2_53 Depth=1
	s_or_b32 exec_lo, exec_lo, s23
	v_and_b32_e32 v13, 12, v30
.LBB2_70:                               ;   in Loop: Header=BB2_53 Depth=1
	s_or_b32 exec_lo, exec_lo, s12
	s_delay_alu instid0(VALU_DEP_1)
	v_cmp_eq_u32_e32 vcc_lo, 0, v13
	;;#ASMSTART
	s_wakeup
	;;#ASMEND
	s_or_not1_b32 s12, vcc_lo, exec_lo
.LBB2_71:                               ;   in Loop: Header=BB2_53 Depth=1
	s_or_b32 exec_lo, exec_lo, s11
	v_min_u32_e32 v37, v37, v36
	s_xor_b32 s11, s12, -1
	s_delay_alu instid0(SALU_CYCLE_1)
	s_and_saveexec_b32 s12, s11
	s_cbranch_execz .LBB2_84
; %bb.72:                               ;   in Loop: Header=BB2_53 Depth=1
	v_and_b32_e32 v10, 0x108, v30
	v_and_b32_e32 v32, 7, v8
	s_mov_b32 s11, exec_lo
	s_delay_alu instid0(VALU_DEP_2) | instskip(SKIP_1) | instid1(SALU_CYCLE_1)
	v_cmpx_ne_u32_e32 0x108, v10
	s_xor_b32 s11, exec_lo, s11
	s_and_not1_saveexec_b32 s11, s11
	s_cbranch_execz .LBB2_74
; %bb.73:                               ;   in Loop: Header=BB2_53 Depth=1
	v_mad_u64_u32 v[10:11], null, v32, 24, v[6:7]
	v_mov_b32_e32 v38, v33
	flat_store_b64 v[10:11], v[37:38] offset:8
.LBB2_74:                               ;   in Loop: Header=BB2_53 Depth=1
	s_or_b32 exec_lo, exec_lo, s11
	v_and_b32_e32 v10, 0x100, v30
	s_mov_b32 s11, -1
	s_delay_alu instid0(VALU_DEP_1)
	v_cmp_ne_u32_e32 vcc_lo, 0, v10
                                        ; implicit-def: $vgpr10_vgpr11
	s_and_saveexec_b32 s23, vcc_lo
	s_cbranch_execnz .LBB2_77
; %bb.75:                               ;   in Loop: Header=BB2_53 Depth=1
	s_or_b32 exec_lo, exec_lo, s23
	s_and_saveexec_b32 s23, s11
	s_cbranch_execnz .LBB2_80
.LBB2_76:                               ;   in Loop: Header=BB2_53 Depth=1
	s_or_b32 exec_lo, exec_lo, s23
	s_cbranch_execz .LBB2_81
; %bb.5291:
	s_getpc_b64 s[34:35]
.Lpost_getpc19:
	s_add_u32 s34, s34, (.LBB2_5040-.Lpost_getpc19)&4294967295
	s_addc_u32 s35, s35, (.LBB2_5040-.Lpost_getpc19)>>32
	s_setpc_b64 s[34:35]
.LBB2_77:                               ;   in Loop: Header=BB2_53 Depth=1
	v_mad_u64_u32 v[12:13], null, v32, 24, v[6:7]
	s_delay_alu instid0(VALU_DEP_1) | instskip(NEXT) | instid1(VALU_DEP_1)
	v_mov_b32_e32 v10, v13
	v_mad_u64_u32 v[38:39], null, v33, 24, v[10:11]
	s_delay_alu instid0(VALU_DEP_1) | instskip(SKIP_4) | instid1(VALU_DEP_1)
	v_mov_b32_e32 v13, v38
	flat_load_b32 v10, v[12:13]
	s_waitcnt vmcnt(0) lgkmcnt(0)
	v_cmp_ne_u32_e32 vcc_lo, 1, v10
	v_cmp_eq_u32_e64 s11, 1, v10
                                        ; implicit-def: $vgpr10_vgpr11
	s_and_saveexec_b32 s24, s11
	s_cbranch_execz .LBB2_79
; %bb.78:                               ;   in Loop: Header=BB2_53 Depth=1
	flat_load_b32 v10, v[12:13] offset:4 glc
	s_waitcnt vmcnt(0) lgkmcnt(0)
	v_ashrrev_i32_e32 v11, 31, v10
.LBB2_79:                               ;   in Loop: Header=BB2_53 Depth=1
	s_or_b32 exec_lo, exec_lo, s24
	s_delay_alu instid0(SALU_CYCLE_1)
	s_or_not1_b32 s11, vcc_lo, exec_lo
	s_or_b32 exec_lo, exec_lo, s23
	s_and_saveexec_b32 s23, s11
	s_cbranch_execz .LBB2_76
.LBB2_80:                               ;   in Loop: Header=BB2_53 Depth=1
	v_mul_lo_u32 v12, v33, v55
	v_mul_lo_u32 v13, v32, v52
	v_mad_u64_u32 v[10:11], null, v32, v55, 0
	s_delay_alu instid0(VALU_DEP_1)
	v_add3_u32 v11, v11, v13, v12
	s_or_b32 exec_lo, exec_lo, s23
	s_cbranch_execz .LBB2_81
; %bb.5293:
	s_getpc_b64 s[34:35]
.Lpost_getpc20:
	s_add_u32 s34, s34, (.LBB2_5040-.Lpost_getpc20)&4294967295
	s_addc_u32 s35, s35, (.LBB2_5040-.Lpost_getpc20)>>32
	s_setpc_b64 s[34:35]
.LBB2_81:                               ;   in Loop: Header=BB2_53 Depth=1
	s_delay_alu instid0(VALU_DEP_2)
	v_add_co_u32 v10, vcc_lo, v20, v10
	v_and_b32_e32 v12, 0x2000, v30
	v_add_co_ci_u32_e32 v11, vcc_lo, v21, v11, vcc_lo
	s_mov_b32 s11, exec_lo
	ds_store_b64 v0, v[10:11]
	v_cmpx_ne_u32_e32 0, v12
	s_cbranch_execz .LBB2_83
; %bb.82:                               ;   in Loop: Header=BB2_53 Depth=1
	ds_load_b64 v[10:11], v0 offset:584
	s_waitcnt lgkmcnt(0)
	v_add_co_u32 v10, vcc_lo, v10, 1
	v_add_co_ci_u32_e32 v11, vcc_lo, 0, v11, vcc_lo
	ds_store_b64 v0, v[10:11] offset:584
.LBB2_83:                               ;   in Loop: Header=BB2_53 Depth=1
	s_or_b32 exec_lo, exec_lo, s11
	v_add_co_u32 v8, vcc_lo, v8, 1
	v_add_co_ci_u32_e32 v9, vcc_lo, 0, v9, vcc_lo
.LBB2_84:                               ;   in Loop: Header=BB2_53 Depth=1
	s_or_b32 exec_lo, exec_lo, s12
	s_and_saveexec_b32 s11, s3
	s_cbranch_execz .LBB2_106
; %bb.85:                               ;   in Loop: Header=BB2_53 Depth=1
	s_and_saveexec_b32 s12, s4
	s_delay_alu instid0(SALU_CYCLE_1)
	s_xor_b32 s12, exec_lo, s12
	s_cbranch_execz .LBB2_103
; %bb.86:                               ;   in Loop: Header=BB2_53 Depth=1
	s_and_saveexec_b32 s23, s5
	s_cbranch_execz .LBB2_102
; %bb.87:                               ;   in Loop: Header=BB2_53 Depth=1
	s_mov_b32 s25, exec_lo
	s_mov_b32 s24, exec_lo
	v_mbcnt_lo_u32_b32 v10, s25, 0
	s_waitcnt lgkmcnt(0)
	s_waitcnt_vscnt null, 0x0
	buffer_gl1_inv
	buffer_gl0_inv
	v_cmpx_eq_u32_e32 0, v10
	s_cbranch_execz .LBB2_89
; %bb.88:                               ;   in Loop: Header=BB2_53 Depth=1
	s_bcnt1_i32_b32 s25, s25
	s_delay_alu instid0(SALU_CYCLE_1)
	v_mov_b32_e32 v32, s25
	ds_add_u64 v0, v[32:33]
	s_cbranch_execz .LBB2_89
; %bb.5295:
	s_getpc_b64 s[34:35]
.Lpost_getpc21:
	s_add_u32 s34, s34, (.LBB2_5105-.Lpost_getpc21)&4294967295
	s_addc_u32 s35, s35, (.LBB2_5105-.Lpost_getpc21)>>32
	s_setpc_b64 s[34:35]
.LBB2_89:                               ;   in Loop: Header=BB2_53 Depth=1
	s_or_b32 exec_lo, exec_lo, s24
	s_cbranch_execz .LBB2_90
; %bb.5297:
	s_getpc_b64 s[34:35]
.Lpost_getpc22:
	s_add_u32 s34, s34, (.LBB2_5093-.Lpost_getpc22)&4294967295
	s_addc_u32 s35, s35, (.LBB2_5093-.Lpost_getpc22)>>32
	s_setpc_b64 s[34:35]
.LBB2_90:                               ;   in Loop: Header=BB2_53 Depth=1
	ds_load_b64 v[10:11], v0
	v_add_co_u32 v24, vcc_lo, v24, v53
	v_add_co_ci_u32_e32 v25, vcc_lo, 0, v25, vcc_lo
	s_mov_b32 s24, exec_lo
	s_waitcnt lgkmcnt(0)
	s_delay_alu instid0(VALU_DEP_1)
	v_cmpx_lt_u64_e64 v[10:11], v[24:25]
	s_cbranch_execz .LBB2_101
; %bb.91:                               ;   in Loop: Header=BB2_53 Depth=1
	s_mov_b32 s25, 0
	s_mov_b32 s28, 0
                                        ; implicit-def: $sgpr26
                                        ; implicit-def: $sgpr27
	s_branch .LBB2_93
.LBB2_92:                               ;   in Loop: Header=BB2_93 Depth=2
	s_or_b32 exec_lo, exec_lo, vcc_hi
	s_delay_alu instid0(SALU_CYCLE_1) | instskip(NEXT) | instid1(SALU_CYCLE_1)
	s_and_b32 s29, exec_lo, vcc_lo
	s_or_b32 s25, s29, s25
	s_and_not1_b32 s26, s26, exec_lo
	s_and_b32 s29, s27, exec_lo
	s_delay_alu instid0(SALU_CYCLE_1)
	s_or_b32 s26, s26, s29
	s_and_not1_b32 exec_lo, exec_lo, s25
	s_cbranch_execz .LBB2_99
.LBB2_93:                               ;   Parent Loop BB2_53 Depth=1
                                        ; =>  This Inner Loop Header: Depth=2
	s_add_i32 s28, s28, 1
                                        ; implicit-def: $vcc_hi
	s_delay_alu instid0(SALU_CYCLE_1) | instskip(SKIP_1) | instid1(SALU_CYCLE_1)
	s_cmpk_lg_i32 s28, 0x2710
	s_cselect_b32 s29, -1, 0
	s_and_b32 vcc_lo, exec_lo, s29
	s_cbranch_vccz .LBB2_97
.LBB2_94:                               ;   in Loop: Header=BB2_93 Depth=2
	s_and_not1_b32 s27, s27, exec_lo
	s_and_b32 vcc_hi, vcc_hi, exec_lo
	s_mov_b32 vcc_lo, -1
	s_or_b32 s27, s27, vcc_hi
	s_and_saveexec_b32 vcc_hi, s29
	s_cbranch_execz .LBB2_92
; %bb.95:                               ;   in Loop: Header=BB2_93 Depth=2
	s_sleep 1
	s_cbranch_execz .LBB2_96
; %bb.5299:
	s_getpc_b64 s[34:35]
.Lpost_getpc23:
	s_add_u32 s34, s34, (.LBB2_5139-.Lpost_getpc23)&4294967295
	s_addc_u32 s35, s35, (.LBB2_5139-.Lpost_getpc23)>>32
	s_setpc_b64 s[34:35]
.LBB2_96:                               ;   in Loop: Header=BB2_93 Depth=2
	ds_load_b64 v[10:11], v0
	s_and_not1_b32 s27, s27, exec_lo
	s_waitcnt lgkmcnt(0)
	v_cmp_ge_u64_e32 vcc_lo, v[10:11], v[24:25]
	s_or_not1_b32 vcc_lo, vcc_lo, exec_lo
	s_branch .LBB2_92
.LBB2_97:                               ;   in Loop: Header=BB2_93 Depth=2
	s_cbranch_execz .LBB2_98
; %bb.5301:
	s_getpc_b64 s[34:35]
.Lpost_getpc24:
	s_add_u32 s34, s34, (.LBB2_5157-.Lpost_getpc24)&4294967295
	s_addc_u32 s35, s35, (.LBB2_5157-.Lpost_getpc24)>>32
	s_setpc_b64 s[34:35]
.LBB2_98:                               ;   in Loop: Header=BB2_93 Depth=2
	ds_load_b64 v[10:11], v0
	s_and_not1_b32 s29, s29, exec_lo
	s_mov_b32 s28, 0
	s_waitcnt lgkmcnt(0)
	flat_load_b32 v10, v[10:11] glc
	s_waitcnt vmcnt(0) lgkmcnt(0)
	buffer_gl1_inv
	buffer_gl0_inv
	v_cmp_eq_u32_e32 vcc_lo, 0, v10
	s_mov_b32 vcc_hi, -1
	s_and_b32 vcc_lo, vcc_lo, exec_lo
	s_delay_alu instid0(SALU_CYCLE_1)
	s_or_b32 s29, s29, vcc_lo
	s_branch .LBB2_94
.LBB2_99:                               ;   in Loop: Header=BB2_53 Depth=1
	s_or_b32 exec_lo, exec_lo, s25
	s_and_saveexec_b32 s25, s26
	s_delay_alu instid0(SALU_CYCLE_1)
	s_xor_b32 s25, exec_lo, s25
	s_cbranch_execz .LBB2_101
; %bb.100:                              ;   in Loop: Header=BB2_53 Depth=1
	ds_store_b32 v0, v83
	s_cbranch_execz .LBB2_101
; %bb.5303:
	s_getpc_b64 s[34:35]
.Lpost_getpc25:
	s_add_u32 s34, s34, (.LBB2_5235-.Lpost_getpc25)&4294967295
	s_addc_u32 s35, s35, (.LBB2_5235-.Lpost_getpc25)>>32
	s_setpc_b64 s[34:35]
.LBB2_101:                              ;   in Loop: Header=BB2_53 Depth=1
	s_or_b32 exec_lo, exec_lo, s24
	;;#ASMSTART
	s_wakeup
	;;#ASMEND
.LBB2_102:                              ;   in Loop: Header=BB2_53 Depth=1
	s_or_b32 exec_lo, exec_lo, s23
.LBB2_103:                              ;   in Loop: Header=BB2_53 Depth=1
	s_and_not1_saveexec_b32 s12, s12
	s_cbranch_execz .LBB2_105
; %bb.104:                              ;   in Loop: Header=BB2_53 Depth=1
	s_waitcnt lgkmcnt(0)
	s_waitcnt_vscnt null, 0x0
	buffer_gl1_inv
	buffer_gl0_inv
	s_barrier
.LBB2_105:                              ;   in Loop: Header=BB2_53 Depth=1
	s_or_b32 exec_lo, exec_lo, s12
.LBB2_106:                              ;   in Loop: Header=BB2_53 Depth=1
	s_delay_alu instid0(SALU_CYCLE_1)
	s_or_b32 exec_lo, exec_lo, s11
	s_cbranch_execz .LBB2_107
; %bb.5305:
	s_getpc_b64 s[34:35]
.Lpost_getpc26:
	s_add_u32 s34, s34, (.LBB2_5030-.Lpost_getpc26)&4294967295
	s_addc_u32 s35, s35, (.LBB2_5030-.Lpost_getpc26)>>32
	s_setpc_b64 s[34:35]
.LBB2_107:                              ;   in Loop: Header=BB2_53 Depth=1
	ds_load_b32 v10, v0
	v_and_b32_e32 v11, 0x4000, v30
	s_delay_alu instid0(VALU_DEP_1) | instskip(SKIP_1) | instid1(SALU_CYCLE_1)
	v_cmp_ne_u32_e32 vcc_lo, 0, v11
	s_and_b32 s12, s20, vcc_lo
	s_and_saveexec_b32 s11, s12
	s_cbranch_execz .LBB2_129
; %bb.108:                              ;   in Loop: Header=BB2_53 Depth=1
	s_and_saveexec_b32 s12, s4
	s_delay_alu instid0(SALU_CYCLE_1)
	s_xor_b32 s12, exec_lo, s12
	s_cbranch_execz .LBB2_126
; %bb.109:                              ;   in Loop: Header=BB2_53 Depth=1
	s_and_saveexec_b32 s23, s5
	s_cbranch_execz .LBB2_125
; %bb.110:                              ;   in Loop: Header=BB2_53 Depth=1
	s_mov_b32 s25, exec_lo
	s_mov_b32 s24, exec_lo
	v_mbcnt_lo_u32_b32 v11, s25, 0
	s_waitcnt lgkmcnt(0)
	s_waitcnt_vscnt null, 0x0
	buffer_gl1_inv
	buffer_gl0_inv
	v_cmpx_eq_u32_e32 0, v11
	s_cbranch_execz .LBB2_112
; %bb.111:                              ;   in Loop: Header=BB2_53 Depth=1
	s_bcnt1_i32_b32 s25, s25
	s_delay_alu instid0(SALU_CYCLE_1)
	v_mov_b32_e32 v32, s25
	ds_add_u64 v0, v[32:33]
	s_cbranch_execz .LBB2_112
; %bb.5307:
	s_getpc_b64 s[34:35]
.Lpost_getpc27:
	s_add_u32 s34, s34, (.LBB2_5135-.Lpost_getpc27)&4294967295
	s_addc_u32 s35, s35, (.LBB2_5135-.Lpost_getpc27)>>32
	s_setpc_b64 s[34:35]
.LBB2_112:                              ;   in Loop: Header=BB2_53 Depth=1
	s_or_b32 exec_lo, exec_lo, s24
	s_cbranch_execz .LBB2_113
; %bb.5309:
	s_getpc_b64 s[34:35]
.Lpost_getpc28:
	s_add_u32 s34, s34, (.LBB2_5123-.Lpost_getpc28)&4294967295
	s_addc_u32 s35, s35, (.LBB2_5123-.Lpost_getpc28)>>32
	s_setpc_b64 s[34:35]
.LBB2_113:                              ;   in Loop: Header=BB2_53 Depth=1
	ds_load_b64 v[11:12], v0
	v_add_co_u32 v24, vcc_lo, v24, v53
	v_add_co_ci_u32_e32 v25, vcc_lo, 0, v25, vcc_lo
	s_mov_b32 s24, exec_lo
	s_waitcnt lgkmcnt(0)
	s_delay_alu instid0(VALU_DEP_1)
	v_cmpx_lt_u64_e64 v[11:12], v[24:25]
	s_cbranch_execz .LBB2_124
; %bb.114:                              ;   in Loop: Header=BB2_53 Depth=1
	s_mov_b32 s25, 0
	s_mov_b32 s28, 0
                                        ; implicit-def: $sgpr26
                                        ; implicit-def: $sgpr27
	s_branch .LBB2_116
.LBB2_115:                              ;   in Loop: Header=BB2_116 Depth=2
	s_or_b32 exec_lo, exec_lo, vcc_hi
	s_delay_alu instid0(SALU_CYCLE_1) | instskip(NEXT) | instid1(SALU_CYCLE_1)
	s_and_b32 s29, exec_lo, vcc_lo
	s_or_b32 s25, s29, s25
	s_and_not1_b32 s26, s26, exec_lo
	s_and_b32 s29, s27, exec_lo
	s_delay_alu instid0(SALU_CYCLE_1)
	s_or_b32 s26, s26, s29
	s_and_not1_b32 exec_lo, exec_lo, s25
	s_cbranch_execz .LBB2_122
.LBB2_116:                              ;   Parent Loop BB2_53 Depth=1
                                        ; =>  This Inner Loop Header: Depth=2
	s_add_i32 s28, s28, 1
                                        ; implicit-def: $vcc_hi
	s_delay_alu instid0(SALU_CYCLE_1) | instskip(SKIP_1) | instid1(SALU_CYCLE_1)
	s_cmpk_lg_i32 s28, 0x2710
	s_cselect_b32 s29, -1, 0
	s_and_b32 vcc_lo, exec_lo, s29
	s_cbranch_vccz .LBB2_120
.LBB2_117:                              ;   in Loop: Header=BB2_116 Depth=2
	s_and_not1_b32 s27, s27, exec_lo
	s_and_b32 vcc_hi, vcc_hi, exec_lo
	s_mov_b32 vcc_lo, -1
	s_or_b32 s27, s27, vcc_hi
	s_and_saveexec_b32 vcc_hi, s29
	s_cbranch_execz .LBB2_115
; %bb.118:                              ;   in Loop: Header=BB2_116 Depth=2
	s_sleep 1
	s_cbranch_execz .LBB2_119
; %bb.5311:
	s_getpc_b64 s[34:35]
.Lpost_getpc29:
	s_add_u32 s34, s34, (.LBB2_5193-.Lpost_getpc29)&4294967295
	s_addc_u32 s35, s35, (.LBB2_5193-.Lpost_getpc29)>>32
	s_setpc_b64 s[34:35]
.LBB2_119:                              ;   in Loop: Header=BB2_116 Depth=2
	ds_load_b64 v[11:12], v0
	s_and_not1_b32 s27, s27, exec_lo
	s_waitcnt lgkmcnt(0)
	v_cmp_ge_u64_e32 vcc_lo, v[11:12], v[24:25]
	s_or_not1_b32 vcc_lo, vcc_lo, exec_lo
	s_branch .LBB2_115
.LBB2_120:                              ;   in Loop: Header=BB2_116 Depth=2
	s_cbranch_execz .LBB2_121
; %bb.5313:
	s_getpc_b64 s[34:35]
.Lpost_getpc30:
	s_add_u32 s34, s34, (.LBB2_5201-.Lpost_getpc30)&4294967295
	s_addc_u32 s35, s35, (.LBB2_5201-.Lpost_getpc30)>>32
	s_setpc_b64 s[34:35]
.LBB2_121:                              ;   in Loop: Header=BB2_116 Depth=2
	ds_load_b64 v[11:12], v0
	s_and_not1_b32 s29, s29, exec_lo
	s_mov_b32 s28, 0
	s_waitcnt lgkmcnt(0)
	flat_load_b32 v11, v[11:12] glc
	s_waitcnt vmcnt(0) lgkmcnt(0)
	buffer_gl1_inv
	buffer_gl0_inv
	v_cmp_eq_u32_e32 vcc_lo, 0, v11
	s_mov_b32 vcc_hi, -1
	s_and_b32 vcc_lo, vcc_lo, exec_lo
	s_delay_alu instid0(SALU_CYCLE_1)
	s_or_b32 s29, s29, vcc_lo
	s_branch .LBB2_117
.LBB2_122:                              ;   in Loop: Header=BB2_53 Depth=1
	s_or_b32 exec_lo, exec_lo, s25
	s_and_saveexec_b32 s25, s26
	s_delay_alu instid0(SALU_CYCLE_1)
	s_xor_b32 s25, exec_lo, s25
	s_cbranch_execz .LBB2_124
; %bb.123:                              ;   in Loop: Header=BB2_53 Depth=1
	ds_store_b32 v0, v83
	s_cbranch_execz .LBB2_124
; %bb.5315:
	s_getpc_b64 s[34:35]
.Lpost_getpc31:
	s_add_u32 s34, s34, (.LBB2_5245-.Lpost_getpc31)&4294967295
	s_addc_u32 s35, s35, (.LBB2_5245-.Lpost_getpc31)>>32
	s_setpc_b64 s[34:35]
.LBB2_124:                              ;   in Loop: Header=BB2_53 Depth=1
	s_or_b32 exec_lo, exec_lo, s24
	;;#ASMSTART
	s_wakeup
	;;#ASMEND
.LBB2_125:                              ;   in Loop: Header=BB2_53 Depth=1
	s_or_b32 exec_lo, exec_lo, s23
.LBB2_126:                              ;   in Loop: Header=BB2_53 Depth=1
	s_and_not1_saveexec_b32 s12, s12
	s_cbranch_execz .LBB2_128
; %bb.127:                              ;   in Loop: Header=BB2_53 Depth=1
	s_waitcnt lgkmcnt(0)
	s_waitcnt_vscnt null, 0x0
	buffer_gl1_inv
	buffer_gl0_inv
	s_barrier
.LBB2_128:                              ;   in Loop: Header=BB2_53 Depth=1
	s_or_b32 exec_lo, exec_lo, s12
.LBB2_129:                              ;   in Loop: Header=BB2_53 Depth=1
	s_delay_alu instid0(SALU_CYCLE_1)
	s_or_b32 exec_lo, exec_lo, s11
	s_cbranch_execz .LBB2_130
; %bb.5317:
	s_getpc_b64 s[34:35]
.Lpost_getpc32:
	s_add_u32 s34, s34, (.LBB2_5065-.Lpost_getpc32)&4294967295
	s_addc_u32 s35, s35, (.LBB2_5065-.Lpost_getpc32)>>32
	s_setpc_b64 s[34:35]
.LBB2_130:                              ;   in Loop: Header=BB2_53 Depth=1
	ds_load_b64 v[11:12], v0
	s_waitcnt lgkmcnt(0)
	v_cmp_eq_u64_e32 vcc_lo, 0, v[11:12]
	s_or_b32 s11, vcc_lo, vcc_lo
	s_delay_alu instid0(SALU_CYCLE_1)
	s_and_b32 vcc_lo, exec_lo, s11
	s_mov_b32 s11, 0
	s_cbranch_vccnz .LBB2_1839
; %bb.131:                              ;   in Loop: Header=BB2_53 Depth=1
	s_mov_b32 s11, -1
	s_and_saveexec_b32 s12, s6
	s_cbranch_execz .LBB2_133
; %bb.132:                              ;   in Loop: Header=BB2_53 Depth=1
	ds_load_b32 v11, v0 offset:720
	s_waitcnt lgkmcnt(0)
	v_and_b32_e32 v11, 15, v11
	s_delay_alu instid0(VALU_DEP_1)
	v_cmp_eq_u32_e32 vcc_lo, 0, v11
	s_or_not1_b32 s11, vcc_lo, exec_lo
.LBB2_133:                              ;   in Loop: Header=BB2_53 Depth=1
	s_or_b32 exec_lo, exec_lo, s12
	s_and_saveexec_b32 s12, s7
	s_cbranch_execz .LBB2_135
; %bb.134:                              ;   in Loop: Header=BB2_53 Depth=1
	ds_load_b32 v11, v0 offset:784
	s_waitcnt lgkmcnt(0)
	v_and_b32_e32 v11, 15, v11
	s_delay_alu instid0(VALU_DEP_1) | instskip(SKIP_3) | instid1(SALU_CYCLE_1)
	v_cmp_eq_u32_e32 vcc_lo, 0, v11
	s_and_b32 s23, s11, vcc_lo
	s_and_not1_b32 s11, s11, exec_lo
	s_and_b32 s23, s23, exec_lo
	s_or_b32 s11, s11, s23
.LBB2_135:                              ;   in Loop: Header=BB2_53 Depth=1
	s_or_b32 exec_lo, exec_lo, s12
	v_cmp_eq_u32_e32 vcc_lo, 0, v10
	s_xor_b32 s11, s11, -1
	v_mov_b32_e32 v50, v0
	v_cndmask_b32_e64 v11, 0, 1, s11
	;;#ASMSTART
	;;#ASMEND
	v_cndmask_b32_e32 v32, 0, v37, vcc_lo
	s_delay_alu instid0(VALU_DEP_2) | instskip(SKIP_2) | instid1(VALU_DEP_3)
	v_cmp_ne_u32_e32 vcc_lo, 0, v11
	v_mov_b32_e32 v84, 0
	s_mov_b32 s23, -1
	v_mov_b32_e32 v85, v32
	s_cbranch_vccnz .LBB2_1447
; %bb.136:                              ;   in Loop: Header=BB2_53 Depth=1
	v_and_b32_e32 v86, 0x1ff, v32
	v_lshrrev_b32_e32 v10, 9, v32
	v_sub_nc_u32_e32 v84, v32, v64
	s_mov_b32 s23, exec_lo
	s_delay_alu instid0(VALU_DEP_3) | instskip(NEXT) | instid1(VALU_DEP_1)
	v_cmp_lt_u32_e64 s11, 15, v86
	v_add_co_ci_u32_e64 v87, vcc_lo, v10, v68, s11
	s_delay_alu instid0(VALU_DEP_3)
	v_cmpx_lt_i32_e32 15, v84
	s_cbranch_execz .LBB2_790
; %bb.137:                              ;   in Loop: Header=BB2_53 Depth=1
	s_cbranch_execz .LBB2_138
; %bb.5319:
	s_getpc_b64 s[34:35]
.Lpost_getpc33:
	s_add_u32 s34, s34, (.LBB2_5161-.Lpost_getpc33)&4294967295
	s_addc_u32 s35, s35, (.LBB2_5161-.Lpost_getpc33)>>32
	s_setpc_b64 s[34:35]
.LBB2_138:                              ;   in Loop: Header=BB2_53 Depth=1
	ds_load_b64 v[96:97], v0
	ds_load_b128 v[10:13], v0
	s_waitcnt lgkmcnt(1)
	v_readfirstlane_b32 s12, v96
	s_waitcnt lgkmcnt(0)
	v_add_co_u32 v38, vcc_lo, v10, v64
	v_add_co_ci_u32_e32 v39, vcc_lo, v11, v67, vcc_lo
	s_delay_alu instid0(VALU_DEP_3)
	s_and_b32 s24, s12, 7
	s_bfe_u32 s27, s12, 0x40003
	s_clz_i32_u32 s25, s24
	v_add_co_u32 v48, vcc_lo, v12, v64
	s_min_u32 s25, s25, 32
	v_add_co_ci_u32_e32 v49, vcc_lo, v13, v67, vcc_lo
	s_sub_i32 s26, s25, 28
	s_sub_i32 s25, 29, s25
	s_lshl_b32 s26, s12, s26
	v_add_co_u32 v50, vcc_lo, v96, v64
	s_and_b32 s26, s26, 7
	s_cmp_eq_u32 s27, 0
	v_add_co_ci_u32_e32 v51, vcc_lo, v97, v67, vcc_lo
	s_cselect_b32 s25, s25, s27
	s_cselect_b32 s24, s26, s24
	s_lshl_b32 s12, s12, 24
	s_lshl_b32 s26, s24, 20
	;; [unrolled: 1-line block ×3, first 2 shown]
	s_and_b32 s12, s12, 0x80000000
	s_add_i32 s24, s24, 0x3b800000
	v_and_b32_e32 v85, 0xff, v96
	s_or_b32 s12, s12, s24
	s_mov_b32 s24, 0
	s_or_b32 s25, s12, s26
	s_branch .LBB2_142
.LBB2_139:                              ;   in Loop: Header=BB2_142 Depth=2
	s_or_b32 exec_lo, exec_lo, s12
	s_delay_alu instid0(VALU_DEP_1) | instskip(NEXT) | instid1(VALU_DEP_2)
	v_lshrrev_b32_e32 v101, 20, v101
	v_cmp_gt_i32_e32 vcc_lo, 16, v99
	v_min_i32_e32 v118, 15, v99
	v_lshrrev_b32_e32 v13, 24, v13
	s_delay_alu instid0(VALU_DEP_2) | instskip(NEXT) | instid1(VALU_DEP_2)
	v_dual_cndmask_b32 v101, 7, v101 :: v_dual_lshlrev_b32 v118, 3, v118
	v_and_b32_e32 v13, 0x80, v13
	s_delay_alu instid0(VALU_DEP_2) | instskip(SKIP_1) | instid1(VALU_DEP_2)
	v_or_b32_e32 v99, v99, v101
	v_and_b32_e32 v119, 7, v101
	v_cmp_ne_u32_e32 vcc_lo, 0, v99
	v_and_b32_e32 v118, 0xf8, v118
	s_delay_alu instid0(VALU_DEP_1) | instskip(NEXT) | instid1(VALU_DEP_1)
	v_or3_b32 v13, v13, v118, v119
	v_lshlrev_b32_e32 v13, 8, v13
	s_delay_alu instid0(VALU_DEP_1)
	v_cndmask_b32_e32 v99, 0, v13, vcc_lo
.LBB2_140:                              ;   in Loop: Header=BB2_142 Depth=2
	s_or_b32 exec_lo, exec_lo, s27
.LBB2_141:                              ;   in Loop: Header=BB2_142 Depth=2
	s_delay_alu instid0(SALU_CYCLE_1)
	s_or_b32 exec_lo, exec_lo, s26
	v_or_b32_e32 v11, v11, v115
	v_and_b32_e32 v13, 0xff, v114
	v_lshlrev_b32_e32 v100, 8, v100
	v_and_b32_e32 v102, 0xff, v102
	v_lshlrev_b32_e32 v103, 8, v103
	v_or_b32_e32 v97, v99, v97
	v_and_b32_e32 v101, 0xff, v116
	v_lshlrev_b32_e32 v10, 24, v10
	v_lshlrev_b32_e32 v11, 16, v11
	v_lshlrev_b32_e32 v13, 16, v13
	v_perm_b32 v96, v100, v96, 0xc0c0500
	v_lshlrev_b32_e32 v12, 24, v12
	v_lshlrev_b32_e32 v99, 16, v102
	v_perm_b32 v100, v103, v113, 0xc0c0500
	v_and_b32_e32 v98, 0xff, v98
	v_lshlrev_b32_e32 v97, 16, v97
	v_add_co_u32 v38, vcc_lo, v38, v69
	v_or3_b32 v11, v117, v101, v11
	v_or3_b32 v10, v10, v13, v96
	;; [unrolled: 1-line block ×4, first 2 shown]
	v_sub_nc_u32_e32 v84, v84, v65
	v_add_co_ci_u32_e32 v39, vcc_lo, v39, v70, vcc_lo
	v_add_co_u32 v48, vcc_lo, v48, v69
	v_add_co_ci_u32_e32 v49, vcc_lo, v49, v70, vcc_lo
	global_store_b128 v[50:51], v[10:13], off glc slc dlc
	v_cmp_gt_i32_e32 vcc_lo, 16, v84
	v_add_co_u32 v50, s12, v50, v69
	s_delay_alu instid0(VALU_DEP_1) | instskip(SKIP_2) | instid1(SALU_CYCLE_1)
	v_add_co_ci_u32_e64 v51, s12, v51, v70, s12
	v_sub_nc_u32_e32 v87, v87, v53
	s_or_b32 s24, vcc_lo, s24
	s_and_not1_b32 exec_lo, exec_lo, s24
	s_cbranch_execz .LBB2_789
.LBB2_142:                              ;   Parent Loop BB2_53 Depth=1
                                        ; =>  This Inner Loop Header: Depth=2
	v_cmp_gt_i16_e32 vcc_lo, 0x80, v85
	s_cbranch_vccnz .LBB2_146
; %bb.143:                              ;   in Loop: Header=BB2_142 Depth=2
	v_cmp_eq_u16_e32 vcc_lo, 0x80, v85
	s_mov_b32 s12, -1
                                        ; implicit-def: $sgpr26
	s_cbranch_vccz .LBB2_145
; %bb.144:                              ;   in Loop: Header=BB2_142 Depth=2
	s_mov_b32 s12, 0
	s_mov_b32 s26, 0x7f800001
.LBB2_145:                              ;   in Loop: Header=BB2_142 Depth=2
	s_mov_b32 s27, 0
	s_branch .LBB2_147
.LBB2_146:                              ;   in Loop: Header=BB2_142 Depth=2
	s_mov_b32 s27, -1
	s_mov_b32 s12, 0
                                        ; implicit-def: $sgpr26
.LBB2_147:                              ;   in Loop: Header=BB2_142 Depth=2
	s_and_b32 vcc_lo, exec_lo, s27
	s_cbranch_vccz .LBB2_149
; %bb.148:                              ;   in Loop: Header=BB2_142 Depth=2
	v_cmp_ne_u16_e64 s12, 0, v85
	s_mov_b32 s26, 0
.LBB2_149:                              ;   in Loop: Header=BB2_142 Depth=2
	s_delay_alu instid0(VALU_DEP_1)
	s_and_not1_b32 vcc_lo, exec_lo, s12
	s_cbranch_vccnz .LBB2_151
; %bb.150:                              ;   in Loop: Header=BB2_142 Depth=2
	s_mov_b32 s26, s25
.LBB2_151:                              ;   in Loop: Header=BB2_142 Depth=2
	global_load_b128 v[10:13], v[38:39], off slc dlc
	s_mov_b32 s12, 0
	s_mov_b32 s28, exec_lo
                                        ; implicit-def: $sgpr27
	s_waitcnt vmcnt(0)
	v_and_b32_e32 v97, 0xff, v10
	s_delay_alu instid0(VALU_DEP_1)
	v_cmpx_lt_i16_e32 0x7f, v97
	s_xor_b32 s28, exec_lo, s28
	s_cbranch_execnz .LBB2_597
; %bb.152:                              ;   in Loop: Header=BB2_142 Depth=2
	s_or_saveexec_b32 s28, s28
	v_mov_b32_e32 v96, s27
	s_xor_b32 exec_lo, exec_lo, s28
	s_cbranch_execnz .LBB2_600
.LBB2_153:                              ;   in Loop: Header=BB2_142 Depth=2
	s_or_b32 exec_lo, exec_lo, s28
	s_and_saveexec_b32 s27, s12
	s_cbranch_execz .LBB2_155
.LBB2_154:                              ;   in Loop: Header=BB2_142 Depth=2
	v_bfe_u32 v99, v10, 3, 4
	v_lshlrev_b32_e32 v100, 24, v10
	s_delay_alu instid0(VALU_DEP_2) | instskip(SKIP_1) | instid1(VALU_DEP_1)
	v_cmp_eq_u32_e32 vcc_lo, 0, v99
	v_and_b32_e32 v96, 7, v10
	v_clz_i32_u32_e32 v97, v96
	s_delay_alu instid0(VALU_DEP_1) | instskip(NEXT) | instid1(VALU_DEP_1)
	v_min_u32_e32 v97, 32, v97
	v_subrev_nc_u32_e32 v98, 28, v97
	v_sub_nc_u32_e32 v97, 29, v97
	s_delay_alu instid0(VALU_DEP_1) | instskip(NEXT) | instid1(VALU_DEP_1)
	v_dual_cndmask_b32 v97, v99, v97 :: v_dual_lshlrev_b32 v98, v98, v10
	v_and_b32_e32 v98, 7, v98
	s_delay_alu instid0(VALU_DEP_2) | instskip(NEXT) | instid1(VALU_DEP_2)
	v_lshl_add_u32 v97, v97, 23, 0x3b800000
	v_cndmask_b32_e32 v96, v96, v98, vcc_lo
	v_and_b32_e32 v98, 0x80000000, v100
	s_delay_alu instid0(VALU_DEP_2) | instskip(NEXT) | instid1(VALU_DEP_1)
	v_lshlrev_b32_e32 v96, 20, v96
	v_or3_b32 v96, v98, v97, v96
.LBB2_155:                              ;   in Loop: Header=BB2_142 Depth=2
	s_or_b32 exec_lo, exec_lo, s27
	s_delay_alu instid0(VALU_DEP_1) | instskip(NEXT) | instid1(VALU_DEP_1)
	v_mul_f32_e32 v97, s26, v96
	v_and_b32_e32 v96, 0x7f800000, v97
	s_delay_alu instid0(VALU_DEP_1)
	v_cmp_ne_u32_e32 vcc_lo, 0x7f800000, v96
	v_mov_b32_e32 v96, 0x80
	s_and_saveexec_b32 s27, vcc_lo
	s_cbranch_execz .LBB2_163
; %bb.156:                              ;   in Loop: Header=BB2_142 Depth=2
	v_mov_b32_e32 v96, 0
	s_mov_b32 s28, exec_lo
	v_cmpx_ne_u32_e32 0, v97
	s_cbranch_execz .LBB2_162
; %bb.157:                              ;   in Loop: Header=BB2_142 Depth=2
	v_bfe_u32 v96, v97, 23, 8
	s_delay_alu instid0(VALU_DEP_1) | instskip(SKIP_1) | instid1(VALU_DEP_2)
	v_sub_nc_u32_e32 v99, 0x78, v96
	v_cmp_gt_u32_e32 vcc_lo, 0x79, v96
	v_dual_cndmask_b32 v99, 0, v99 :: v_dual_and_b32 v98, 0x7fffff, v97
	s_delay_alu instid0(VALU_DEP_1) | instskip(SKIP_2) | instid1(VALU_DEP_4)
	v_or_b32_e32 v100, 0x800000, v98
	v_cmp_eq_u32_e32 vcc_lo, 0, v96
	v_add_nc_u32_e32 v96, 0xffffff89, v96
	v_cndmask_b32_e64 v99, v99, 0x77, vcc_lo
	s_delay_alu instid0(VALU_DEP_2) | instskip(SKIP_1) | instid1(VALU_DEP_3)
	v_cndmask_b32_e64 v96, v96, 0xffffff8a, vcc_lo
	v_cndmask_b32_e32 v98, v100, v98, vcc_lo
	v_lshl_add_u32 v100, 0x100000, v99, -1
	v_lshlrev_b32_e64 v103, v99, 0x80000
	s_delay_alu instid0(VALU_DEP_3) | instskip(SKIP_1) | instid1(VALU_DEP_4)
	v_lshrrev_b32_e32 v101, v99, v98
	v_add_nc_u32_e32 v99, v99, v96
	v_and_b32_e32 v98, v100, v98
	s_delay_alu instid0(VALU_DEP_3) | instskip(NEXT) | instid1(VALU_DEP_2)
	v_bfe_u32 v102, v101, 20, 1
	v_cmp_eq_u32_e64 s12, v98, v103
	s_delay_alu instid0(VALU_DEP_2) | instskip(NEXT) | instid1(VALU_DEP_1)
	v_add_nc_u32_e32 v100, -1, v102
	v_cndmask_b32_e64 v98, 0, v100, s12
	v_lshrrev_b32_e32 v100, 23, v101
	s_mov_b32 s12, exec_lo
	s_delay_alu instid0(VALU_DEP_2) | instskip(NEXT) | instid1(VALU_DEP_2)
	v_add_nc_u32_e32 v98, v98, v101
	v_xor_b32_e32 v100, 1, v100
	s_delay_alu instid0(VALU_DEP_2) | instskip(NEXT) | instid1(VALU_DEP_1)
	v_and_b32_e32 v96, 0xfffff, v98
	v_add_nc_u32_e32 v98, v96, v101
                                        ; implicit-def: $vgpr96
	s_delay_alu instid0(VALU_DEP_3)
	v_cmpx_ne_u32_e64 v99, v100
	s_xor_b32 s12, exec_lo, s12
; %bb.158:                              ;   in Loop: Header=BB2_142 Depth=2
	s_delay_alu instid0(VALU_DEP_2) | instskip(SKIP_2) | instid1(VALU_DEP_2)
	v_cmp_lt_u32_e32 vcc_lo, 0xffffff, v98
	v_sub_nc_u32_e32 v96, v99, v100
	v_cndmask_b32_e64 v99, 0, 1, vcc_lo
	v_add_co_ci_u32_e32 v96, vcc_lo, 0, v96, vcc_lo
	s_delay_alu instid0(VALU_DEP_2)
	v_lshrrev_b32_e32 v98, v99, v98
; %bb.159:                              ;   in Loop: Header=BB2_142 Depth=2
	s_and_not1_saveexec_b32 s12, s12
; %bb.160:                              ;   in Loop: Header=BB2_142 Depth=2
	s_delay_alu instid0(VALU_DEP_1)
	v_bfe_u32 v96, v98, 23, 1
; %bb.161:                              ;   in Loop: Header=BB2_142 Depth=2
	s_or_b32 exec_lo, exec_lo, s12
	v_lshrrev_b32_e32 v98, 20, v98
	s_delay_alu instid0(VALU_DEP_2) | instskip(SKIP_2) | instid1(VALU_DEP_2)
	v_cmp_gt_i32_e32 vcc_lo, 16, v96
	v_lshrrev_b32_e32 v97, 24, v97
	v_min_i32_e32 v99, 15, v96
	v_dual_cndmask_b32 v98, 7, v98 :: v_dual_and_b32 v97, 0x80, v97
	s_delay_alu instid0(VALU_DEP_1) | instskip(SKIP_1) | instid1(VALU_DEP_2)
	v_or_b32_e32 v96, v96, v98
	v_and_b32_e32 v100, 7, v98
	v_cmp_ne_u32_e32 vcc_lo, 0, v96
	v_lshlrev_b32_e32 v99, 3, v99
	s_delay_alu instid0(VALU_DEP_1) | instskip(NEXT) | instid1(VALU_DEP_1)
	v_or3_b32 v97, v99, v97, v100
	v_cndmask_b32_e32 v96, 0, v97, vcc_lo
.LBB2_162:                              ;   in Loop: Header=BB2_142 Depth=2
	s_or_b32 exec_lo, exec_lo, s28
.LBB2_163:                              ;   in Loop: Header=BB2_142 Depth=2
	s_delay_alu instid0(SALU_CYCLE_1) | instskip(SKIP_3) | instid1(VALU_DEP_1)
	s_or_b32 exec_lo, exec_lo, s27
	v_lshrrev_b16 v97, 8, v10
	s_mov_b32 s12, 0
	s_mov_b32 s28, exec_lo
                                        ; implicit-def: $sgpr27
	v_cmpx_lt_i16_e32 0x7f, v97
	s_xor_b32 s28, exec_lo, s28
	s_cbranch_execnz .LBB2_601
; %bb.164:                              ;   in Loop: Header=BB2_142 Depth=2
	s_or_saveexec_b32 s28, s28
	v_mov_b32_e32 v98, s27
	s_xor_b32 exec_lo, exec_lo, s28
	s_cbranch_execnz .LBB2_604
.LBB2_165:                              ;   in Loop: Header=BB2_142 Depth=2
	s_or_b32 exec_lo, exec_lo, s28
	s_and_saveexec_b32 s27, s12
	s_cbranch_execz .LBB2_167
.LBB2_166:                              ;   in Loop: Header=BB2_142 Depth=2
	v_and_b32_e32 v98, 0xffff, v97
	v_lshlrev_b32_e32 v97, 24, v97
	s_delay_alu instid0(VALU_DEP_2) | instskip(NEXT) | instid1(VALU_DEP_2)
	v_and_b32_e32 v99, 7, v98
	v_and_b32_e32 v97, 0x80000000, v97
	s_delay_alu instid0(VALU_DEP_2) | instskip(NEXT) | instid1(VALU_DEP_1)
	v_clz_i32_u32_e32 v100, v99
	v_min_u32_e32 v100, 32, v100
	s_delay_alu instid0(VALU_DEP_1) | instskip(SKIP_1) | instid1(VALU_DEP_2)
	v_subrev_nc_u32_e32 v101, 28, v100
	v_sub_nc_u32_e32 v100, 29, v100
	v_lshlrev_b32_e32 v101, v101, v98
	v_bfe_u32 v98, v98, 3, 4
	s_delay_alu instid0(VALU_DEP_2) | instskip(NEXT) | instid1(VALU_DEP_2)
	v_and_b32_e32 v101, 7, v101
	v_cmp_eq_u32_e32 vcc_lo, 0, v98
	s_delay_alu instid0(VALU_DEP_2) | instskip(NEXT) | instid1(VALU_DEP_1)
	v_dual_cndmask_b32 v98, v98, v100 :: v_dual_cndmask_b32 v99, v99, v101
	v_lshl_add_u32 v98, v98, 23, 0x3b800000
	s_delay_alu instid0(VALU_DEP_2) | instskip(NEXT) | instid1(VALU_DEP_1)
	v_lshlrev_b32_e32 v99, 20, v99
	v_or3_b32 v98, v97, v98, v99
.LBB2_167:                              ;   in Loop: Header=BB2_142 Depth=2
	s_or_b32 exec_lo, exec_lo, s27
	s_delay_alu instid0(VALU_DEP_1) | instskip(SKIP_1) | instid1(VALU_DEP_1)
	v_dual_mul_f32 v97, s26, v98 :: v_dual_mov_b32 v100, 0x80
	s_mov_b32 s27, exec_lo
	v_and_b32_e32 v98, 0x7f800000, v97
	s_delay_alu instid0(VALU_DEP_1)
	v_cmpx_ne_u32_e32 0x7f800000, v98
	s_cbranch_execz .LBB2_175
; %bb.168:                              ;   in Loop: Header=BB2_142 Depth=2
	v_mov_b32_e32 v100, 0
	s_mov_b32 s28, exec_lo
	v_cmpx_ne_u32_e32 0, v97
	s_cbranch_execz .LBB2_174
; %bb.169:                              ;   in Loop: Header=BB2_142 Depth=2
	v_bfe_u32 v98, v97, 23, 8
	s_delay_alu instid0(VALU_DEP_1) | instskip(SKIP_1) | instid1(VALU_DEP_2)
	v_sub_nc_u32_e32 v100, 0x78, v98
	v_cmp_gt_u32_e32 vcc_lo, 0x79, v98
	v_dual_cndmask_b32 v100, 0, v100 :: v_dual_and_b32 v99, 0x7fffff, v97
	s_delay_alu instid0(VALU_DEP_1) | instskip(SKIP_2) | instid1(VALU_DEP_4)
	v_or_b32_e32 v101, 0x800000, v99
	v_cmp_eq_u32_e32 vcc_lo, 0, v98
	v_add_nc_u32_e32 v98, 0xffffff89, v98
	v_cndmask_b32_e64 v100, v100, 0x77, vcc_lo
	s_delay_alu instid0(VALU_DEP_4) | instskip(NEXT) | instid1(VALU_DEP_3)
	v_cndmask_b32_e32 v99, v101, v99, vcc_lo
	v_cndmask_b32_e64 v98, v98, 0xffffff8a, vcc_lo
	s_delay_alu instid0(VALU_DEP_3) | instskip(NEXT) | instid1(VALU_DEP_3)
	v_lshl_add_u32 v101, 0x100000, v100, -1
	v_lshrrev_b32_e32 v102, v100, v99
	v_lshlrev_b32_e64 v112, v100, 0x80000
	s_delay_alu instid0(VALU_DEP_4) | instskip(NEXT) | instid1(VALU_DEP_4)
	v_add_nc_u32_e32 v100, v100, v98
	v_and_b32_e32 v99, v101, v99
	s_delay_alu instid0(VALU_DEP_4) | instskip(NEXT) | instid1(VALU_DEP_2)
	v_bfe_u32 v103, v102, 20, 1
	v_cmp_eq_u32_e64 s12, v99, v112
	s_delay_alu instid0(VALU_DEP_2) | instskip(NEXT) | instid1(VALU_DEP_1)
	v_add_nc_u32_e32 v101, -1, v103
	v_cndmask_b32_e64 v99, 0, v101, s12
	v_lshrrev_b32_e32 v101, 23, v102
	s_mov_b32 s12, exec_lo
	s_delay_alu instid0(VALU_DEP_2) | instskip(NEXT) | instid1(VALU_DEP_2)
	v_add_nc_u32_e32 v99, v99, v102
	v_xor_b32_e32 v101, 1, v101
	s_delay_alu instid0(VALU_DEP_2) | instskip(NEXT) | instid1(VALU_DEP_1)
	v_and_b32_e32 v98, 0xfffff, v99
	v_add_nc_u32_e32 v99, v98, v102
                                        ; implicit-def: $vgpr98
	s_delay_alu instid0(VALU_DEP_3)
	v_cmpx_ne_u32_e64 v100, v101
	s_xor_b32 s12, exec_lo, s12
; %bb.170:                              ;   in Loop: Header=BB2_142 Depth=2
	s_delay_alu instid0(VALU_DEP_2) | instskip(SKIP_2) | instid1(VALU_DEP_2)
	v_cmp_lt_u32_e32 vcc_lo, 0xffffff, v99
	v_sub_nc_u32_e32 v98, v100, v101
	v_cndmask_b32_e64 v100, 0, 1, vcc_lo
	v_add_co_ci_u32_e32 v98, vcc_lo, 0, v98, vcc_lo
	s_delay_alu instid0(VALU_DEP_2)
	v_lshrrev_b32_e32 v99, v100, v99
; %bb.171:                              ;   in Loop: Header=BB2_142 Depth=2
	s_and_not1_saveexec_b32 s12, s12
; %bb.172:                              ;   in Loop: Header=BB2_142 Depth=2
	s_delay_alu instid0(VALU_DEP_1)
	v_bfe_u32 v98, v99, 23, 1
; %bb.173:                              ;   in Loop: Header=BB2_142 Depth=2
	s_or_b32 exec_lo, exec_lo, s12
	v_lshrrev_b32_e32 v99, 20, v99
	s_delay_alu instid0(VALU_DEP_2) | instskip(SKIP_2) | instid1(VALU_DEP_2)
	v_cmp_gt_i32_e32 vcc_lo, 16, v98
	v_min_i32_e32 v100, 15, v98
	v_lshrrev_b32_e32 v97, 24, v97
	v_dual_cndmask_b32 v99, 7, v99 :: v_dual_lshlrev_b32 v100, 3, v100
	s_delay_alu instid0(VALU_DEP_2) | instskip(NEXT) | instid1(VALU_DEP_2)
	v_and_b32_e32 v97, 0x80, v97
	v_or_b32_e32 v98, v98, v99
	s_delay_alu instid0(VALU_DEP_1) | instskip(SKIP_1) | instid1(VALU_DEP_1)
	v_cmp_ne_u32_e32 vcc_lo, 0, v98
	v_and_b32_e32 v101, 7, v99
	v_or3_b32 v97, v100, v97, v101
	s_delay_alu instid0(VALU_DEP_1)
	v_cndmask_b32_e32 v100, 0, v97, vcc_lo
.LBB2_174:                              ;   in Loop: Header=BB2_142 Depth=2
	s_or_b32 exec_lo, exec_lo, s28
.LBB2_175:                              ;   in Loop: Header=BB2_142 Depth=2
	s_delay_alu instid0(SALU_CYCLE_1) | instskip(SKIP_3) | instid1(VALU_DEP_1)
	s_or_b32 exec_lo, exec_lo, s27
	v_lshrrev_b32_e32 v97, 16, v10
	s_mov_b32 s12, 0
	s_mov_b32 s28, exec_lo
                                        ; implicit-def: $sgpr27
	v_and_b32_e32 v99, 0xff, v97
	s_delay_alu instid0(VALU_DEP_1)
	v_cmpx_lt_i16_e32 0x7f, v99
	s_xor_b32 s28, exec_lo, s28
	s_cbranch_execnz .LBB2_605
; %bb.176:                              ;   in Loop: Header=BB2_142 Depth=2
	s_or_saveexec_b32 s28, s28
	v_mov_b32_e32 v98, s27
	s_xor_b32 exec_lo, exec_lo, s28
	s_cbranch_execnz .LBB2_608
.LBB2_177:                              ;   in Loop: Header=BB2_142 Depth=2
	s_or_b32 exec_lo, exec_lo, s28
	s_and_saveexec_b32 s27, s12
	s_cbranch_execz .LBB2_179
.LBB2_178:                              ;   in Loop: Header=BB2_142 Depth=2
	v_bfe_u32 v98, v10, 16, 3
	s_delay_alu instid0(VALU_DEP_1) | instskip(NEXT) | instid1(VALU_DEP_1)
	v_clz_i32_u32_e32 v99, v98
	v_min_u32_e32 v99, 32, v99
	s_delay_alu instid0(VALU_DEP_1) | instskip(SKIP_1) | instid1(VALU_DEP_2)
	v_subrev_nc_u32_e32 v101, 28, v99
	v_sub_nc_u32_e32 v99, 29, v99
	v_lshlrev_b32_e32 v97, v101, v97
	v_bfe_u32 v101, v10, 19, 4
	s_delay_alu instid0(VALU_DEP_2) | instskip(NEXT) | instid1(VALU_DEP_2)
	v_and_b32_e32 v97, 7, v97
	v_cmp_eq_u32_e32 vcc_lo, 0, v101
	v_dual_cndmask_b32 v99, v101, v99 :: v_dual_lshlrev_b32 v102, 8, v10
	s_delay_alu instid0(VALU_DEP_1) | instskip(NEXT) | instid1(VALU_DEP_2)
	v_dual_cndmask_b32 v97, v98, v97 :: v_dual_and_b32 v98, 0x80000000, v102
	v_lshl_add_u32 v99, v99, 23, 0x3b800000
	s_delay_alu instid0(VALU_DEP_2) | instskip(NEXT) | instid1(VALU_DEP_1)
	v_lshlrev_b32_e32 v97, 20, v97
	v_or3_b32 v98, v98, v99, v97
.LBB2_179:                              ;   in Loop: Header=BB2_142 Depth=2
	s_or_b32 exec_lo, exec_lo, s27
	s_delay_alu instid0(VALU_DEP_1) | instskip(SKIP_1) | instid1(VALU_DEP_1)
	v_dual_mul_f32 v97, s26, v98 :: v_dual_mov_b32 v114, 0x80
	s_mov_b32 s27, exec_lo
	v_and_b32_e32 v98, 0x7f800000, v97
	s_delay_alu instid0(VALU_DEP_1)
	v_cmpx_ne_u32_e32 0x7f800000, v98
	s_cbranch_execz .LBB2_187
; %bb.180:                              ;   in Loop: Header=BB2_142 Depth=2
	v_mov_b32_e32 v114, 0
	s_mov_b32 s28, exec_lo
	v_cmpx_ne_u32_e32 0, v97
	s_cbranch_execz .LBB2_186
; %bb.181:                              ;   in Loop: Header=BB2_142 Depth=2
	v_bfe_u32 v98, v97, 23, 8
	v_and_b32_e32 v99, 0x7fffff, v97
	s_delay_alu instid0(VALU_DEP_2) | instskip(SKIP_1) | instid1(VALU_DEP_3)
	v_sub_nc_u32_e32 v101, 0x78, v98
	v_cmp_gt_u32_e32 vcc_lo, 0x79, v98
	v_or_b32_e32 v102, 0x800000, v99
	s_delay_alu instid0(VALU_DEP_3) | instskip(SKIP_2) | instid1(VALU_DEP_3)
	v_cndmask_b32_e32 v101, 0, v101, vcc_lo
	v_cmp_eq_u32_e32 vcc_lo, 0, v98
	v_add_nc_u32_e32 v98, 0xffffff89, v98
	v_cndmask_b32_e64 v101, v101, 0x77, vcc_lo
	v_cndmask_b32_e32 v99, v102, v99, vcc_lo
	s_delay_alu instid0(VALU_DEP_3) | instskip(NEXT) | instid1(VALU_DEP_3)
	v_cndmask_b32_e64 v98, v98, 0xffffff8a, vcc_lo
	v_lshl_add_u32 v102, 0x100000, v101, -1
	s_delay_alu instid0(VALU_DEP_3) | instskip(SKIP_1) | instid1(VALU_DEP_4)
	v_lshrrev_b32_e32 v103, v101, v99
	v_lshlrev_b32_e64 v113, v101, 0x80000
	v_add_nc_u32_e32 v101, v101, v98
	s_delay_alu instid0(VALU_DEP_4) | instskip(NEXT) | instid1(VALU_DEP_4)
	v_and_b32_e32 v99, v102, v99
	v_bfe_u32 v112, v103, 20, 1
	s_delay_alu instid0(VALU_DEP_2) | instskip(NEXT) | instid1(VALU_DEP_2)
	v_cmp_eq_u32_e64 s12, v99, v113
	v_add_nc_u32_e32 v102, -1, v112
	s_delay_alu instid0(VALU_DEP_1) | instskip(SKIP_2) | instid1(VALU_DEP_2)
	v_cndmask_b32_e64 v99, 0, v102, s12
	v_lshrrev_b32_e32 v102, 23, v103
	s_mov_b32 s12, exec_lo
	v_add_nc_u32_e32 v99, v99, v103
	s_delay_alu instid0(VALU_DEP_2) | instskip(NEXT) | instid1(VALU_DEP_2)
	v_xor_b32_e32 v102, 1, v102
	v_and_b32_e32 v98, 0xfffff, v99
	s_delay_alu instid0(VALU_DEP_1) | instskip(NEXT) | instid1(VALU_DEP_3)
	v_add_nc_u32_e32 v99, v98, v103
                                        ; implicit-def: $vgpr98
	v_cmpx_ne_u32_e64 v101, v102
	s_xor_b32 s12, exec_lo, s12
; %bb.182:                              ;   in Loop: Header=BB2_142 Depth=2
	s_delay_alu instid0(VALU_DEP_2) | instskip(SKIP_2) | instid1(VALU_DEP_2)
	v_cmp_lt_u32_e32 vcc_lo, 0xffffff, v99
	v_sub_nc_u32_e32 v98, v101, v102
	v_cndmask_b32_e64 v101, 0, 1, vcc_lo
	v_add_co_ci_u32_e32 v98, vcc_lo, 0, v98, vcc_lo
	s_delay_alu instid0(VALU_DEP_2)
	v_lshrrev_b32_e32 v99, v101, v99
; %bb.183:                              ;   in Loop: Header=BB2_142 Depth=2
	s_and_not1_saveexec_b32 s12, s12
; %bb.184:                              ;   in Loop: Header=BB2_142 Depth=2
	s_delay_alu instid0(VALU_DEP_1)
	v_bfe_u32 v98, v99, 23, 1
; %bb.185:                              ;   in Loop: Header=BB2_142 Depth=2
	s_or_b32 exec_lo, exec_lo, s12
	v_lshrrev_b32_e32 v99, 20, v99
	s_delay_alu instid0(VALU_DEP_2) | instskip(SKIP_2) | instid1(VALU_DEP_4)
	v_cmp_gt_i32_e32 vcc_lo, 16, v98
	v_lshrrev_b32_e32 v97, 24, v97
	v_min_i32_e32 v101, 15, v98
	v_cndmask_b32_e32 v99, 7, v99, vcc_lo
	s_delay_alu instid0(VALU_DEP_3) | instskip(NEXT) | instid1(VALU_DEP_3)
	v_and_b32_e32 v97, 0x80, v97
	v_lshlrev_b32_e32 v101, 3, v101
	s_delay_alu instid0(VALU_DEP_3) | instskip(SKIP_1) | instid1(VALU_DEP_2)
	v_and_b32_e32 v102, 7, v99
	v_or_b32_e32 v98, v98, v99
	v_or3_b32 v97, v101, v97, v102
	s_delay_alu instid0(VALU_DEP_2) | instskip(NEXT) | instid1(VALU_DEP_2)
	v_cmp_ne_u32_e32 vcc_lo, 0, v98
	v_cndmask_b32_e32 v114, 0, v97, vcc_lo
.LBB2_186:                              ;   in Loop: Header=BB2_142 Depth=2
	s_or_b32 exec_lo, exec_lo, s28
.LBB2_187:                              ;   in Loop: Header=BB2_142 Depth=2
	s_delay_alu instid0(SALU_CYCLE_1) | instskip(SKIP_3) | instid1(VALU_DEP_1)
	s_or_b32 exec_lo, exec_lo, s27
	v_lshrrev_b32_e32 v97, 24, v10
	s_mov_b32 s12, 0
	s_mov_b32 s28, exec_lo
                                        ; implicit-def: $sgpr27
	v_cmpx_lt_i16_e32 0x7f, v97
	s_xor_b32 s28, exec_lo, s28
	s_cbranch_execnz .LBB2_609
; %bb.188:                              ;   in Loop: Header=BB2_142 Depth=2
	s_or_saveexec_b32 s28, s28
	v_mov_b32_e32 v98, s27
	s_xor_b32 exec_lo, exec_lo, s28
	s_cbranch_execnz .LBB2_612
.LBB2_189:                              ;   in Loop: Header=BB2_142 Depth=2
	s_or_b32 exec_lo, exec_lo, s28
	s_and_saveexec_b32 s27, s12
	s_cbranch_execz .LBB2_191
.LBB2_190:                              ;   in Loop: Header=BB2_142 Depth=2
	v_bfe_u32 v98, v10, 24, 3
	s_delay_alu instid0(VALU_DEP_1) | instskip(NEXT) | instid1(VALU_DEP_1)
	v_clz_i32_u32_e32 v99, v98
	v_min_u32_e32 v99, 32, v99
	s_delay_alu instid0(VALU_DEP_1) | instskip(SKIP_1) | instid1(VALU_DEP_2)
	v_subrev_nc_u32_e32 v101, 28, v99
	v_sub_nc_u32_e32 v99, 29, v99
	v_lshlrev_b32_e32 v97, v101, v97
	v_bfe_u32 v101, v10, 27, 4
	v_and_b32_e32 v10, 0x80000000, v10
	s_delay_alu instid0(VALU_DEP_3) | instskip(NEXT) | instid1(VALU_DEP_3)
	v_and_b32_e32 v97, 7, v97
	v_cmp_eq_u32_e32 vcc_lo, 0, v101
	v_cndmask_b32_e32 v99, v101, v99, vcc_lo
	s_delay_alu instid0(VALU_DEP_3) | instskip(NEXT) | instid1(VALU_DEP_2)
	v_cndmask_b32_e32 v97, v98, v97, vcc_lo
	v_lshl_add_u32 v98, v99, 23, 0x3b800000
	s_delay_alu instid0(VALU_DEP_2) | instskip(NEXT) | instid1(VALU_DEP_1)
	v_lshlrev_b32_e32 v97, 20, v97
	v_or3_b32 v98, v10, v98, v97
.LBB2_191:                              ;   in Loop: Header=BB2_142 Depth=2
	s_or_b32 exec_lo, exec_lo, s27
	s_delay_alu instid0(VALU_DEP_1) | instskip(SKIP_1) | instid1(VALU_DEP_1)
	v_dual_mul_f32 v10, s26, v98 :: v_dual_mov_b32 v117, 0x80
	s_mov_b32 s27, exec_lo
	v_and_b32_e32 v97, 0x7f800000, v10
	s_delay_alu instid0(VALU_DEP_1)
	v_cmpx_ne_u32_e32 0x7f800000, v97
	s_cbranch_execz .LBB2_199
; %bb.192:                              ;   in Loop: Header=BB2_142 Depth=2
	v_mov_b32_e32 v117, 0
	s_mov_b32 s28, exec_lo
	v_cmpx_ne_u32_e32 0, v10
	s_cbranch_execz .LBB2_198
; %bb.193:                              ;   in Loop: Header=BB2_142 Depth=2
	v_bfe_u32 v97, v10, 23, 8
	s_delay_alu instid0(VALU_DEP_1) | instskip(SKIP_1) | instid1(VALU_DEP_2)
	v_sub_nc_u32_e32 v99, 0x78, v97
	v_cmp_gt_u32_e32 vcc_lo, 0x79, v97
	v_dual_cndmask_b32 v99, 0, v99 :: v_dual_and_b32 v98, 0x7fffff, v10
	s_delay_alu instid0(VALU_DEP_1) | instskip(SKIP_2) | instid1(VALU_DEP_4)
	v_or_b32_e32 v101, 0x800000, v98
	v_cmp_eq_u32_e32 vcc_lo, 0, v97
	v_add_nc_u32_e32 v97, 0xffffff89, v97
	v_cndmask_b32_e64 v99, v99, 0x77, vcc_lo
	s_delay_alu instid0(VALU_DEP_4) | instskip(NEXT) | instid1(VALU_DEP_3)
	v_cndmask_b32_e32 v98, v101, v98, vcc_lo
	v_cndmask_b32_e64 v97, v97, 0xffffff8a, vcc_lo
	s_delay_alu instid0(VALU_DEP_3) | instskip(NEXT) | instid1(VALU_DEP_3)
	v_lshl_add_u32 v101, 0x100000, v99, -1
	v_lshrrev_b32_e32 v102, v99, v98
	v_lshlrev_b32_e64 v112, v99, 0x80000
	s_delay_alu instid0(VALU_DEP_4) | instskip(NEXT) | instid1(VALU_DEP_4)
	v_add_nc_u32_e32 v99, v99, v97
	v_and_b32_e32 v98, v101, v98
	s_delay_alu instid0(VALU_DEP_4) | instskip(NEXT) | instid1(VALU_DEP_2)
	v_bfe_u32 v103, v102, 20, 1
	v_cmp_eq_u32_e64 s12, v98, v112
	s_delay_alu instid0(VALU_DEP_2) | instskip(NEXT) | instid1(VALU_DEP_1)
	v_add_nc_u32_e32 v101, -1, v103
	v_cndmask_b32_e64 v98, 0, v101, s12
	v_lshrrev_b32_e32 v101, 23, v102
	s_mov_b32 s12, exec_lo
	s_delay_alu instid0(VALU_DEP_2) | instskip(NEXT) | instid1(VALU_DEP_2)
	v_add_nc_u32_e32 v98, v98, v102
	v_xor_b32_e32 v101, 1, v101
	s_delay_alu instid0(VALU_DEP_2) | instskip(NEXT) | instid1(VALU_DEP_1)
	v_and_b32_e32 v97, 0xfffff, v98
	v_add_nc_u32_e32 v98, v97, v102
                                        ; implicit-def: $vgpr97
	s_delay_alu instid0(VALU_DEP_3)
	v_cmpx_ne_u32_e64 v99, v101
	s_xor_b32 s12, exec_lo, s12
; %bb.194:                              ;   in Loop: Header=BB2_142 Depth=2
	s_delay_alu instid0(VALU_DEP_2) | instskip(SKIP_2) | instid1(VALU_DEP_2)
	v_cmp_lt_u32_e32 vcc_lo, 0xffffff, v98
	v_sub_nc_u32_e32 v97, v99, v101
	v_cndmask_b32_e64 v99, 0, 1, vcc_lo
	v_add_co_ci_u32_e32 v97, vcc_lo, 0, v97, vcc_lo
	s_delay_alu instid0(VALU_DEP_2)
	v_lshrrev_b32_e32 v98, v99, v98
; %bb.195:                              ;   in Loop: Header=BB2_142 Depth=2
	s_and_not1_saveexec_b32 s12, s12
; %bb.196:                              ;   in Loop: Header=BB2_142 Depth=2
	s_delay_alu instid0(VALU_DEP_1)
	v_bfe_u32 v97, v98, 23, 1
; %bb.197:                              ;   in Loop: Header=BB2_142 Depth=2
	s_or_b32 exec_lo, exec_lo, s12
	v_lshrrev_b32_e32 v98, 20, v98
	s_delay_alu instid0(VALU_DEP_2) | instskip(SKIP_2) | instid1(VALU_DEP_4)
	v_cmp_gt_i32_e32 vcc_lo, 16, v97
	v_lshrrev_b32_e32 v10, 24, v10
	v_min_i32_e32 v99, 15, v97
	v_cndmask_b32_e32 v98, 7, v98, vcc_lo
	s_delay_alu instid0(VALU_DEP_3) | instskip(NEXT) | instid1(VALU_DEP_3)
	v_and_b32_e32 v10, 0x80, v10
	v_lshlrev_b32_e32 v99, 3, v99
	s_delay_alu instid0(VALU_DEP_3) | instskip(SKIP_1) | instid1(VALU_DEP_2)
	v_and_b32_e32 v101, 7, v98
	v_or_b32_e32 v97, v97, v98
	v_or3_b32 v10, v99, v10, v101
	s_delay_alu instid0(VALU_DEP_2) | instskip(NEXT) | instid1(VALU_DEP_2)
	v_cmp_ne_u32_e32 vcc_lo, 0, v97
	v_cndmask_b32_e32 v117, 0, v10, vcc_lo
.LBB2_198:                              ;   in Loop: Header=BB2_142 Depth=2
	s_or_b32 exec_lo, exec_lo, s28
.LBB2_199:                              ;   in Loop: Header=BB2_142 Depth=2
	s_delay_alu instid0(SALU_CYCLE_1) | instskip(SKIP_3) | instid1(VALU_DEP_1)
	s_or_b32 exec_lo, exec_lo, s27
	v_and_b32_e32 v97, 0xff, v11
	s_mov_b32 s12, 0
	s_mov_b32 s28, exec_lo
                                        ; implicit-def: $sgpr27
	v_cmpx_lt_i16_e32 0x7f, v97
	s_xor_b32 s28, exec_lo, s28
	s_cbranch_execnz .LBB2_613
; %bb.200:                              ;   in Loop: Header=BB2_142 Depth=2
	s_or_saveexec_b32 s28, s28
	v_mov_b32_e32 v10, s27
	s_xor_b32 exec_lo, exec_lo, s28
	s_cbranch_execnz .LBB2_616
.LBB2_201:                              ;   in Loop: Header=BB2_142 Depth=2
	s_or_b32 exec_lo, exec_lo, s28
	s_and_saveexec_b32 s27, s12
	s_cbranch_execz .LBB2_203
.LBB2_202:                              ;   in Loop: Header=BB2_142 Depth=2
	v_bfe_u32 v99, v11, 3, 4
	s_delay_alu instid0(VALU_DEP_1) | instskip(SKIP_1) | instid1(VALU_DEP_1)
	v_cmp_eq_u32_e32 vcc_lo, 0, v99
	v_and_b32_e32 v10, 7, v11
	v_clz_i32_u32_e32 v97, v10
	s_delay_alu instid0(VALU_DEP_1) | instskip(NEXT) | instid1(VALU_DEP_1)
	v_min_u32_e32 v97, 32, v97
	v_subrev_nc_u32_e32 v98, 28, v97
	v_sub_nc_u32_e32 v97, 29, v97
	s_delay_alu instid0(VALU_DEP_1) | instskip(NEXT) | instid1(VALU_DEP_1)
	v_dual_cndmask_b32 v97, v99, v97 :: v_dual_lshlrev_b32 v98, v98, v11
	v_and_b32_e32 v98, 7, v98
	v_lshlrev_b32_e32 v101, 24, v11
	s_delay_alu instid0(VALU_DEP_3) | instskip(NEXT) | instid1(VALU_DEP_3)
	v_lshl_add_u32 v97, v97, 23, 0x3b800000
	v_cndmask_b32_e32 v10, v10, v98, vcc_lo
	s_delay_alu instid0(VALU_DEP_3) | instskip(NEXT) | instid1(VALU_DEP_2)
	v_and_b32_e32 v98, 0x80000000, v101
	v_lshlrev_b32_e32 v10, 20, v10
	s_delay_alu instid0(VALU_DEP_1)
	v_or3_b32 v10, v98, v97, v10
.LBB2_203:                              ;   in Loop: Header=BB2_142 Depth=2
	s_or_b32 exec_lo, exec_lo, s27
	s_delay_alu instid0(VALU_DEP_1) | instskip(SKIP_2) | instid1(VALU_DEP_2)
	v_mul_f32_e32 v10, s26, v10
	v_mov_b32_e32 v116, 0x80
	s_mov_b32 s27, exec_lo
	v_and_b32_e32 v97, 0x7f800000, v10
	s_delay_alu instid0(VALU_DEP_1)
	v_cmpx_ne_u32_e32 0x7f800000, v97
	s_cbranch_execz .LBB2_211
; %bb.204:                              ;   in Loop: Header=BB2_142 Depth=2
	v_mov_b32_e32 v116, 0
	s_mov_b32 s28, exec_lo
	v_cmpx_ne_u32_e32 0, v10
	s_cbranch_execz .LBB2_210
; %bb.205:                              ;   in Loop: Header=BB2_142 Depth=2
	v_bfe_u32 v97, v10, 23, 8
	s_delay_alu instid0(VALU_DEP_1) | instskip(SKIP_1) | instid1(VALU_DEP_2)
	v_sub_nc_u32_e32 v99, 0x78, v97
	v_cmp_gt_u32_e32 vcc_lo, 0x79, v97
	v_dual_cndmask_b32 v99, 0, v99 :: v_dual_and_b32 v98, 0x7fffff, v10
	s_delay_alu instid0(VALU_DEP_1) | instskip(SKIP_2) | instid1(VALU_DEP_4)
	v_or_b32_e32 v101, 0x800000, v98
	v_cmp_eq_u32_e32 vcc_lo, 0, v97
	v_add_nc_u32_e32 v97, 0xffffff89, v97
	v_cndmask_b32_e64 v99, v99, 0x77, vcc_lo
	s_delay_alu instid0(VALU_DEP_4) | instskip(NEXT) | instid1(VALU_DEP_3)
	v_cndmask_b32_e32 v98, v101, v98, vcc_lo
	v_cndmask_b32_e64 v97, v97, 0xffffff8a, vcc_lo
	s_delay_alu instid0(VALU_DEP_3) | instskip(NEXT) | instid1(VALU_DEP_3)
	v_lshl_add_u32 v101, 0x100000, v99, -1
	v_lshrrev_b32_e32 v102, v99, v98
	v_lshlrev_b32_e64 v112, v99, 0x80000
	s_delay_alu instid0(VALU_DEP_4) | instskip(NEXT) | instid1(VALU_DEP_4)
	v_add_nc_u32_e32 v99, v99, v97
	v_and_b32_e32 v98, v101, v98
	s_delay_alu instid0(VALU_DEP_4) | instskip(NEXT) | instid1(VALU_DEP_2)
	v_bfe_u32 v103, v102, 20, 1
	v_cmp_eq_u32_e64 s12, v98, v112
	s_delay_alu instid0(VALU_DEP_2) | instskip(NEXT) | instid1(VALU_DEP_1)
	v_add_nc_u32_e32 v101, -1, v103
	v_cndmask_b32_e64 v98, 0, v101, s12
	v_lshrrev_b32_e32 v101, 23, v102
	s_mov_b32 s12, exec_lo
	s_delay_alu instid0(VALU_DEP_2) | instskip(NEXT) | instid1(VALU_DEP_2)
	v_add_nc_u32_e32 v98, v98, v102
	v_xor_b32_e32 v101, 1, v101
	s_delay_alu instid0(VALU_DEP_2) | instskip(NEXT) | instid1(VALU_DEP_1)
	v_and_b32_e32 v97, 0xfffff, v98
	v_add_nc_u32_e32 v98, v97, v102
                                        ; implicit-def: $vgpr97
	s_delay_alu instid0(VALU_DEP_3)
	v_cmpx_ne_u32_e64 v99, v101
	s_xor_b32 s12, exec_lo, s12
; %bb.206:                              ;   in Loop: Header=BB2_142 Depth=2
	s_delay_alu instid0(VALU_DEP_2) | instskip(SKIP_2) | instid1(VALU_DEP_2)
	v_cmp_lt_u32_e32 vcc_lo, 0xffffff, v98
	v_sub_nc_u32_e32 v97, v99, v101
	v_cndmask_b32_e64 v99, 0, 1, vcc_lo
	v_add_co_ci_u32_e32 v97, vcc_lo, 0, v97, vcc_lo
	s_delay_alu instid0(VALU_DEP_2)
	v_lshrrev_b32_e32 v98, v99, v98
; %bb.207:                              ;   in Loop: Header=BB2_142 Depth=2
	s_and_not1_saveexec_b32 s12, s12
; %bb.208:                              ;   in Loop: Header=BB2_142 Depth=2
	s_delay_alu instid0(VALU_DEP_1)
	v_bfe_u32 v97, v98, 23, 1
; %bb.209:                              ;   in Loop: Header=BB2_142 Depth=2
	s_or_b32 exec_lo, exec_lo, s12
	v_lshrrev_b32_e32 v98, 20, v98
	s_delay_alu instid0(VALU_DEP_2) | instskip(SKIP_2) | instid1(VALU_DEP_2)
	v_cmp_gt_i32_e32 vcc_lo, 16, v97
	v_min_i32_e32 v99, 15, v97
	v_lshrrev_b32_e32 v10, 24, v10
	v_dual_cndmask_b32 v98, 7, v98 :: v_dual_lshlrev_b32 v99, 3, v99
	s_delay_alu instid0(VALU_DEP_2) | instskip(NEXT) | instid1(VALU_DEP_2)
	v_and_b32_e32 v10, 0x80, v10
	v_or_b32_e32 v97, v97, v98
	v_and_b32_e32 v101, 7, v98
	s_delay_alu instid0(VALU_DEP_2) | instskip(SKIP_1) | instid1(VALU_DEP_1)
	v_cmp_ne_u32_e32 vcc_lo, 0, v97
	v_and_b32_e32 v99, 0xf8, v99
	v_or3_b32 v10, v99, v10, v101
	s_delay_alu instid0(VALU_DEP_1)
	v_cndmask_b32_e32 v116, 0, v10, vcc_lo
.LBB2_210:                              ;   in Loop: Header=BB2_142 Depth=2
	s_or_b32 exec_lo, exec_lo, s28
.LBB2_211:                              ;   in Loop: Header=BB2_142 Depth=2
	s_delay_alu instid0(SALU_CYCLE_1) | instskip(SKIP_3) | instid1(VALU_DEP_1)
	s_or_b32 exec_lo, exec_lo, s27
	v_lshrrev_b16 v10, 8, v11
	s_mov_b32 s12, 0
	s_mov_b32 s28, exec_lo
                                        ; implicit-def: $sgpr27
	v_cmpx_lt_i16_e32 0x7f, v10
	s_xor_b32 s28, exec_lo, s28
	s_cbranch_execnz .LBB2_617
; %bb.212:                              ;   in Loop: Header=BB2_142 Depth=2
	s_or_saveexec_b32 s28, s28
	v_mov_b32_e32 v97, s27
	s_xor_b32 exec_lo, exec_lo, s28
	s_cbranch_execnz .LBB2_620
.LBB2_213:                              ;   in Loop: Header=BB2_142 Depth=2
	s_or_b32 exec_lo, exec_lo, s28
	s_and_saveexec_b32 s27, s12
	s_cbranch_execz .LBB2_215
.LBB2_214:                              ;   in Loop: Header=BB2_142 Depth=2
	v_and_b32_e32 v97, 0xffff, v10
	v_lshlrev_b32_e32 v10, 24, v10
	s_delay_alu instid0(VALU_DEP_2) | instskip(NEXT) | instid1(VALU_DEP_2)
	v_and_b32_e32 v98, 7, v97
	v_and_b32_e32 v10, 0x80000000, v10
	s_delay_alu instid0(VALU_DEP_2) | instskip(NEXT) | instid1(VALU_DEP_1)
	v_clz_i32_u32_e32 v99, v98
	v_min_u32_e32 v99, 32, v99
	s_delay_alu instid0(VALU_DEP_1) | instskip(SKIP_1) | instid1(VALU_DEP_2)
	v_subrev_nc_u32_e32 v101, 28, v99
	v_sub_nc_u32_e32 v99, 29, v99
	v_lshlrev_b32_e32 v101, v101, v97
	v_bfe_u32 v97, v97, 3, 4
	s_delay_alu instid0(VALU_DEP_2) | instskip(NEXT) | instid1(VALU_DEP_2)
	v_and_b32_e32 v101, 7, v101
	v_cmp_eq_u32_e32 vcc_lo, 0, v97
	s_delay_alu instid0(VALU_DEP_2) | instskip(NEXT) | instid1(VALU_DEP_1)
	v_dual_cndmask_b32 v97, v97, v99 :: v_dual_cndmask_b32 v98, v98, v101
	v_lshl_add_u32 v97, v97, 23, 0x3b800000
	s_delay_alu instid0(VALU_DEP_2) | instskip(NEXT) | instid1(VALU_DEP_1)
	v_lshlrev_b32_e32 v98, 20, v98
	v_or3_b32 v97, v10, v97, v98
.LBB2_215:                              ;   in Loop: Header=BB2_142 Depth=2
	s_or_b32 exec_lo, exec_lo, s27
	s_delay_alu instid0(VALU_DEP_1) | instskip(SKIP_1) | instid1(VALU_DEP_1)
	v_dual_mul_f32 v10, s26, v97 :: v_dual_mov_b32 v119, 0x8000
	s_mov_b32 s27, exec_lo
	v_and_b32_e32 v97, 0x7f800000, v10
	s_delay_alu instid0(VALU_DEP_1)
	v_cmpx_ne_u32_e32 0x7f800000, v97
	s_cbranch_execz .LBB2_223
; %bb.216:                              ;   in Loop: Header=BB2_142 Depth=2
	v_mov_b32_e32 v119, 0
	s_mov_b32 s28, exec_lo
	v_cmpx_ne_u32_e32 0, v10
	s_cbranch_execz .LBB2_222
; %bb.217:                              ;   in Loop: Header=BB2_142 Depth=2
	v_bfe_u32 v97, v10, 23, 8
	s_delay_alu instid0(VALU_DEP_1) | instskip(SKIP_1) | instid1(VALU_DEP_2)
	v_sub_nc_u32_e32 v99, 0x78, v97
	v_cmp_gt_u32_e32 vcc_lo, 0x79, v97
	v_dual_cndmask_b32 v99, 0, v99 :: v_dual_and_b32 v98, 0x7fffff, v10
	s_delay_alu instid0(VALU_DEP_1) | instskip(SKIP_2) | instid1(VALU_DEP_4)
	v_or_b32_e32 v101, 0x800000, v98
	v_cmp_eq_u32_e32 vcc_lo, 0, v97
	v_add_nc_u32_e32 v97, 0xffffff89, v97
	v_cndmask_b32_e64 v99, v99, 0x77, vcc_lo
	s_delay_alu instid0(VALU_DEP_4) | instskip(NEXT) | instid1(VALU_DEP_3)
	v_cndmask_b32_e32 v98, v101, v98, vcc_lo
	v_cndmask_b32_e64 v97, v97, 0xffffff8a, vcc_lo
	s_delay_alu instid0(VALU_DEP_3) | instskip(NEXT) | instid1(VALU_DEP_3)
	v_lshl_add_u32 v101, 0x100000, v99, -1
	v_lshrrev_b32_e32 v102, v99, v98
	v_lshlrev_b32_e64 v112, v99, 0x80000
	s_delay_alu instid0(VALU_DEP_4) | instskip(NEXT) | instid1(VALU_DEP_4)
	v_add_nc_u32_e32 v99, v99, v97
	v_and_b32_e32 v98, v101, v98
	s_delay_alu instid0(VALU_DEP_4) | instskip(NEXT) | instid1(VALU_DEP_2)
	v_bfe_u32 v103, v102, 20, 1
	v_cmp_eq_u32_e64 s12, v98, v112
	s_delay_alu instid0(VALU_DEP_2) | instskip(NEXT) | instid1(VALU_DEP_1)
	v_add_nc_u32_e32 v101, -1, v103
	v_cndmask_b32_e64 v98, 0, v101, s12
	v_lshrrev_b32_e32 v101, 23, v102
	s_mov_b32 s12, exec_lo
	s_delay_alu instid0(VALU_DEP_2) | instskip(NEXT) | instid1(VALU_DEP_2)
	v_add_nc_u32_e32 v98, v98, v102
	v_xor_b32_e32 v101, 1, v101
	s_delay_alu instid0(VALU_DEP_2) | instskip(NEXT) | instid1(VALU_DEP_1)
	v_and_b32_e32 v97, 0xfffff, v98
	v_add_nc_u32_e32 v98, v97, v102
                                        ; implicit-def: $vgpr97
	s_delay_alu instid0(VALU_DEP_3)
	v_cmpx_ne_u32_e64 v99, v101
	s_xor_b32 s12, exec_lo, s12
; %bb.218:                              ;   in Loop: Header=BB2_142 Depth=2
	s_delay_alu instid0(VALU_DEP_2) | instskip(SKIP_2) | instid1(VALU_DEP_2)
	v_cmp_lt_u32_e32 vcc_lo, 0xffffff, v98
	v_sub_nc_u32_e32 v97, v99, v101
	v_cndmask_b32_e64 v99, 0, 1, vcc_lo
	v_add_co_ci_u32_e32 v97, vcc_lo, 0, v97, vcc_lo
	s_delay_alu instid0(VALU_DEP_2)
	v_lshrrev_b32_e32 v98, v99, v98
; %bb.219:                              ;   in Loop: Header=BB2_142 Depth=2
	s_and_not1_saveexec_b32 s12, s12
; %bb.220:                              ;   in Loop: Header=BB2_142 Depth=2
	s_delay_alu instid0(VALU_DEP_1)
	v_bfe_u32 v97, v98, 23, 1
; %bb.221:                              ;   in Loop: Header=BB2_142 Depth=2
	s_or_b32 exec_lo, exec_lo, s12
	v_lshrrev_b32_e32 v98, 20, v98
	s_delay_alu instid0(VALU_DEP_2) | instskip(SKIP_2) | instid1(VALU_DEP_3)
	v_min_i32_e32 v99, 15, v97
	v_cmp_gt_i32_e32 vcc_lo, 16, v97
	v_lshrrev_b32_e32 v10, 24, v10
	v_dual_cndmask_b32 v98, 7, v98 :: v_dual_lshlrev_b32 v99, 3, v99
	s_delay_alu instid0(VALU_DEP_2) | instskip(NEXT) | instid1(VALU_DEP_2)
	v_and_b32_e32 v10, 0x80, v10
	v_and_b32_e32 v99, 0xf8, v99
	s_delay_alu instid0(VALU_DEP_3) | instskip(SKIP_1) | instid1(VALU_DEP_2)
	v_and_b32_e32 v101, 7, v98
	v_or_b32_e32 v97, v97, v98
	v_or3_b32 v10, v10, v99, v101
	s_delay_alu instid0(VALU_DEP_2) | instskip(NEXT) | instid1(VALU_DEP_2)
	v_cmp_ne_u32_e32 vcc_lo, 0, v97
	v_lshlrev_b32_e32 v10, 8, v10
	s_delay_alu instid0(VALU_DEP_1)
	v_cndmask_b32_e32 v119, 0, v10, vcc_lo
.LBB2_222:                              ;   in Loop: Header=BB2_142 Depth=2
	s_or_b32 exec_lo, exec_lo, s28
.LBB2_223:                              ;   in Loop: Header=BB2_142 Depth=2
	s_delay_alu instid0(SALU_CYCLE_1) | instskip(SKIP_3) | instid1(VALU_DEP_1)
	s_or_b32 exec_lo, exec_lo, s27
	v_lshrrev_b32_e32 v10, 16, v11
	s_mov_b32 s12, 0
	s_mov_b32 s28, exec_lo
                                        ; implicit-def: $sgpr27
	v_and_b32_e32 v98, 0xff, v10
	s_delay_alu instid0(VALU_DEP_1)
	v_cmpx_lt_i16_e32 0x7f, v98
	s_xor_b32 s28, exec_lo, s28
	s_cbranch_execnz .LBB2_621
; %bb.224:                              ;   in Loop: Header=BB2_142 Depth=2
	s_or_saveexec_b32 s28, s28
	v_mov_b32_e32 v97, s27
	s_xor_b32 exec_lo, exec_lo, s28
	s_cbranch_execnz .LBB2_624
.LBB2_225:                              ;   in Loop: Header=BB2_142 Depth=2
	s_or_b32 exec_lo, exec_lo, s28
	s_and_saveexec_b32 s27, s12
	s_cbranch_execz .LBB2_227
.LBB2_226:                              ;   in Loop: Header=BB2_142 Depth=2
	v_bfe_u32 v97, v11, 16, 3
	s_delay_alu instid0(VALU_DEP_1) | instskip(NEXT) | instid1(VALU_DEP_1)
	v_clz_i32_u32_e32 v98, v97
	v_min_u32_e32 v98, 32, v98
	s_delay_alu instid0(VALU_DEP_1) | instskip(SKIP_1) | instid1(VALU_DEP_2)
	v_subrev_nc_u32_e32 v99, 28, v98
	v_sub_nc_u32_e32 v98, 29, v98
	v_lshlrev_b32_e32 v10, v99, v10
	v_bfe_u32 v99, v11, 19, 4
	s_delay_alu instid0(VALU_DEP_2) | instskip(NEXT) | instid1(VALU_DEP_2)
	v_and_b32_e32 v10, 7, v10
	v_cmp_eq_u32_e32 vcc_lo, 0, v99
	v_dual_cndmask_b32 v98, v99, v98 :: v_dual_lshlrev_b32 v101, 8, v11
	s_delay_alu instid0(VALU_DEP_1) | instskip(NEXT) | instid1(VALU_DEP_2)
	v_dual_cndmask_b32 v10, v97, v10 :: v_dual_and_b32 v97, 0x80000000, v101
	v_lshl_add_u32 v98, v98, 23, 0x3b800000
	s_delay_alu instid0(VALU_DEP_2) | instskip(NEXT) | instid1(VALU_DEP_1)
	v_lshlrev_b32_e32 v10, 20, v10
	v_or3_b32 v97, v97, v98, v10
.LBB2_227:                              ;   in Loop: Header=BB2_142 Depth=2
	s_or_b32 exec_lo, exec_lo, s27
	s_delay_alu instid0(VALU_DEP_1) | instskip(SKIP_1) | instid1(VALU_DEP_1)
	v_dual_mul_f32 v10, s26, v97 :: v_dual_mov_b32 v115, 0x80
	s_mov_b32 s27, exec_lo
	v_and_b32_e32 v97, 0x7f800000, v10
	s_delay_alu instid0(VALU_DEP_1)
	v_cmpx_ne_u32_e32 0x7f800000, v97
	s_cbranch_execz .LBB2_235
; %bb.228:                              ;   in Loop: Header=BB2_142 Depth=2
	v_mov_b32_e32 v115, 0
	s_mov_b32 s28, exec_lo
	v_cmpx_ne_u32_e32 0, v10
	s_cbranch_execz .LBB2_234
; %bb.229:                              ;   in Loop: Header=BB2_142 Depth=2
	v_bfe_u32 v97, v10, 23, 8
	s_delay_alu instid0(VALU_DEP_1) | instskip(SKIP_1) | instid1(VALU_DEP_2)
	v_sub_nc_u32_e32 v99, 0x78, v97
	v_cmp_gt_u32_e32 vcc_lo, 0x79, v97
	v_dual_cndmask_b32 v99, 0, v99 :: v_dual_and_b32 v98, 0x7fffff, v10
	s_delay_alu instid0(VALU_DEP_1) | instskip(SKIP_2) | instid1(VALU_DEP_4)
	v_or_b32_e32 v101, 0x800000, v98
	v_cmp_eq_u32_e32 vcc_lo, 0, v97
	v_add_nc_u32_e32 v97, 0xffffff89, v97
	v_cndmask_b32_e64 v99, v99, 0x77, vcc_lo
	s_delay_alu instid0(VALU_DEP_4) | instskip(NEXT) | instid1(VALU_DEP_3)
	v_cndmask_b32_e32 v98, v101, v98, vcc_lo
	v_cndmask_b32_e64 v97, v97, 0xffffff8a, vcc_lo
	s_delay_alu instid0(VALU_DEP_3) | instskip(NEXT) | instid1(VALU_DEP_3)
	v_lshl_add_u32 v101, 0x100000, v99, -1
	v_lshrrev_b32_e32 v102, v99, v98
	v_lshlrev_b32_e64 v112, v99, 0x80000
	s_delay_alu instid0(VALU_DEP_4) | instskip(NEXT) | instid1(VALU_DEP_4)
	v_add_nc_u32_e32 v99, v99, v97
	v_and_b32_e32 v98, v101, v98
	s_delay_alu instid0(VALU_DEP_4) | instskip(NEXT) | instid1(VALU_DEP_2)
	v_bfe_u32 v103, v102, 20, 1
	v_cmp_eq_u32_e64 s12, v98, v112
	s_delay_alu instid0(VALU_DEP_2) | instskip(NEXT) | instid1(VALU_DEP_1)
	v_add_nc_u32_e32 v101, -1, v103
	v_cndmask_b32_e64 v98, 0, v101, s12
	v_lshrrev_b32_e32 v101, 23, v102
	s_mov_b32 s12, exec_lo
	s_delay_alu instid0(VALU_DEP_2) | instskip(NEXT) | instid1(VALU_DEP_2)
	v_add_nc_u32_e32 v98, v98, v102
	v_xor_b32_e32 v101, 1, v101
	s_delay_alu instid0(VALU_DEP_2) | instskip(NEXT) | instid1(VALU_DEP_1)
	v_and_b32_e32 v97, 0xfffff, v98
	v_add_nc_u32_e32 v98, v97, v102
                                        ; implicit-def: $vgpr97
	s_delay_alu instid0(VALU_DEP_3)
	v_cmpx_ne_u32_e64 v99, v101
	s_xor_b32 s12, exec_lo, s12
; %bb.230:                              ;   in Loop: Header=BB2_142 Depth=2
	s_delay_alu instid0(VALU_DEP_2) | instskip(SKIP_2) | instid1(VALU_DEP_2)
	v_cmp_lt_u32_e32 vcc_lo, 0xffffff, v98
	v_sub_nc_u32_e32 v97, v99, v101
	v_cndmask_b32_e64 v99, 0, 1, vcc_lo
	v_add_co_ci_u32_e32 v97, vcc_lo, 0, v97, vcc_lo
	s_delay_alu instid0(VALU_DEP_2)
	v_lshrrev_b32_e32 v98, v99, v98
; %bb.231:                              ;   in Loop: Header=BB2_142 Depth=2
	s_and_not1_saveexec_b32 s12, s12
; %bb.232:                              ;   in Loop: Header=BB2_142 Depth=2
	s_delay_alu instid0(VALU_DEP_1)
	v_bfe_u32 v97, v98, 23, 1
; %bb.233:                              ;   in Loop: Header=BB2_142 Depth=2
	s_or_b32 exec_lo, exec_lo, s12
	v_lshrrev_b32_e32 v98, 20, v98
	s_delay_alu instid0(VALU_DEP_2) | instskip(SKIP_2) | instid1(VALU_DEP_3)
	v_min_i32_e32 v99, 15, v97
	v_cmp_gt_i32_e32 vcc_lo, 16, v97
	v_lshrrev_b32_e32 v10, 24, v10
	v_dual_cndmask_b32 v98, 7, v98 :: v_dual_lshlrev_b32 v99, 3, v99
	s_delay_alu instid0(VALU_DEP_2) | instskip(NEXT) | instid1(VALU_DEP_2)
	v_and_b32_e32 v10, 0x80, v10
	v_and_b32_e32 v99, 0xf8, v99
	s_delay_alu instid0(VALU_DEP_3) | instskip(SKIP_1) | instid1(VALU_DEP_2)
	v_and_b32_e32 v101, 7, v98
	v_or_b32_e32 v97, v97, v98
	v_or3_b32 v10, v99, v10, v101
	s_delay_alu instid0(VALU_DEP_2) | instskip(NEXT) | instid1(VALU_DEP_2)
	v_cmp_ne_u32_e32 vcc_lo, 0, v97
	v_cndmask_b32_e32 v115, 0, v10, vcc_lo
.LBB2_234:                              ;   in Loop: Header=BB2_142 Depth=2
	s_or_b32 exec_lo, exec_lo, s28
.LBB2_235:                              ;   in Loop: Header=BB2_142 Depth=2
	s_delay_alu instid0(SALU_CYCLE_1) | instskip(SKIP_3) | instid1(VALU_DEP_1)
	s_or_b32 exec_lo, exec_lo, s27
	v_lshrrev_b32_e32 v10, 24, v11
	s_mov_b32 s12, 0
	s_mov_b32 s28, exec_lo
                                        ; implicit-def: $sgpr27
	v_cmpx_lt_i16_e32 0x7f, v10
	s_xor_b32 s28, exec_lo, s28
	s_cbranch_execnz .LBB2_625
; %bb.236:                              ;   in Loop: Header=BB2_142 Depth=2
	s_or_saveexec_b32 s28, s28
	v_mov_b32_e32 v97, s27
	s_xor_b32 exec_lo, exec_lo, s28
	s_cbranch_execnz .LBB2_628
.LBB2_237:                              ;   in Loop: Header=BB2_142 Depth=2
	s_or_b32 exec_lo, exec_lo, s28
	s_and_saveexec_b32 s27, s12
	s_cbranch_execz .LBB2_239
.LBB2_238:                              ;   in Loop: Header=BB2_142 Depth=2
	v_bfe_u32 v97, v11, 24, 3
	s_delay_alu instid0(VALU_DEP_1) | instskip(NEXT) | instid1(VALU_DEP_1)
	v_clz_i32_u32_e32 v98, v97
	v_min_u32_e32 v98, 32, v98
	s_delay_alu instid0(VALU_DEP_1) | instskip(SKIP_1) | instid1(VALU_DEP_2)
	v_subrev_nc_u32_e32 v99, 28, v98
	v_sub_nc_u32_e32 v98, 29, v98
	v_lshlrev_b32_e32 v10, v99, v10
	v_bfe_u32 v99, v11, 27, 4
	v_and_b32_e32 v11, 0x80000000, v11
	s_delay_alu instid0(VALU_DEP_3) | instskip(NEXT) | instid1(VALU_DEP_3)
	v_and_b32_e32 v10, 7, v10
	v_cmp_eq_u32_e32 vcc_lo, 0, v99
	v_cndmask_b32_e32 v98, v99, v98, vcc_lo
	s_delay_alu instid0(VALU_DEP_3) | instskip(NEXT) | instid1(VALU_DEP_2)
	v_cndmask_b32_e32 v10, v97, v10, vcc_lo
	v_lshl_add_u32 v97, v98, 23, 0x3b800000
	s_delay_alu instid0(VALU_DEP_2) | instskip(NEXT) | instid1(VALU_DEP_1)
	v_lshlrev_b32_e32 v10, 20, v10
	v_or3_b32 v97, v11, v97, v10
.LBB2_239:                              ;   in Loop: Header=BB2_142 Depth=2
	s_or_b32 exec_lo, exec_lo, s27
	s_delay_alu instid0(VALU_DEP_1) | instskip(SKIP_2) | instid1(VALU_DEP_2)
	v_mul_f32_e32 v10, s26, v97
	v_mov_b32_e32 v118, 0x8000
	s_mov_b32 s27, exec_lo
	v_and_b32_e32 v11, 0x7f800000, v10
	s_delay_alu instid0(VALU_DEP_1)
	v_cmpx_ne_u32_e32 0x7f800000, v11
	s_cbranch_execz .LBB2_247
; %bb.240:                              ;   in Loop: Header=BB2_142 Depth=2
	v_mov_b32_e32 v118, 0
	s_mov_b32 s28, exec_lo
	v_cmpx_ne_u32_e32 0, v10
	s_cbranch_execz .LBB2_246
; %bb.241:                              ;   in Loop: Header=BB2_142 Depth=2
	v_bfe_u32 v11, v10, 23, 8
	v_and_b32_e32 v97, 0x7fffff, v10
	s_delay_alu instid0(VALU_DEP_2) | instskip(SKIP_1) | instid1(VALU_DEP_3)
	v_sub_nc_u32_e32 v98, 0x78, v11
	v_cmp_gt_u32_e32 vcc_lo, 0x79, v11
	v_or_b32_e32 v99, 0x800000, v97
	s_delay_alu instid0(VALU_DEP_3) | instskip(SKIP_2) | instid1(VALU_DEP_4)
	v_cndmask_b32_e32 v98, 0, v98, vcc_lo
	v_cmp_eq_u32_e32 vcc_lo, 0, v11
	v_add_nc_u32_e32 v11, 0xffffff89, v11
	v_cndmask_b32_e32 v97, v99, v97, vcc_lo
	s_delay_alu instid0(VALU_DEP_4) | instskip(NEXT) | instid1(VALU_DEP_3)
	v_cndmask_b32_e64 v98, v98, 0x77, vcc_lo
	v_cndmask_b32_e64 v11, v11, 0xffffff8a, vcc_lo
	s_delay_alu instid0(VALU_DEP_2) | instskip(SKIP_2) | instid1(VALU_DEP_4)
	v_lshrrev_b32_e32 v101, v98, v97
	v_lshl_add_u32 v99, 0x100000, v98, -1
	v_lshlrev_b32_e64 v103, v98, 0x80000
	v_add_nc_u32_e32 v98, v98, v11
	s_delay_alu instid0(VALU_DEP_4) | instskip(NEXT) | instid1(VALU_DEP_4)
	v_bfe_u32 v102, v101, 20, 1
	v_and_b32_e32 v97, v99, v97
	s_delay_alu instid0(VALU_DEP_2) | instskip(NEXT) | instid1(VALU_DEP_2)
	v_add_nc_u32_e32 v99, -1, v102
	v_cmp_eq_u32_e64 s12, v97, v103
	s_delay_alu instid0(VALU_DEP_1) | instskip(SKIP_2) | instid1(VALU_DEP_2)
	v_cndmask_b32_e64 v97, 0, v99, s12
	v_lshrrev_b32_e32 v99, 23, v101
	s_mov_b32 s12, exec_lo
	v_add_nc_u32_e32 v97, v97, v101
	s_delay_alu instid0(VALU_DEP_2) | instskip(NEXT) | instid1(VALU_DEP_2)
	v_xor_b32_e32 v99, 1, v99
	v_and_b32_e32 v11, 0xfffff, v97
	s_delay_alu instid0(VALU_DEP_1) | instskip(NEXT) | instid1(VALU_DEP_3)
	v_add_nc_u32_e32 v97, v11, v101
                                        ; implicit-def: $vgpr11
	v_cmpx_ne_u32_e64 v98, v99
	s_xor_b32 s12, exec_lo, s12
; %bb.242:                              ;   in Loop: Header=BB2_142 Depth=2
	s_delay_alu instid0(VALU_DEP_2) | instskip(SKIP_2) | instid1(VALU_DEP_2)
	v_cmp_lt_u32_e32 vcc_lo, 0xffffff, v97
	v_sub_nc_u32_e32 v11, v98, v99
	v_cndmask_b32_e64 v98, 0, 1, vcc_lo
	v_add_co_ci_u32_e32 v11, vcc_lo, 0, v11, vcc_lo
	s_delay_alu instid0(VALU_DEP_2)
	v_lshrrev_b32_e32 v97, v98, v97
; %bb.243:                              ;   in Loop: Header=BB2_142 Depth=2
	s_and_not1_saveexec_b32 s12, s12
; %bb.244:                              ;   in Loop: Header=BB2_142 Depth=2
	s_delay_alu instid0(VALU_DEP_1)
	v_bfe_u32 v11, v97, 23, 1
; %bb.245:                              ;   in Loop: Header=BB2_142 Depth=2
	s_or_b32 exec_lo, exec_lo, s12
	v_lshrrev_b32_e32 v97, 20, v97
	s_delay_alu instid0(VALU_DEP_2) | instskip(SKIP_2) | instid1(VALU_DEP_2)
	v_cmp_gt_i32_e32 vcc_lo, 16, v11
	v_min_i32_e32 v98, 15, v11
	v_lshrrev_b32_e32 v10, 24, v10
	v_dual_cndmask_b32 v97, 7, v97 :: v_dual_lshlrev_b32 v98, 3, v98
	s_delay_alu instid0(VALU_DEP_2) | instskip(NEXT) | instid1(VALU_DEP_2)
	v_and_b32_e32 v10, 0x80, v10
	v_or_b32_e32 v11, v11, v97
	s_delay_alu instid0(VALU_DEP_3) | instskip(NEXT) | instid1(VALU_DEP_2)
	v_and_b32_e32 v98, 0xf8, v98
	v_cmp_ne_u32_e32 vcc_lo, 0, v11
	v_and_b32_e32 v99, 7, v97
	s_delay_alu instid0(VALU_DEP_1) | instskip(NEXT) | instid1(VALU_DEP_1)
	v_or3_b32 v10, v10, v98, v99
	v_lshlrev_b32_e32 v10, 8, v10
	s_delay_alu instid0(VALU_DEP_1)
	v_cndmask_b32_e32 v118, 0, v10, vcc_lo
.LBB2_246:                              ;   in Loop: Header=BB2_142 Depth=2
	s_or_b32 exec_lo, exec_lo, s28
.LBB2_247:                              ;   in Loop: Header=BB2_142 Depth=2
	s_delay_alu instid0(SALU_CYCLE_1) | instskip(SKIP_3) | instid1(VALU_DEP_1)
	s_or_b32 exec_lo, exec_lo, s27
	v_and_b32_e32 v11, 0xff, v12
	s_mov_b32 s12, 0
	s_mov_b32 s28, exec_lo
                                        ; implicit-def: $sgpr27
	v_cmpx_lt_i16_e32 0x7f, v11
	s_xor_b32 s28, exec_lo, s28
	s_cbranch_execnz .LBB2_629
; %bb.248:                              ;   in Loop: Header=BB2_142 Depth=2
	s_or_saveexec_b32 s28, s28
	v_mov_b32_e32 v10, s27
	s_xor_b32 exec_lo, exec_lo, s28
	s_cbranch_execnz .LBB2_632
.LBB2_249:                              ;   in Loop: Header=BB2_142 Depth=2
	s_or_b32 exec_lo, exec_lo, s28
	s_and_saveexec_b32 s27, s12
	s_cbranch_execz .LBB2_251
.LBB2_250:                              ;   in Loop: Header=BB2_142 Depth=2
	v_bfe_u32 v98, v12, 3, 4
	s_delay_alu instid0(VALU_DEP_1) | instskip(SKIP_1) | instid1(VALU_DEP_1)
	v_cmp_eq_u32_e32 vcc_lo, 0, v98
	v_and_b32_e32 v10, 7, v12
	v_clz_i32_u32_e32 v11, v10
	s_delay_alu instid0(VALU_DEP_1) | instskip(NEXT) | instid1(VALU_DEP_1)
	v_min_u32_e32 v11, 32, v11
	v_subrev_nc_u32_e32 v97, 28, v11
	v_sub_nc_u32_e32 v11, 29, v11
	s_delay_alu instid0(VALU_DEP_2) | instskip(NEXT) | instid1(VALU_DEP_2)
	v_lshlrev_b32_e32 v97, v97, v12
	v_cndmask_b32_e32 v11, v98, v11, vcc_lo
	s_delay_alu instid0(VALU_DEP_2) | instskip(SKIP_1) | instid1(VALU_DEP_3)
	v_and_b32_e32 v97, 7, v97
	v_lshlrev_b32_e32 v99, 24, v12
	v_lshl_add_u32 v11, v11, 23, 0x3b800000
	s_delay_alu instid0(VALU_DEP_2) | instskip(NEXT) | instid1(VALU_DEP_1)
	v_dual_cndmask_b32 v10, v10, v97 :: v_dual_and_b32 v97, 0x80000000, v99
	v_lshlrev_b32_e32 v10, 20, v10
	s_delay_alu instid0(VALU_DEP_1)
	v_or3_b32 v10, v97, v11, v10
.LBB2_251:                              ;   in Loop: Header=BB2_142 Depth=2
	s_or_b32 exec_lo, exec_lo, s27
	s_delay_alu instid0(VALU_DEP_1) | instskip(SKIP_1) | instid1(VALU_DEP_1)
	v_dual_mul_f32 v10, s26, v10 :: v_dual_mov_b32 v113, 0x80
	s_mov_b32 s27, exec_lo
	v_and_b32_e32 v11, 0x7f800000, v10
	s_delay_alu instid0(VALU_DEP_1)
	v_cmpx_ne_u32_e32 0x7f800000, v11
	s_cbranch_execz .LBB2_259
; %bb.252:                              ;   in Loop: Header=BB2_142 Depth=2
	v_mov_b32_e32 v113, 0
	s_mov_b32 s28, exec_lo
	v_cmpx_ne_u32_e32 0, v10
	s_cbranch_execz .LBB2_258
; %bb.253:                              ;   in Loop: Header=BB2_142 Depth=2
	v_bfe_u32 v11, v10, 23, 8
	v_and_b32_e32 v97, 0x7fffff, v10
	s_delay_alu instid0(VALU_DEP_2) | instskip(SKIP_1) | instid1(VALU_DEP_3)
	v_sub_nc_u32_e32 v98, 0x78, v11
	v_cmp_gt_u32_e32 vcc_lo, 0x79, v11
	v_or_b32_e32 v99, 0x800000, v97
	s_delay_alu instid0(VALU_DEP_3) | instskip(SKIP_2) | instid1(VALU_DEP_4)
	v_cndmask_b32_e32 v98, 0, v98, vcc_lo
	v_cmp_eq_u32_e32 vcc_lo, 0, v11
	v_add_nc_u32_e32 v11, 0xffffff89, v11
	v_cndmask_b32_e32 v97, v99, v97, vcc_lo
	s_delay_alu instid0(VALU_DEP_4) | instskip(NEXT) | instid1(VALU_DEP_3)
	v_cndmask_b32_e64 v98, v98, 0x77, vcc_lo
	v_cndmask_b32_e64 v11, v11, 0xffffff8a, vcc_lo
	s_delay_alu instid0(VALU_DEP_2) | instskip(SKIP_2) | instid1(VALU_DEP_4)
	v_lshrrev_b32_e32 v101, v98, v97
	v_lshl_add_u32 v99, 0x100000, v98, -1
	v_lshlrev_b32_e64 v103, v98, 0x80000
	v_add_nc_u32_e32 v98, v98, v11
	s_delay_alu instid0(VALU_DEP_4) | instskip(NEXT) | instid1(VALU_DEP_4)
	v_bfe_u32 v102, v101, 20, 1
	v_and_b32_e32 v97, v99, v97
	s_delay_alu instid0(VALU_DEP_2) | instskip(NEXT) | instid1(VALU_DEP_2)
	v_add_nc_u32_e32 v99, -1, v102
	v_cmp_eq_u32_e64 s12, v97, v103
	s_delay_alu instid0(VALU_DEP_1) | instskip(SKIP_2) | instid1(VALU_DEP_2)
	v_cndmask_b32_e64 v97, 0, v99, s12
	v_lshrrev_b32_e32 v99, 23, v101
	s_mov_b32 s12, exec_lo
	v_add_nc_u32_e32 v97, v97, v101
	s_delay_alu instid0(VALU_DEP_2) | instskip(NEXT) | instid1(VALU_DEP_2)
	v_xor_b32_e32 v99, 1, v99
	v_and_b32_e32 v11, 0xfffff, v97
	s_delay_alu instid0(VALU_DEP_1) | instskip(NEXT) | instid1(VALU_DEP_3)
	v_add_nc_u32_e32 v97, v11, v101
                                        ; implicit-def: $vgpr11
	v_cmpx_ne_u32_e64 v98, v99
	s_xor_b32 s12, exec_lo, s12
; %bb.254:                              ;   in Loop: Header=BB2_142 Depth=2
	s_delay_alu instid0(VALU_DEP_2) | instskip(SKIP_2) | instid1(VALU_DEP_2)
	v_cmp_lt_u32_e32 vcc_lo, 0xffffff, v97
	v_sub_nc_u32_e32 v11, v98, v99
	v_cndmask_b32_e64 v98, 0, 1, vcc_lo
	v_add_co_ci_u32_e32 v11, vcc_lo, 0, v11, vcc_lo
	s_delay_alu instid0(VALU_DEP_2)
	v_lshrrev_b32_e32 v97, v98, v97
; %bb.255:                              ;   in Loop: Header=BB2_142 Depth=2
	s_and_not1_saveexec_b32 s12, s12
; %bb.256:                              ;   in Loop: Header=BB2_142 Depth=2
	s_delay_alu instid0(VALU_DEP_1)
	v_bfe_u32 v11, v97, 23, 1
; %bb.257:                              ;   in Loop: Header=BB2_142 Depth=2
	s_or_b32 exec_lo, exec_lo, s12
	v_lshrrev_b32_e32 v97, 20, v97
	s_delay_alu instid0(VALU_DEP_2) | instskip(SKIP_2) | instid1(VALU_DEP_2)
	v_cmp_gt_i32_e32 vcc_lo, 16, v11
	v_lshrrev_b32_e32 v10, 24, v10
	v_min_i32_e32 v98, 15, v11
	v_dual_cndmask_b32 v97, 7, v97 :: v_dual_and_b32 v10, 0x80, v10
	s_delay_alu instid0(VALU_DEP_2) | instskip(NEXT) | instid1(VALU_DEP_2)
	v_lshlrev_b32_e32 v98, 3, v98
	v_and_b32_e32 v99, 7, v97
	v_or_b32_e32 v11, v11, v97
	s_delay_alu instid0(VALU_DEP_2) | instskip(NEXT) | instid1(VALU_DEP_2)
	v_or3_b32 v10, v98, v10, v99
	v_cmp_ne_u32_e32 vcc_lo, 0, v11
	s_delay_alu instid0(VALU_DEP_2)
	v_cndmask_b32_e32 v113, 0, v10, vcc_lo
.LBB2_258:                              ;   in Loop: Header=BB2_142 Depth=2
	s_or_b32 exec_lo, exec_lo, s28
.LBB2_259:                              ;   in Loop: Header=BB2_142 Depth=2
	s_delay_alu instid0(SALU_CYCLE_1) | instskip(SKIP_3) | instid1(VALU_DEP_1)
	s_or_b32 exec_lo, exec_lo, s27
	v_lshrrev_b16 v10, 8, v12
	s_mov_b32 s12, 0
	s_mov_b32 s28, exec_lo
                                        ; implicit-def: $sgpr27
	v_cmpx_lt_i16_e32 0x7f, v10
	s_xor_b32 s28, exec_lo, s28
	s_cbranch_execnz .LBB2_633
; %bb.260:                              ;   in Loop: Header=BB2_142 Depth=2
	s_or_saveexec_b32 s28, s28
	v_mov_b32_e32 v11, s27
	s_xor_b32 exec_lo, exec_lo, s28
	s_cbranch_execnz .LBB2_636
.LBB2_261:                              ;   in Loop: Header=BB2_142 Depth=2
	s_or_b32 exec_lo, exec_lo, s28
	s_and_saveexec_b32 s27, s12
	s_cbranch_execz .LBB2_263
.LBB2_262:                              ;   in Loop: Header=BB2_142 Depth=2
	v_and_b32_e32 v11, 0xffff, v10
	s_delay_alu instid0(VALU_DEP_1) | instskip(NEXT) | instid1(VALU_DEP_1)
	v_and_b32_e32 v97, 7, v11
	v_clz_i32_u32_e32 v98, v97
	s_delay_alu instid0(VALU_DEP_1) | instskip(NEXT) | instid1(VALU_DEP_1)
	v_min_u32_e32 v98, 32, v98
	v_subrev_nc_u32_e32 v99, 28, v98
	v_sub_nc_u32_e32 v98, 29, v98
	s_delay_alu instid0(VALU_DEP_2) | instskip(SKIP_1) | instid1(VALU_DEP_2)
	v_lshlrev_b32_e32 v99, v99, v11
	v_bfe_u32 v11, v11, 3, 4
	v_and_b32_e32 v99, 7, v99
	s_delay_alu instid0(VALU_DEP_2) | instskip(NEXT) | instid1(VALU_DEP_2)
	v_cmp_eq_u32_e32 vcc_lo, 0, v11
	v_dual_cndmask_b32 v97, v97, v99 :: v_dual_lshlrev_b32 v10, 24, v10
	v_cndmask_b32_e32 v11, v11, v98, vcc_lo
	s_delay_alu instid0(VALU_DEP_2) | instskip(NEXT) | instid1(VALU_DEP_3)
	v_and_b32_e32 v10, 0x80000000, v10
	v_lshlrev_b32_e32 v97, 20, v97
	s_delay_alu instid0(VALU_DEP_3) | instskip(NEXT) | instid1(VALU_DEP_1)
	v_lshl_add_u32 v11, v11, 23, 0x3b800000
	v_or3_b32 v11, v10, v11, v97
.LBB2_263:                              ;   in Loop: Header=BB2_142 Depth=2
	s_or_b32 exec_lo, exec_lo, s27
	s_delay_alu instid0(VALU_DEP_1) | instskip(SKIP_1) | instid1(VALU_DEP_1)
	v_dual_mul_f32 v10, s26, v11 :: v_dual_mov_b32 v103, 0x80
	s_mov_b32 s27, exec_lo
	v_and_b32_e32 v11, 0x7f800000, v10
	s_delay_alu instid0(VALU_DEP_1)
	v_cmpx_ne_u32_e32 0x7f800000, v11
	s_cbranch_execz .LBB2_271
; %bb.264:                              ;   in Loop: Header=BB2_142 Depth=2
	v_mov_b32_e32 v103, 0
	s_mov_b32 s28, exec_lo
	v_cmpx_ne_u32_e32 0, v10
	s_cbranch_execz .LBB2_270
; %bb.265:                              ;   in Loop: Header=BB2_142 Depth=2
	v_bfe_u32 v11, v10, 23, 8
	v_and_b32_e32 v97, 0x7fffff, v10
	s_delay_alu instid0(VALU_DEP_2) | instskip(SKIP_1) | instid1(VALU_DEP_3)
	v_sub_nc_u32_e32 v98, 0x78, v11
	v_cmp_gt_u32_e32 vcc_lo, 0x79, v11
	v_or_b32_e32 v99, 0x800000, v97
	s_delay_alu instid0(VALU_DEP_3) | instskip(SKIP_2) | instid1(VALU_DEP_4)
	v_cndmask_b32_e32 v98, 0, v98, vcc_lo
	v_cmp_eq_u32_e32 vcc_lo, 0, v11
	v_add_nc_u32_e32 v11, 0xffffff89, v11
	v_cndmask_b32_e32 v97, v99, v97, vcc_lo
	s_delay_alu instid0(VALU_DEP_4) | instskip(NEXT) | instid1(VALU_DEP_3)
	v_cndmask_b32_e64 v98, v98, 0x77, vcc_lo
	v_cndmask_b32_e64 v11, v11, 0xffffff8a, vcc_lo
	s_delay_alu instid0(VALU_DEP_2) | instskip(SKIP_2) | instid1(VALU_DEP_4)
	v_lshrrev_b32_e32 v101, v98, v97
	v_lshl_add_u32 v99, 0x100000, v98, -1
	v_lshlrev_b32_e64 v103, v98, 0x80000
	v_add_nc_u32_e32 v98, v98, v11
	s_delay_alu instid0(VALU_DEP_4) | instskip(NEXT) | instid1(VALU_DEP_4)
	v_bfe_u32 v102, v101, 20, 1
	v_and_b32_e32 v97, v99, v97
	s_delay_alu instid0(VALU_DEP_2) | instskip(NEXT) | instid1(VALU_DEP_2)
	v_add_nc_u32_e32 v99, -1, v102
	v_cmp_eq_u32_e64 s12, v97, v103
	s_delay_alu instid0(VALU_DEP_1) | instskip(SKIP_2) | instid1(VALU_DEP_2)
	v_cndmask_b32_e64 v97, 0, v99, s12
	v_lshrrev_b32_e32 v99, 23, v101
	s_mov_b32 s12, exec_lo
	v_add_nc_u32_e32 v97, v97, v101
	s_delay_alu instid0(VALU_DEP_2) | instskip(NEXT) | instid1(VALU_DEP_2)
	v_xor_b32_e32 v99, 1, v99
	v_and_b32_e32 v11, 0xfffff, v97
	s_delay_alu instid0(VALU_DEP_1) | instskip(NEXT) | instid1(VALU_DEP_3)
	v_add_nc_u32_e32 v97, v11, v101
                                        ; implicit-def: $vgpr11
	v_cmpx_ne_u32_e64 v98, v99
	s_xor_b32 s12, exec_lo, s12
; %bb.266:                              ;   in Loop: Header=BB2_142 Depth=2
	s_delay_alu instid0(VALU_DEP_2) | instskip(SKIP_2) | instid1(VALU_DEP_2)
	v_cmp_lt_u32_e32 vcc_lo, 0xffffff, v97
	v_sub_nc_u32_e32 v11, v98, v99
	v_cndmask_b32_e64 v98, 0, 1, vcc_lo
	v_add_co_ci_u32_e32 v11, vcc_lo, 0, v11, vcc_lo
	s_delay_alu instid0(VALU_DEP_2)
	v_lshrrev_b32_e32 v97, v98, v97
; %bb.267:                              ;   in Loop: Header=BB2_142 Depth=2
	s_and_not1_saveexec_b32 s12, s12
; %bb.268:                              ;   in Loop: Header=BB2_142 Depth=2
	s_delay_alu instid0(VALU_DEP_1)
	v_bfe_u32 v11, v97, 23, 1
; %bb.269:                              ;   in Loop: Header=BB2_142 Depth=2
	s_or_b32 exec_lo, exec_lo, s12
	v_lshrrev_b32_e32 v97, 20, v97
	s_delay_alu instid0(VALU_DEP_2) | instskip(SKIP_2) | instid1(VALU_DEP_2)
	v_cmp_gt_i32_e32 vcc_lo, 16, v11
	v_lshrrev_b32_e32 v10, 24, v10
	v_min_i32_e32 v98, 15, v11
	v_dual_cndmask_b32 v97, 7, v97 :: v_dual_and_b32 v10, 0x80, v10
	s_delay_alu instid0(VALU_DEP_2) | instskip(NEXT) | instid1(VALU_DEP_2)
	v_lshlrev_b32_e32 v98, 3, v98
	v_and_b32_e32 v99, 7, v97
	v_or_b32_e32 v11, v11, v97
	s_delay_alu instid0(VALU_DEP_2) | instskip(NEXT) | instid1(VALU_DEP_2)
	v_or3_b32 v10, v98, v10, v99
	v_cmp_ne_u32_e32 vcc_lo, 0, v11
	s_delay_alu instid0(VALU_DEP_2)
	v_cndmask_b32_e32 v103, 0, v10, vcc_lo
.LBB2_270:                              ;   in Loop: Header=BB2_142 Depth=2
	s_or_b32 exec_lo, exec_lo, s28
.LBB2_271:                              ;   in Loop: Header=BB2_142 Depth=2
	s_delay_alu instid0(SALU_CYCLE_1) | instskip(SKIP_3) | instid1(VALU_DEP_1)
	s_or_b32 exec_lo, exec_lo, s27
	v_lshrrev_b32_e32 v10, 16, v12
	s_mov_b32 s12, 0
	s_mov_b32 s28, exec_lo
                                        ; implicit-def: $sgpr27
	v_and_b32_e32 v97, 0xff, v10
	s_delay_alu instid0(VALU_DEP_1)
	v_cmpx_lt_i16_e32 0x7f, v97
	s_xor_b32 s28, exec_lo, s28
	s_cbranch_execnz .LBB2_637
; %bb.272:                              ;   in Loop: Header=BB2_142 Depth=2
	s_or_saveexec_b32 s28, s28
	v_mov_b32_e32 v11, s27
	s_xor_b32 exec_lo, exec_lo, s28
	s_cbranch_execnz .LBB2_640
.LBB2_273:                              ;   in Loop: Header=BB2_142 Depth=2
	s_or_b32 exec_lo, exec_lo, s28
	s_and_saveexec_b32 s27, s12
	s_cbranch_execz .LBB2_275
.LBB2_274:                              ;   in Loop: Header=BB2_142 Depth=2
	v_bfe_u32 v11, v12, 16, 3
	s_delay_alu instid0(VALU_DEP_1) | instskip(NEXT) | instid1(VALU_DEP_1)
	v_clz_i32_u32_e32 v97, v11
	v_min_u32_e32 v97, 32, v97
	s_delay_alu instid0(VALU_DEP_1) | instskip(SKIP_1) | instid1(VALU_DEP_2)
	v_subrev_nc_u32_e32 v98, 28, v97
	v_sub_nc_u32_e32 v97, 29, v97
	v_lshlrev_b32_e32 v10, v98, v10
	v_bfe_u32 v98, v12, 19, 4
	s_delay_alu instid0(VALU_DEP_1) | instskip(NEXT) | instid1(VALU_DEP_3)
	v_cmp_eq_u32_e32 vcc_lo, 0, v98
	v_dual_cndmask_b32 v97, v98, v97 :: v_dual_and_b32 v10, 7, v10
	s_delay_alu instid0(VALU_DEP_1) | instskip(NEXT) | instid1(VALU_DEP_2)
	v_dual_cndmask_b32 v10, v11, v10 :: v_dual_lshlrev_b32 v99, 8, v12
	v_lshl_add_u32 v97, v97, 23, 0x3b800000
	s_delay_alu instid0(VALU_DEP_2) | instskip(NEXT) | instid1(VALU_DEP_3)
	v_and_b32_e32 v11, 0x80000000, v99
	v_lshlrev_b32_e32 v10, 20, v10
	s_delay_alu instid0(VALU_DEP_1)
	v_or3_b32 v11, v11, v97, v10
.LBB2_275:                              ;   in Loop: Header=BB2_142 Depth=2
	s_or_b32 exec_lo, exec_lo, s27
	s_delay_alu instid0(VALU_DEP_1) | instskip(SKIP_2) | instid1(VALU_DEP_2)
	v_mul_f32_e32 v10, s26, v11
	v_mov_b32_e32 v102, 0x80
	s_mov_b32 s27, exec_lo
	v_and_b32_e32 v11, 0x7f800000, v10
	s_delay_alu instid0(VALU_DEP_1)
	v_cmpx_ne_u32_e32 0x7f800000, v11
	s_cbranch_execz .LBB2_283
; %bb.276:                              ;   in Loop: Header=BB2_142 Depth=2
	v_mov_b32_e32 v102, 0
	s_mov_b32 s28, exec_lo
	v_cmpx_ne_u32_e32 0, v10
	s_cbranch_execz .LBB2_282
; %bb.277:                              ;   in Loop: Header=BB2_142 Depth=2
	v_bfe_u32 v11, v10, 23, 8
	v_and_b32_e32 v97, 0x7fffff, v10
	s_delay_alu instid0(VALU_DEP_2) | instskip(SKIP_1) | instid1(VALU_DEP_3)
	v_sub_nc_u32_e32 v98, 0x78, v11
	v_cmp_gt_u32_e32 vcc_lo, 0x79, v11
	v_or_b32_e32 v99, 0x800000, v97
	s_delay_alu instid0(VALU_DEP_3) | instskip(SKIP_2) | instid1(VALU_DEP_4)
	v_cndmask_b32_e32 v98, 0, v98, vcc_lo
	v_cmp_eq_u32_e32 vcc_lo, 0, v11
	v_add_nc_u32_e32 v11, 0xffffff89, v11
	v_cndmask_b32_e32 v97, v99, v97, vcc_lo
	s_delay_alu instid0(VALU_DEP_4) | instskip(NEXT) | instid1(VALU_DEP_3)
	v_cndmask_b32_e64 v98, v98, 0x77, vcc_lo
	v_cndmask_b32_e64 v11, v11, 0xffffff8a, vcc_lo
	s_delay_alu instid0(VALU_DEP_2) | instskip(SKIP_2) | instid1(VALU_DEP_4)
	v_lshrrev_b32_e32 v101, v98, v97
	v_lshl_add_u32 v99, 0x100000, v98, -1
	v_lshlrev_b32_e64 v112, v98, 0x80000
	v_add_nc_u32_e32 v98, v98, v11
	s_delay_alu instid0(VALU_DEP_4) | instskip(NEXT) | instid1(VALU_DEP_4)
	v_bfe_u32 v102, v101, 20, 1
	v_and_b32_e32 v97, v99, v97
	s_delay_alu instid0(VALU_DEP_2) | instskip(NEXT) | instid1(VALU_DEP_2)
	v_add_nc_u32_e32 v99, -1, v102
	v_cmp_eq_u32_e64 s12, v97, v112
	s_delay_alu instid0(VALU_DEP_1) | instskip(SKIP_2) | instid1(VALU_DEP_2)
	v_cndmask_b32_e64 v97, 0, v99, s12
	v_lshrrev_b32_e32 v99, 23, v101
	s_mov_b32 s12, exec_lo
	v_add_nc_u32_e32 v97, v97, v101
	s_delay_alu instid0(VALU_DEP_2) | instskip(NEXT) | instid1(VALU_DEP_2)
	v_xor_b32_e32 v99, 1, v99
	v_and_b32_e32 v11, 0xfffff, v97
	s_delay_alu instid0(VALU_DEP_1) | instskip(NEXT) | instid1(VALU_DEP_3)
	v_add_nc_u32_e32 v97, v11, v101
                                        ; implicit-def: $vgpr11
	v_cmpx_ne_u32_e64 v98, v99
	s_xor_b32 s12, exec_lo, s12
; %bb.278:                              ;   in Loop: Header=BB2_142 Depth=2
	s_delay_alu instid0(VALU_DEP_2) | instskip(SKIP_2) | instid1(VALU_DEP_2)
	v_cmp_lt_u32_e32 vcc_lo, 0xffffff, v97
	v_sub_nc_u32_e32 v11, v98, v99
	v_cndmask_b32_e64 v98, 0, 1, vcc_lo
	v_add_co_ci_u32_e32 v11, vcc_lo, 0, v11, vcc_lo
	s_delay_alu instid0(VALU_DEP_2)
	v_lshrrev_b32_e32 v97, v98, v97
; %bb.279:                              ;   in Loop: Header=BB2_142 Depth=2
	s_and_not1_saveexec_b32 s12, s12
; %bb.280:                              ;   in Loop: Header=BB2_142 Depth=2
	s_delay_alu instid0(VALU_DEP_1)
	v_bfe_u32 v11, v97, 23, 1
; %bb.281:                              ;   in Loop: Header=BB2_142 Depth=2
	s_or_b32 exec_lo, exec_lo, s12
	v_lshrrev_b32_e32 v97, 20, v97
	s_delay_alu instid0(VALU_DEP_2) | instskip(SKIP_2) | instid1(VALU_DEP_2)
	v_cmp_gt_i32_e32 vcc_lo, 16, v11
	v_lshrrev_b32_e32 v10, 24, v10
	v_min_i32_e32 v98, 15, v11
	v_dual_cndmask_b32 v97, 7, v97 :: v_dual_and_b32 v10, 0x80, v10
	s_delay_alu instid0(VALU_DEP_2) | instskip(NEXT) | instid1(VALU_DEP_2)
	v_lshlrev_b32_e32 v98, 3, v98
	v_or_b32_e32 v11, v11, v97
	s_delay_alu instid0(VALU_DEP_1) | instskip(SKIP_1) | instid1(VALU_DEP_1)
	v_cmp_ne_u32_e32 vcc_lo, 0, v11
	v_and_b32_e32 v99, 7, v97
	v_or3_b32 v10, v98, v10, v99
	s_delay_alu instid0(VALU_DEP_1)
	v_cndmask_b32_e32 v102, 0, v10, vcc_lo
.LBB2_282:                              ;   in Loop: Header=BB2_142 Depth=2
	s_or_b32 exec_lo, exec_lo, s28
.LBB2_283:                              ;   in Loop: Header=BB2_142 Depth=2
	s_delay_alu instid0(SALU_CYCLE_1) | instskip(SKIP_3) | instid1(VALU_DEP_1)
	s_or_b32 exec_lo, exec_lo, s27
	v_lshrrev_b32_e32 v10, 24, v12
	s_mov_b32 s12, 0
	s_mov_b32 s28, exec_lo
                                        ; implicit-def: $sgpr27
	v_cmpx_lt_i16_e32 0x7f, v10
	s_xor_b32 s28, exec_lo, s28
	s_cbranch_execnz .LBB2_641
; %bb.284:                              ;   in Loop: Header=BB2_142 Depth=2
	s_or_saveexec_b32 s28, s28
	v_mov_b32_e32 v11, s27
	s_xor_b32 exec_lo, exec_lo, s28
	s_cbranch_execnz .LBB2_644
.LBB2_285:                              ;   in Loop: Header=BB2_142 Depth=2
	s_or_b32 exec_lo, exec_lo, s28
	s_and_saveexec_b32 s27, s12
	s_cbranch_execz .LBB2_287
.LBB2_286:                              ;   in Loop: Header=BB2_142 Depth=2
	v_bfe_u32 v11, v12, 24, 3
	s_delay_alu instid0(VALU_DEP_1) | instskip(NEXT) | instid1(VALU_DEP_1)
	v_clz_i32_u32_e32 v97, v11
	v_min_u32_e32 v97, 32, v97
	s_delay_alu instid0(VALU_DEP_1) | instskip(SKIP_1) | instid1(VALU_DEP_2)
	v_subrev_nc_u32_e32 v98, 28, v97
	v_sub_nc_u32_e32 v97, 29, v97
	v_lshlrev_b32_e32 v10, v98, v10
	v_bfe_u32 v98, v12, 27, 4
	s_delay_alu instid0(VALU_DEP_1) | instskip(NEXT) | instid1(VALU_DEP_3)
	v_cmp_eq_u32_e32 vcc_lo, 0, v98
	v_dual_cndmask_b32 v97, v98, v97 :: v_dual_and_b32 v10, 7, v10
	s_delay_alu instid0(VALU_DEP_1) | instskip(NEXT) | instid1(VALU_DEP_2)
	v_dual_cndmask_b32 v10, v11, v10 :: v_dual_and_b32 v11, 0x80000000, v12
	v_lshl_add_u32 v12, v97, 23, 0x3b800000
	s_delay_alu instid0(VALU_DEP_2) | instskip(NEXT) | instid1(VALU_DEP_1)
	v_lshlrev_b32_e32 v10, 20, v10
	v_or3_b32 v11, v11, v12, v10
.LBB2_287:                              ;   in Loop: Header=BB2_142 Depth=2
	s_or_b32 exec_lo, exec_lo, s27
	s_delay_alu instid0(VALU_DEP_1) | instskip(SKIP_1) | instid1(VALU_DEP_1)
	v_dual_mul_f32 v10, s26, v11 :: v_dual_mov_b32 v99, 0x80
	s_mov_b32 s27, exec_lo
	v_and_b32_e32 v11, 0x7f800000, v10
	s_delay_alu instid0(VALU_DEP_1)
	v_cmpx_ne_u32_e32 0x7f800000, v11
	s_cbranch_execz .LBB2_295
; %bb.288:                              ;   in Loop: Header=BB2_142 Depth=2
	v_mov_b32_e32 v99, 0
	s_mov_b32 s28, exec_lo
	v_cmpx_ne_u32_e32 0, v10
	s_cbranch_execz .LBB2_294
; %bb.289:                              ;   in Loop: Header=BB2_142 Depth=2
	v_bfe_u32 v11, v10, 23, 8
	s_delay_alu instid0(VALU_DEP_1) | instskip(SKIP_1) | instid1(VALU_DEP_2)
	v_sub_nc_u32_e32 v97, 0x78, v11
	v_cmp_gt_u32_e32 vcc_lo, 0x79, v11
	v_dual_cndmask_b32 v97, 0, v97 :: v_dual_and_b32 v12, 0x7fffff, v10
	s_delay_alu instid0(VALU_DEP_1) | instskip(SKIP_2) | instid1(VALU_DEP_4)
	v_or_b32_e32 v98, 0x800000, v12
	v_cmp_eq_u32_e32 vcc_lo, 0, v11
	v_add_nc_u32_e32 v11, 0xffffff89, v11
	v_cndmask_b32_e64 v97, v97, 0x77, vcc_lo
	s_delay_alu instid0(VALU_DEP_4) | instskip(NEXT) | instid1(VALU_DEP_3)
	v_cndmask_b32_e32 v12, v98, v12, vcc_lo
	v_cndmask_b32_e64 v11, v11, 0xffffff8a, vcc_lo
	s_delay_alu instid0(VALU_DEP_3) | instskip(NEXT) | instid1(VALU_DEP_3)
	v_lshl_add_u32 v98, 0x100000, v97, -1
	v_lshrrev_b32_e32 v99, v97, v12
	v_lshlrev_b32_e64 v112, v97, 0x80000
	s_delay_alu instid0(VALU_DEP_4) | instskip(NEXT) | instid1(VALU_DEP_4)
	v_add_nc_u32_e32 v97, v97, v11
	v_and_b32_e32 v12, v98, v12
	s_delay_alu instid0(VALU_DEP_4) | instskip(NEXT) | instid1(VALU_DEP_2)
	v_bfe_u32 v101, v99, 20, 1
	v_cmp_eq_u32_e64 s12, v12, v112
	s_delay_alu instid0(VALU_DEP_2) | instskip(NEXT) | instid1(VALU_DEP_1)
	v_add_nc_u32_e32 v98, -1, v101
	v_cndmask_b32_e64 v12, 0, v98, s12
	v_lshrrev_b32_e32 v98, 23, v99
	s_mov_b32 s12, exec_lo
	s_delay_alu instid0(VALU_DEP_2) | instskip(NEXT) | instid1(VALU_DEP_2)
	v_add_nc_u32_e32 v12, v12, v99
	v_xor_b32_e32 v98, 1, v98
	s_delay_alu instid0(VALU_DEP_2) | instskip(NEXT) | instid1(VALU_DEP_1)
	v_and_b32_e32 v11, 0xfffff, v12
	v_add_nc_u32_e32 v12, v11, v99
                                        ; implicit-def: $vgpr11
	s_delay_alu instid0(VALU_DEP_3)
	v_cmpx_ne_u32_e64 v97, v98
	s_xor_b32 s12, exec_lo, s12
; %bb.290:                              ;   in Loop: Header=BB2_142 Depth=2
	s_delay_alu instid0(VALU_DEP_2) | instskip(SKIP_2) | instid1(VALU_DEP_2)
	v_cmp_lt_u32_e32 vcc_lo, 0xffffff, v12
	v_sub_nc_u32_e32 v11, v97, v98
	v_cndmask_b32_e64 v97, 0, 1, vcc_lo
	v_add_co_ci_u32_e32 v11, vcc_lo, 0, v11, vcc_lo
	s_delay_alu instid0(VALU_DEP_2)
	v_lshrrev_b32_e32 v12, v97, v12
; %bb.291:                              ;   in Loop: Header=BB2_142 Depth=2
	s_and_not1_saveexec_b32 s12, s12
; %bb.292:                              ;   in Loop: Header=BB2_142 Depth=2
	s_delay_alu instid0(VALU_DEP_1)
	v_bfe_u32 v11, v12, 23, 1
; %bb.293:                              ;   in Loop: Header=BB2_142 Depth=2
	s_or_b32 exec_lo, exec_lo, s12
	v_lshrrev_b32_e32 v12, 20, v12
	s_delay_alu instid0(VALU_DEP_2) | instskip(SKIP_2) | instid1(VALU_DEP_2)
	v_cmp_gt_i32_e32 vcc_lo, 16, v11
	v_min_i32_e32 v97, 15, v11
	v_lshrrev_b32_e32 v10, 24, v10
	v_dual_cndmask_b32 v12, 7, v12 :: v_dual_lshlrev_b32 v97, 3, v97
	s_delay_alu instid0(VALU_DEP_2) | instskip(NEXT) | instid1(VALU_DEP_2)
	v_and_b32_e32 v10, 0x80, v10
	v_or_b32_e32 v11, v11, v12
	s_delay_alu instid0(VALU_DEP_1) | instskip(SKIP_1) | instid1(VALU_DEP_1)
	v_cmp_ne_u32_e32 vcc_lo, 0, v11
	v_and_b32_e32 v98, 7, v12
	v_or3_b32 v10, v97, v10, v98
	s_delay_alu instid0(VALU_DEP_1)
	v_cndmask_b32_e32 v99, 0, v10, vcc_lo
.LBB2_294:                              ;   in Loop: Header=BB2_142 Depth=2
	s_or_b32 exec_lo, exec_lo, s28
.LBB2_295:                              ;   in Loop: Header=BB2_142 Depth=2
	s_delay_alu instid0(SALU_CYCLE_1) | instskip(SKIP_3) | instid1(VALU_DEP_1)
	s_or_b32 exec_lo, exec_lo, s27
	v_and_b32_e32 v11, 0xff, v13
	s_mov_b32 s12, 0
	s_mov_b32 s28, exec_lo
                                        ; implicit-def: $sgpr27
	v_cmpx_lt_i16_e32 0x7f, v11
	s_xor_b32 s28, exec_lo, s28
	s_cbranch_execnz .LBB2_645
; %bb.296:                              ;   in Loop: Header=BB2_142 Depth=2
	s_or_saveexec_b32 s28, s28
	v_mov_b32_e32 v10, s27
	s_xor_b32 exec_lo, exec_lo, s28
	s_cbranch_execnz .LBB2_648
.LBB2_297:                              ;   in Loop: Header=BB2_142 Depth=2
	s_or_b32 exec_lo, exec_lo, s28
	s_and_saveexec_b32 s27, s12
	s_cbranch_execz .LBB2_299
.LBB2_298:                              ;   in Loop: Header=BB2_142 Depth=2
	v_bfe_u32 v97, v13, 3, 4
	v_lshlrev_b32_e32 v98, 24, v13
	s_delay_alu instid0(VALU_DEP_2) | instskip(SKIP_1) | instid1(VALU_DEP_1)
	v_cmp_eq_u32_e32 vcc_lo, 0, v97
	v_and_b32_e32 v10, 7, v13
	v_clz_i32_u32_e32 v11, v10
	s_delay_alu instid0(VALU_DEP_1) | instskip(NEXT) | instid1(VALU_DEP_1)
	v_min_u32_e32 v11, 32, v11
	v_subrev_nc_u32_e32 v12, 28, v11
	v_sub_nc_u32_e32 v11, 29, v11
	s_delay_alu instid0(VALU_DEP_1) | instskip(NEXT) | instid1(VALU_DEP_1)
	v_dual_cndmask_b32 v11, v97, v11 :: v_dual_lshlrev_b32 v12, v12, v13
	v_and_b32_e32 v12, 7, v12
	s_delay_alu instid0(VALU_DEP_2) | instskip(NEXT) | instid1(VALU_DEP_2)
	v_lshl_add_u32 v11, v11, 23, 0x3b800000
	v_cndmask_b32_e32 v10, v10, v12, vcc_lo
	v_and_b32_e32 v12, 0x80000000, v98
	s_delay_alu instid0(VALU_DEP_2) | instskip(NEXT) | instid1(VALU_DEP_1)
	v_lshlrev_b32_e32 v10, 20, v10
	v_or3_b32 v10, v12, v11, v10
.LBB2_299:                              ;   in Loop: Header=BB2_142 Depth=2
	s_or_b32 exec_lo, exec_lo, s27
	s_delay_alu instid0(VALU_DEP_1) | instskip(SKIP_2) | instid1(VALU_DEP_2)
	v_mul_f32_e32 v10, s26, v10
	v_mov_b32_e32 v98, 0x80
	s_mov_b32 s27, exec_lo
	v_and_b32_e32 v11, 0x7f800000, v10
	s_delay_alu instid0(VALU_DEP_1)
	v_cmpx_ne_u32_e32 0x7f800000, v11
	s_cbranch_execz .LBB2_307
; %bb.300:                              ;   in Loop: Header=BB2_142 Depth=2
	v_mov_b32_e32 v98, 0
	s_mov_b32 s28, exec_lo
	v_cmpx_ne_u32_e32 0, v10
	s_cbranch_execz .LBB2_306
; %bb.301:                              ;   in Loop: Header=BB2_142 Depth=2
	v_bfe_u32 v11, v10, 23, 8
	s_delay_alu instid0(VALU_DEP_1) | instskip(SKIP_1) | instid1(VALU_DEP_2)
	v_sub_nc_u32_e32 v97, 0x78, v11
	v_cmp_gt_u32_e32 vcc_lo, 0x79, v11
	v_dual_cndmask_b32 v97, 0, v97 :: v_dual_and_b32 v12, 0x7fffff, v10
	s_delay_alu instid0(VALU_DEP_1) | instskip(SKIP_2) | instid1(VALU_DEP_4)
	v_or_b32_e32 v98, 0x800000, v12
	v_cmp_eq_u32_e32 vcc_lo, 0, v11
	v_add_nc_u32_e32 v11, 0xffffff89, v11
	v_cndmask_b32_e64 v97, v97, 0x77, vcc_lo
	s_delay_alu instid0(VALU_DEP_4) | instskip(NEXT) | instid1(VALU_DEP_3)
	v_cndmask_b32_e32 v12, v98, v12, vcc_lo
	v_cndmask_b32_e64 v11, v11, 0xffffff8a, vcc_lo
	s_delay_alu instid0(VALU_DEP_3) | instskip(NEXT) | instid1(VALU_DEP_3)
	v_lshl_add_u32 v98, 0x100000, v97, -1
	v_lshrrev_b32_e32 v101, v97, v12
	v_lshlrev_b32_e64 v128, v97, 0x80000
	s_delay_alu instid0(VALU_DEP_4) | instskip(NEXT) | instid1(VALU_DEP_4)
	v_add_nc_u32_e32 v97, v97, v11
	v_and_b32_e32 v12, v98, v12
	s_delay_alu instid0(VALU_DEP_4) | instskip(NEXT) | instid1(VALU_DEP_2)
	v_bfe_u32 v112, v101, 20, 1
	v_cmp_eq_u32_e64 s12, v12, v128
	s_delay_alu instid0(VALU_DEP_2) | instskip(NEXT) | instid1(VALU_DEP_1)
	v_add_nc_u32_e32 v98, -1, v112
	v_cndmask_b32_e64 v12, 0, v98, s12
	v_lshrrev_b32_e32 v98, 23, v101
	s_mov_b32 s12, exec_lo
	s_delay_alu instid0(VALU_DEP_2) | instskip(NEXT) | instid1(VALU_DEP_2)
	v_add_nc_u32_e32 v12, v12, v101
	v_xor_b32_e32 v98, 1, v98
	s_delay_alu instid0(VALU_DEP_2) | instskip(NEXT) | instid1(VALU_DEP_1)
	v_and_b32_e32 v11, 0xfffff, v12
	v_add_nc_u32_e32 v12, v11, v101
                                        ; implicit-def: $vgpr11
	s_delay_alu instid0(VALU_DEP_3)
	v_cmpx_ne_u32_e64 v97, v98
	s_xor_b32 s12, exec_lo, s12
; %bb.302:                              ;   in Loop: Header=BB2_142 Depth=2
	s_delay_alu instid0(VALU_DEP_2) | instskip(SKIP_2) | instid1(VALU_DEP_2)
	v_cmp_lt_u32_e32 vcc_lo, 0xffffff, v12
	v_sub_nc_u32_e32 v11, v97, v98
	v_cndmask_b32_e64 v97, 0, 1, vcc_lo
	v_add_co_ci_u32_e32 v11, vcc_lo, 0, v11, vcc_lo
	s_delay_alu instid0(VALU_DEP_2)
	v_lshrrev_b32_e32 v12, v97, v12
; %bb.303:                              ;   in Loop: Header=BB2_142 Depth=2
	s_and_not1_saveexec_b32 s12, s12
; %bb.304:                              ;   in Loop: Header=BB2_142 Depth=2
	s_delay_alu instid0(VALU_DEP_1)
	v_bfe_u32 v11, v12, 23, 1
; %bb.305:                              ;   in Loop: Header=BB2_142 Depth=2
	s_or_b32 exec_lo, exec_lo, s12
	v_lshrrev_b32_e32 v12, 20, v12
	s_delay_alu instid0(VALU_DEP_2) | instskip(SKIP_2) | instid1(VALU_DEP_2)
	v_cmp_gt_i32_e32 vcc_lo, 16, v11
	v_min_i32_e32 v97, 15, v11
	v_lshrrev_b32_e32 v10, 24, v10
	v_dual_cndmask_b32 v12, 7, v12 :: v_dual_lshlrev_b32 v97, 3, v97
	s_delay_alu instid0(VALU_DEP_2) | instskip(NEXT) | instid1(VALU_DEP_2)
	v_and_b32_e32 v10, 0x80, v10
	v_or_b32_e32 v11, v11, v12
	v_and_b32_e32 v98, 7, v12
	s_delay_alu instid0(VALU_DEP_2) | instskip(SKIP_1) | instid1(VALU_DEP_1)
	v_cmp_ne_u32_e32 vcc_lo, 0, v11
	v_and_b32_e32 v97, 0xf8, v97
	v_or3_b32 v10, v97, v10, v98
	s_delay_alu instid0(VALU_DEP_1)
	v_cndmask_b32_e32 v98, 0, v10, vcc_lo
.LBB2_306:                              ;   in Loop: Header=BB2_142 Depth=2
	s_or_b32 exec_lo, exec_lo, s28
.LBB2_307:                              ;   in Loop: Header=BB2_142 Depth=2
	s_delay_alu instid0(SALU_CYCLE_1) | instskip(SKIP_3) | instid1(VALU_DEP_1)
	s_or_b32 exec_lo, exec_lo, s27
	v_lshrrev_b16 v10, 8, v13
	s_mov_b32 s12, 0
	s_mov_b32 s28, exec_lo
                                        ; implicit-def: $sgpr27
	v_cmpx_lt_i16_e32 0x7f, v10
	s_xor_b32 s28, exec_lo, s28
	s_cbranch_execnz .LBB2_649
; %bb.308:                              ;   in Loop: Header=BB2_142 Depth=2
	s_or_saveexec_b32 s28, s28
	v_mov_b32_e32 v11, s27
	s_xor_b32 exec_lo, exec_lo, s28
	s_cbranch_execnz .LBB2_652
.LBB2_309:                              ;   in Loop: Header=BB2_142 Depth=2
	s_or_b32 exec_lo, exec_lo, s28
	s_and_saveexec_b32 s27, s12
	s_cbranch_execz .LBB2_311
.LBB2_310:                              ;   in Loop: Header=BB2_142 Depth=2
	v_and_b32_e32 v11, 0xffff, v10
	v_lshlrev_b32_e32 v10, 24, v10
	s_delay_alu instid0(VALU_DEP_2) | instskip(NEXT) | instid1(VALU_DEP_2)
	v_and_b32_e32 v12, 7, v11
	v_and_b32_e32 v10, 0x80000000, v10
	s_delay_alu instid0(VALU_DEP_2) | instskip(NEXT) | instid1(VALU_DEP_1)
	v_clz_i32_u32_e32 v97, v12
	v_min_u32_e32 v97, 32, v97
	s_delay_alu instid0(VALU_DEP_1) | instskip(SKIP_1) | instid1(VALU_DEP_2)
	v_subrev_nc_u32_e32 v101, 28, v97
	v_sub_nc_u32_e32 v97, 29, v97
	v_lshlrev_b32_e32 v101, v101, v11
	v_bfe_u32 v11, v11, 3, 4
	s_delay_alu instid0(VALU_DEP_2) | instskip(NEXT) | instid1(VALU_DEP_2)
	v_and_b32_e32 v101, 7, v101
	v_cmp_eq_u32_e32 vcc_lo, 0, v11
	v_cndmask_b32_e32 v11, v11, v97, vcc_lo
	s_delay_alu instid0(VALU_DEP_3) | instskip(NEXT) | instid1(VALU_DEP_2)
	v_cndmask_b32_e32 v12, v12, v101, vcc_lo
	v_lshl_add_u32 v11, v11, 23, 0x3b800000
	s_delay_alu instid0(VALU_DEP_2) | instskip(NEXT) | instid1(VALU_DEP_1)
	v_lshlrev_b32_e32 v12, 20, v12
	v_or3_b32 v11, v10, v11, v12
.LBB2_311:                              ;   in Loop: Header=BB2_142 Depth=2
	s_or_b32 exec_lo, exec_lo, s27
	s_delay_alu instid0(VALU_DEP_1) | instskip(SKIP_2) | instid1(VALU_DEP_2)
	v_mul_f32_e32 v10, s26, v11
	v_mov_b32_e32 v112, 0x8000
	s_mov_b32 s27, exec_lo
	v_and_b32_e32 v11, 0x7f800000, v10
	s_delay_alu instid0(VALU_DEP_1)
	v_cmpx_ne_u32_e32 0x7f800000, v11
	s_cbranch_execz .LBB2_319
; %bb.312:                              ;   in Loop: Header=BB2_142 Depth=2
	v_mov_b32_e32 v112, 0
	s_mov_b32 s28, exec_lo
	v_cmpx_ne_u32_e32 0, v10
	s_cbranch_execz .LBB2_318
; %bb.313:                              ;   in Loop: Header=BB2_142 Depth=2
	v_bfe_u32 v11, v10, 23, 8
	s_delay_alu instid0(VALU_DEP_1) | instskip(SKIP_1) | instid1(VALU_DEP_2)
	v_sub_nc_u32_e32 v97, 0x78, v11
	v_cmp_gt_u32_e32 vcc_lo, 0x79, v11
	v_dual_cndmask_b32 v97, 0, v97 :: v_dual_and_b32 v12, 0x7fffff, v10
	s_delay_alu instid0(VALU_DEP_1) | instskip(SKIP_2) | instid1(VALU_DEP_4)
	v_or_b32_e32 v101, 0x800000, v12
	v_cmp_eq_u32_e32 vcc_lo, 0, v11
	v_add_nc_u32_e32 v11, 0xffffff89, v11
	v_cndmask_b32_e64 v97, v97, 0x77, vcc_lo
	s_delay_alu instid0(VALU_DEP_4) | instskip(NEXT) | instid1(VALU_DEP_3)
	v_cndmask_b32_e32 v12, v101, v12, vcc_lo
	v_cndmask_b32_e64 v11, v11, 0xffffff8a, vcc_lo
	s_delay_alu instid0(VALU_DEP_3) | instskip(NEXT) | instid1(VALU_DEP_3)
	v_lshl_add_u32 v101, 0x100000, v97, -1
	v_lshrrev_b32_e32 v112, v97, v12
	v_lshlrev_b32_e64 v129, v97, 0x80000
	s_delay_alu instid0(VALU_DEP_4) | instskip(NEXT) | instid1(VALU_DEP_4)
	v_add_nc_u32_e32 v97, v97, v11
	v_and_b32_e32 v12, v101, v12
	s_delay_alu instid0(VALU_DEP_4) | instskip(NEXT) | instid1(VALU_DEP_2)
	v_bfe_u32 v128, v112, 20, 1
	v_cmp_eq_u32_e64 s12, v12, v129
	s_delay_alu instid0(VALU_DEP_2) | instskip(NEXT) | instid1(VALU_DEP_1)
	v_add_nc_u32_e32 v101, -1, v128
	v_cndmask_b32_e64 v12, 0, v101, s12
	v_lshrrev_b32_e32 v101, 23, v112
	s_mov_b32 s12, exec_lo
	s_delay_alu instid0(VALU_DEP_2) | instskip(NEXT) | instid1(VALU_DEP_2)
	v_add_nc_u32_e32 v12, v12, v112
	v_xor_b32_e32 v101, 1, v101
	s_delay_alu instid0(VALU_DEP_2) | instskip(NEXT) | instid1(VALU_DEP_1)
	v_and_b32_e32 v11, 0xfffff, v12
	v_add_nc_u32_e32 v12, v11, v112
                                        ; implicit-def: $vgpr11
	s_delay_alu instid0(VALU_DEP_3)
	v_cmpx_ne_u32_e64 v97, v101
	s_xor_b32 s12, exec_lo, s12
; %bb.314:                              ;   in Loop: Header=BB2_142 Depth=2
	s_delay_alu instid0(VALU_DEP_2) | instskip(SKIP_2) | instid1(VALU_DEP_2)
	v_cmp_lt_u32_e32 vcc_lo, 0xffffff, v12
	v_sub_nc_u32_e32 v11, v97, v101
	v_cndmask_b32_e64 v97, 0, 1, vcc_lo
	v_add_co_ci_u32_e32 v11, vcc_lo, 0, v11, vcc_lo
	s_delay_alu instid0(VALU_DEP_2)
	v_lshrrev_b32_e32 v12, v97, v12
; %bb.315:                              ;   in Loop: Header=BB2_142 Depth=2
	s_and_not1_saveexec_b32 s12, s12
; %bb.316:                              ;   in Loop: Header=BB2_142 Depth=2
	s_delay_alu instid0(VALU_DEP_1)
	v_bfe_u32 v11, v12, 23, 1
; %bb.317:                              ;   in Loop: Header=BB2_142 Depth=2
	s_or_b32 exec_lo, exec_lo, s12
	v_lshrrev_b32_e32 v12, 20, v12
	s_delay_alu instid0(VALU_DEP_2) | instskip(SKIP_2) | instid1(VALU_DEP_2)
	v_cmp_gt_i32_e32 vcc_lo, 16, v11
	v_min_i32_e32 v97, 15, v11
	v_lshrrev_b32_e32 v10, 24, v10
	v_dual_cndmask_b32 v12, 7, v12 :: v_dual_lshlrev_b32 v97, 3, v97
	s_delay_alu instid0(VALU_DEP_2) | instskip(NEXT) | instid1(VALU_DEP_2)
	v_and_b32_e32 v10, 0x80, v10
	v_or_b32_e32 v11, v11, v12
	s_delay_alu instid0(VALU_DEP_3) | instskip(NEXT) | instid1(VALU_DEP_2)
	v_and_b32_e32 v97, 0xf8, v97
	v_cmp_ne_u32_e32 vcc_lo, 0, v11
	v_and_b32_e32 v101, 7, v12
	s_delay_alu instid0(VALU_DEP_1) | instskip(NEXT) | instid1(VALU_DEP_1)
	v_or3_b32 v10, v10, v97, v101
	v_lshlrev_b32_e32 v10, 8, v10
	s_delay_alu instid0(VALU_DEP_1)
	v_cndmask_b32_e32 v112, 0, v10, vcc_lo
.LBB2_318:                              ;   in Loop: Header=BB2_142 Depth=2
	s_or_b32 exec_lo, exec_lo, s28
.LBB2_319:                              ;   in Loop: Header=BB2_142 Depth=2
	s_delay_alu instid0(SALU_CYCLE_1) | instskip(SKIP_3) | instid1(VALU_DEP_1)
	s_or_b32 exec_lo, exec_lo, s27
	v_lshrrev_b32_e32 v10, 16, v13
	s_mov_b32 s12, 0
	s_mov_b32 s28, exec_lo
                                        ; implicit-def: $sgpr27
	v_and_b32_e32 v12, 0xff, v10
	s_delay_alu instid0(VALU_DEP_1)
	v_cmpx_lt_i16_e32 0x7f, v12
	s_xor_b32 s28, exec_lo, s28
	s_cbranch_execnz .LBB2_653
; %bb.320:                              ;   in Loop: Header=BB2_142 Depth=2
	s_or_saveexec_b32 s28, s28
	v_mov_b32_e32 v11, s27
	s_xor_b32 exec_lo, exec_lo, s28
	s_cbranch_execnz .LBB2_656
.LBB2_321:                              ;   in Loop: Header=BB2_142 Depth=2
	s_or_b32 exec_lo, exec_lo, s28
	s_and_saveexec_b32 s27, s12
	s_cbranch_execz .LBB2_323
.LBB2_322:                              ;   in Loop: Header=BB2_142 Depth=2
	v_bfe_u32 v11, v13, 16, 3
	s_delay_alu instid0(VALU_DEP_1) | instskip(NEXT) | instid1(VALU_DEP_1)
	v_clz_i32_u32_e32 v12, v11
	v_min_u32_e32 v12, 32, v12
	s_delay_alu instid0(VALU_DEP_1) | instskip(SKIP_1) | instid1(VALU_DEP_2)
	v_subrev_nc_u32_e32 v97, 28, v12
	v_sub_nc_u32_e32 v12, 29, v12
	v_lshlrev_b32_e32 v10, v97, v10
	v_bfe_u32 v97, v13, 19, 4
	s_delay_alu instid0(VALU_DEP_2) | instskip(NEXT) | instid1(VALU_DEP_2)
	v_and_b32_e32 v10, 7, v10
	v_cmp_eq_u32_e32 vcc_lo, 0, v97
	v_dual_cndmask_b32 v12, v97, v12 :: v_dual_lshlrev_b32 v101, 8, v13
	s_delay_alu instid0(VALU_DEP_1) | instskip(NEXT) | instid1(VALU_DEP_2)
	v_dual_cndmask_b32 v10, v11, v10 :: v_dual_and_b32 v11, 0x80000000, v101
	v_lshl_add_u32 v12, v12, 23, 0x3b800000
	s_delay_alu instid0(VALU_DEP_2) | instskip(NEXT) | instid1(VALU_DEP_1)
	v_lshlrev_b32_e32 v10, 20, v10
	v_or3_b32 v11, v11, v12, v10
.LBB2_323:                              ;   in Loop: Header=BB2_142 Depth=2
	s_or_b32 exec_lo, exec_lo, s27
	s_delay_alu instid0(VALU_DEP_1) | instskip(SKIP_1) | instid1(VALU_DEP_1)
	v_dual_mul_f32 v10, s26, v11 :: v_dual_mov_b32 v97, 0x80
	s_mov_b32 s27, exec_lo
	v_and_b32_e32 v11, 0x7f800000, v10
	s_delay_alu instid0(VALU_DEP_1)
	v_cmpx_ne_u32_e32 0x7f800000, v11
	s_cbranch_execz .LBB2_331
; %bb.324:                              ;   in Loop: Header=BB2_142 Depth=2
	v_mov_b32_e32 v97, 0
	s_mov_b32 s28, exec_lo
	v_cmpx_ne_u32_e32 0, v10
	s_cbranch_execz .LBB2_330
; %bb.325:                              ;   in Loop: Header=BB2_142 Depth=2
	v_bfe_u32 v11, v10, 23, 8
	s_delay_alu instid0(VALU_DEP_1) | instskip(SKIP_1) | instid1(VALU_DEP_2)
	v_sub_nc_u32_e32 v97, 0x78, v11
	v_cmp_gt_u32_e32 vcc_lo, 0x79, v11
	v_dual_cndmask_b32 v97, 0, v97 :: v_dual_and_b32 v12, 0x7fffff, v10
	s_delay_alu instid0(VALU_DEP_1) | instskip(SKIP_2) | instid1(VALU_DEP_4)
	v_or_b32_e32 v101, 0x800000, v12
	v_cmp_eq_u32_e32 vcc_lo, 0, v11
	v_add_nc_u32_e32 v11, 0xffffff89, v11
	v_cndmask_b32_e64 v97, v97, 0x77, vcc_lo
	s_delay_alu instid0(VALU_DEP_4) | instskip(NEXT) | instid1(VALU_DEP_3)
	v_cndmask_b32_e32 v12, v101, v12, vcc_lo
	v_cndmask_b32_e64 v11, v11, 0xffffff8a, vcc_lo
	s_delay_alu instid0(VALU_DEP_3) | instskip(NEXT) | instid1(VALU_DEP_3)
	v_lshl_add_u32 v101, 0x100000, v97, -1
	v_lshrrev_b32_e32 v128, v97, v12
	v_lshlrev_b32_e64 v130, v97, 0x80000
	s_delay_alu instid0(VALU_DEP_4) | instskip(NEXT) | instid1(VALU_DEP_4)
	v_add_nc_u32_e32 v97, v97, v11
	v_and_b32_e32 v12, v101, v12
	s_delay_alu instid0(VALU_DEP_4) | instskip(NEXT) | instid1(VALU_DEP_2)
	v_bfe_u32 v129, v128, 20, 1
	v_cmp_eq_u32_e64 s12, v12, v130
	s_delay_alu instid0(VALU_DEP_2) | instskip(NEXT) | instid1(VALU_DEP_1)
	v_add_nc_u32_e32 v101, -1, v129
	v_cndmask_b32_e64 v12, 0, v101, s12
	v_lshrrev_b32_e32 v101, 23, v128
	s_mov_b32 s12, exec_lo
	s_delay_alu instid0(VALU_DEP_2) | instskip(NEXT) | instid1(VALU_DEP_2)
	v_add_nc_u32_e32 v12, v12, v128
	v_xor_b32_e32 v101, 1, v101
	s_delay_alu instid0(VALU_DEP_2) | instskip(NEXT) | instid1(VALU_DEP_1)
	v_and_b32_e32 v11, 0xfffff, v12
	v_add_nc_u32_e32 v12, v11, v128
                                        ; implicit-def: $vgpr11
	s_delay_alu instid0(VALU_DEP_3)
	v_cmpx_ne_u32_e64 v97, v101
	s_xor_b32 s12, exec_lo, s12
; %bb.326:                              ;   in Loop: Header=BB2_142 Depth=2
	s_delay_alu instid0(VALU_DEP_2) | instskip(SKIP_2) | instid1(VALU_DEP_2)
	v_cmp_lt_u32_e32 vcc_lo, 0xffffff, v12
	v_sub_nc_u32_e32 v11, v97, v101
	v_cndmask_b32_e64 v97, 0, 1, vcc_lo
	v_add_co_ci_u32_e32 v11, vcc_lo, 0, v11, vcc_lo
	s_delay_alu instid0(VALU_DEP_2)
	v_lshrrev_b32_e32 v12, v97, v12
; %bb.327:                              ;   in Loop: Header=BB2_142 Depth=2
	s_and_not1_saveexec_b32 s12, s12
; %bb.328:                              ;   in Loop: Header=BB2_142 Depth=2
	s_delay_alu instid0(VALU_DEP_1)
	v_bfe_u32 v11, v12, 23, 1
; %bb.329:                              ;   in Loop: Header=BB2_142 Depth=2
	s_or_b32 exec_lo, exec_lo, s12
	v_lshrrev_b32_e32 v12, 20, v12
	s_delay_alu instid0(VALU_DEP_2) | instskip(SKIP_2) | instid1(VALU_DEP_3)
	v_min_i32_e32 v97, 15, v11
	v_cmp_gt_i32_e32 vcc_lo, 16, v11
	v_lshrrev_b32_e32 v10, 24, v10
	v_dual_cndmask_b32 v12, 7, v12 :: v_dual_lshlrev_b32 v97, 3, v97
	s_delay_alu instid0(VALU_DEP_2) | instskip(NEXT) | instid1(VALU_DEP_2)
	v_and_b32_e32 v10, 0x80, v10
	v_and_b32_e32 v97, 0xf8, v97
	s_delay_alu instid0(VALU_DEP_3) | instskip(SKIP_1) | instid1(VALU_DEP_2)
	v_and_b32_e32 v101, 7, v12
	v_or_b32_e32 v11, v11, v12
	v_or3_b32 v10, v97, v10, v101
	s_delay_alu instid0(VALU_DEP_2) | instskip(NEXT) | instid1(VALU_DEP_2)
	v_cmp_ne_u32_e32 vcc_lo, 0, v11
	v_cndmask_b32_e32 v97, 0, v10, vcc_lo
.LBB2_330:                              ;   in Loop: Header=BB2_142 Depth=2
	s_or_b32 exec_lo, exec_lo, s28
.LBB2_331:                              ;   in Loop: Header=BB2_142 Depth=2
	s_delay_alu instid0(SALU_CYCLE_1) | instskip(SKIP_3) | instid1(VALU_DEP_1)
	s_or_b32 exec_lo, exec_lo, s27
	v_lshrrev_b32_e32 v10, 24, v13
	s_mov_b32 s12, 0
	s_mov_b32 s28, exec_lo
                                        ; implicit-def: $sgpr27
	v_cmpx_lt_i16_e32 0x7f, v10
	s_xor_b32 s28, exec_lo, s28
	s_cbranch_execnz .LBB2_657
; %bb.332:                              ;   in Loop: Header=BB2_142 Depth=2
	s_or_saveexec_b32 s28, s28
	v_mov_b32_e32 v11, s27
	s_xor_b32 exec_lo, exec_lo, s28
	s_cbranch_execnz .LBB2_660
.LBB2_333:                              ;   in Loop: Header=BB2_142 Depth=2
	s_or_b32 exec_lo, exec_lo, s28
	s_and_saveexec_b32 s27, s12
	s_cbranch_execz .LBB2_335
.LBB2_334:                              ;   in Loop: Header=BB2_142 Depth=2
	v_bfe_u32 v11, v13, 24, 3
	s_delay_alu instid0(VALU_DEP_1) | instskip(NEXT) | instid1(VALU_DEP_1)
	v_clz_i32_u32_e32 v12, v11
	v_min_u32_e32 v12, 32, v12
	s_delay_alu instid0(VALU_DEP_1) | instskip(SKIP_1) | instid1(VALU_DEP_2)
	v_subrev_nc_u32_e32 v101, 28, v12
	v_sub_nc_u32_e32 v12, 29, v12
	v_lshlrev_b32_e32 v10, v101, v10
	v_bfe_u32 v101, v13, 27, 4
	s_delay_alu instid0(VALU_DEP_2) | instskip(NEXT) | instid1(VALU_DEP_2)
	v_and_b32_e32 v10, 7, v10
	v_cmp_eq_u32_e32 vcc_lo, 0, v101
	v_cndmask_b32_e32 v12, v101, v12, vcc_lo
	s_delay_alu instid0(VALU_DEP_3) | instskip(NEXT) | instid1(VALU_DEP_2)
	v_dual_cndmask_b32 v10, v11, v10 :: v_dual_and_b32 v11, 0x80000000, v13
	v_lshl_add_u32 v12, v12, 23, 0x3b800000
	s_delay_alu instid0(VALU_DEP_2) | instskip(NEXT) | instid1(VALU_DEP_1)
	v_lshlrev_b32_e32 v10, 20, v10
	v_or3_b32 v11, v11, v12, v10
.LBB2_335:                              ;   in Loop: Header=BB2_142 Depth=2
	s_or_b32 exec_lo, exec_lo, s27
	s_delay_alu instid0(VALU_DEP_1) | instskip(SKIP_1) | instid1(VALU_DEP_1)
	v_dual_mul_f32 v10, s26, v11 :: v_dual_mov_b32 v101, 0x8000
	s_mov_b32 s26, exec_lo
	v_and_b32_e32 v11, 0x7f800000, v10
	s_delay_alu instid0(VALU_DEP_1)
	v_cmpx_ne_u32_e32 0x7f800000, v11
	s_cbranch_execz .LBB2_343
; %bb.336:                              ;   in Loop: Header=BB2_142 Depth=2
	v_mov_b32_e32 v101, 0
	s_mov_b32 s27, exec_lo
	v_cmpx_ne_u32_e32 0, v10
	s_cbranch_execz .LBB2_342
; %bb.337:                              ;   in Loop: Header=BB2_142 Depth=2
	v_bfe_u32 v11, v10, 23, 8
	s_delay_alu instid0(VALU_DEP_1) | instskip(SKIP_1) | instid1(VALU_DEP_2)
	v_sub_nc_u32_e32 v13, 0x78, v11
	v_cmp_gt_u32_e32 vcc_lo, 0x79, v11
	v_dual_cndmask_b32 v13, 0, v13 :: v_dual_and_b32 v12, 0x7fffff, v10
	s_delay_alu instid0(VALU_DEP_1) | instskip(SKIP_2) | instid1(VALU_DEP_4)
	v_or_b32_e32 v101, 0x800000, v12
	v_cmp_eq_u32_e32 vcc_lo, 0, v11
	v_add_nc_u32_e32 v11, 0xffffff89, v11
	v_cndmask_b32_e64 v13, v13, 0x77, vcc_lo
	s_delay_alu instid0(VALU_DEP_4) | instskip(NEXT) | instid1(VALU_DEP_3)
	v_cndmask_b32_e32 v12, v101, v12, vcc_lo
	v_cndmask_b32_e64 v11, v11, 0xffffff8a, vcc_lo
	s_delay_alu instid0(VALU_DEP_3) | instskip(NEXT) | instid1(VALU_DEP_3)
	v_lshl_add_u32 v101, 0x100000, v13, -1
	v_lshrrev_b32_e32 v128, v13, v12
	v_lshlrev_b32_e64 v130, v13, 0x80000
	s_delay_alu instid0(VALU_DEP_4) | instskip(NEXT) | instid1(VALU_DEP_4)
	v_add_nc_u32_e32 v13, v13, v11
	v_and_b32_e32 v12, v101, v12
	s_delay_alu instid0(VALU_DEP_4) | instskip(NEXT) | instid1(VALU_DEP_2)
	v_bfe_u32 v129, v128, 20, 1
	v_cmp_eq_u32_e64 s12, v12, v130
	s_delay_alu instid0(VALU_DEP_2) | instskip(NEXT) | instid1(VALU_DEP_1)
	v_add_nc_u32_e32 v101, -1, v129
	v_cndmask_b32_e64 v12, 0, v101, s12
	v_lshrrev_b32_e32 v101, 23, v128
	s_mov_b32 s12, exec_lo
	s_delay_alu instid0(VALU_DEP_2) | instskip(NEXT) | instid1(VALU_DEP_2)
	v_add_nc_u32_e32 v12, v12, v128
	v_xor_b32_e32 v101, 1, v101
	s_delay_alu instid0(VALU_DEP_2) | instskip(NEXT) | instid1(VALU_DEP_1)
	v_and_b32_e32 v11, 0xfffff, v12
	v_add_nc_u32_e32 v12, v11, v128
                                        ; implicit-def: $vgpr11
	s_delay_alu instid0(VALU_DEP_3)
	v_cmpx_ne_u32_e64 v13, v101
	s_xor_b32 s12, exec_lo, s12
; %bb.338:                              ;   in Loop: Header=BB2_142 Depth=2
	s_delay_alu instid0(VALU_DEP_2) | instskip(SKIP_2) | instid1(VALU_DEP_2)
	v_cmp_lt_u32_e32 vcc_lo, 0xffffff, v12
	v_sub_nc_u32_e32 v11, v13, v101
	v_cndmask_b32_e64 v13, 0, 1, vcc_lo
	v_add_co_ci_u32_e32 v11, vcc_lo, 0, v11, vcc_lo
	s_delay_alu instid0(VALU_DEP_2)
	v_lshrrev_b32_e32 v12, v13, v12
; %bb.339:                              ;   in Loop: Header=BB2_142 Depth=2
	s_and_not1_saveexec_b32 s12, s12
; %bb.340:                              ;   in Loop: Header=BB2_142 Depth=2
	s_delay_alu instid0(VALU_DEP_1)
	v_bfe_u32 v11, v12, 23, 1
; %bb.341:                              ;   in Loop: Header=BB2_142 Depth=2
	s_or_b32 exec_lo, exec_lo, s12
	v_lshrrev_b32_e32 v12, 20, v12
	s_delay_alu instid0(VALU_DEP_2) | instskip(SKIP_2) | instid1(VALU_DEP_3)
	v_min_i32_e32 v13, 15, v11
	v_cmp_gt_i32_e32 vcc_lo, 16, v11
	v_lshrrev_b32_e32 v10, 24, v10
	v_dual_cndmask_b32 v12, 7, v12 :: v_dual_lshlrev_b32 v13, 3, v13
	s_delay_alu instid0(VALU_DEP_2) | instskip(NEXT) | instid1(VALU_DEP_2)
	v_and_b32_e32 v10, 0x80, v10
	v_and_b32_e32 v13, 0xf8, v13
	s_delay_alu instid0(VALU_DEP_3) | instskip(SKIP_1) | instid1(VALU_DEP_2)
	v_and_b32_e32 v101, 7, v12
	v_or_b32_e32 v11, v11, v12
	v_or3_b32 v10, v10, v13, v101
	s_delay_alu instid0(VALU_DEP_2) | instskip(NEXT) | instid1(VALU_DEP_2)
	v_cmp_ne_u32_e32 vcc_lo, 0, v11
	v_lshlrev_b32_e32 v10, 8, v10
	s_delay_alu instid0(VALU_DEP_1)
	v_cndmask_b32_e32 v101, 0, v10, vcc_lo
.LBB2_342:                              ;   in Loop: Header=BB2_142 Depth=2
	s_or_b32 exec_lo, exec_lo, s27
.LBB2_343:                              ;   in Loop: Header=BB2_142 Depth=2
	s_delay_alu instid0(SALU_CYCLE_1) | instskip(SKIP_4) | instid1(VALU_DEP_1)
	s_or_b32 exec_lo, exec_lo, s26
	global_load_b128 v[10:13], v[48:49], off slc dlc
	v_and_b32_e32 v129, 0xff, v96
	s_mov_b32 s12, 0
	s_mov_b32 s27, exec_lo
                                        ; implicit-def: $sgpr26
	v_cmpx_lt_i16_e64 0x7f, v129
	s_xor_b32 s27, exec_lo, s27
	s_cbranch_execnz .LBB2_661
; %bb.344:                              ;   in Loop: Header=BB2_142 Depth=2
	s_or_saveexec_b32 s27, s27
	v_mov_b32_e32 v128, s26
	s_xor_b32 exec_lo, exec_lo, s27
	s_cbranch_execnz .LBB2_664
.LBB2_345:                              ;   in Loop: Header=BB2_142 Depth=2
	s_or_b32 exec_lo, exec_lo, s27
	s_and_saveexec_b32 s26, s12
	s_cbranch_execz .LBB2_347
.LBB2_346:                              ;   in Loop: Header=BB2_142 Depth=2
	v_bfe_u32 v131, v96, 3, 4
	s_delay_alu instid0(VALU_DEP_1) | instskip(SKIP_1) | instid1(VALU_DEP_1)
	v_cmp_eq_u32_e32 vcc_lo, 0, v131
	v_and_b32_e32 v128, 7, v96
	v_clz_i32_u32_e32 v129, v128
	s_delay_alu instid0(VALU_DEP_1) | instskip(NEXT) | instid1(VALU_DEP_1)
	v_min_u32_e32 v129, 32, v129
	v_subrev_nc_u32_e32 v130, 28, v129
	v_sub_nc_u32_e32 v129, 29, v129
	s_delay_alu instid0(VALU_DEP_1) | instskip(SKIP_1) | instid1(VALU_DEP_2)
	v_dual_cndmask_b32 v129, v131, v129 :: v_dual_lshlrev_b32 v130, v130, v96
	v_lshlrev_b32_e32 v96, 24, v96
	v_and_b32_e32 v130, 7, v130
	s_delay_alu instid0(VALU_DEP_3) | instskip(NEXT) | instid1(VALU_DEP_3)
	v_lshl_add_u32 v129, v129, 23, 0x3b800000
	v_and_b32_e32 v96, 0x80000000, v96
	s_delay_alu instid0(VALU_DEP_3) | instskip(NEXT) | instid1(VALU_DEP_1)
	v_cndmask_b32_e32 v128, v128, v130, vcc_lo
	v_lshlrev_b32_e32 v128, 20, v128
	s_delay_alu instid0(VALU_DEP_1)
	v_or3_b32 v128, v96, v129, v128
.LBB2_347:                              ;   in Loop: Header=BB2_142 Depth=2
	s_or_b32 exec_lo, exec_lo, s26
	s_waitcnt vmcnt(0)
	v_and_b32_e32 v129, 0xff, v10
	s_mov_b32 s12, 0
	s_mov_b32 s27, exec_lo
                                        ; implicit-def: $sgpr26
	s_delay_alu instid0(VALU_DEP_1)
	v_cmpx_lt_i16_e64 0x7f, v129
	s_xor_b32 s27, exec_lo, s27
	s_cbranch_execnz .LBB2_665
; %bb.348:                              ;   in Loop: Header=BB2_142 Depth=2
	s_or_saveexec_b32 s27, s27
	v_mov_b32_e32 v96, s26
	s_xor_b32 exec_lo, exec_lo, s27
	s_cbranch_execnz .LBB2_668
.LBB2_349:                              ;   in Loop: Header=BB2_142 Depth=2
	s_or_b32 exec_lo, exec_lo, s27
	s_and_saveexec_b32 s26, s12
	s_cbranch_execz .LBB2_351
.LBB2_350:                              ;   in Loop: Header=BB2_142 Depth=2
	v_bfe_u32 v131, v10, 3, 4
	v_lshlrev_b32_e32 v132, 24, v10
	s_delay_alu instid0(VALU_DEP_2) | instskip(SKIP_1) | instid1(VALU_DEP_1)
	v_cmp_eq_u32_e32 vcc_lo, 0, v131
	v_and_b32_e32 v96, 7, v10
	v_clz_i32_u32_e32 v129, v96
	s_delay_alu instid0(VALU_DEP_1) | instskip(NEXT) | instid1(VALU_DEP_1)
	v_min_u32_e32 v129, 32, v129
	v_subrev_nc_u32_e32 v130, 28, v129
	v_sub_nc_u32_e32 v129, 29, v129
	s_delay_alu instid0(VALU_DEP_1) | instskip(NEXT) | instid1(VALU_DEP_1)
	v_dual_cndmask_b32 v129, v131, v129 :: v_dual_lshlrev_b32 v130, v130, v10
	v_and_b32_e32 v130, 7, v130
	s_delay_alu instid0(VALU_DEP_2) | instskip(NEXT) | instid1(VALU_DEP_2)
	v_lshl_add_u32 v129, v129, 23, 0x3b800000
	v_cndmask_b32_e32 v96, v96, v130, vcc_lo
	v_and_b32_e32 v130, 0x80000000, v132
	s_delay_alu instid0(VALU_DEP_2) | instskip(NEXT) | instid1(VALU_DEP_1)
	v_lshlrev_b32_e32 v96, 20, v96
	v_or3_b32 v96, v130, v129, v96
.LBB2_351:                              ;   in Loop: Header=BB2_142 Depth=2
	s_or_b32 exec_lo, exec_lo, s26
	s_delay_alu instid0(VALU_DEP_1) | instskip(NEXT) | instid1(VALU_DEP_1)
	v_add_f32_e32 v128, v128, v96
	v_and_b32_e32 v96, 0x7f800000, v128
	s_delay_alu instid0(VALU_DEP_1)
	v_cmp_ne_u32_e32 vcc_lo, 0x7f800000, v96
	v_mov_b32_e32 v96, 0x80
	s_and_saveexec_b32 s26, vcc_lo
	s_cbranch_execz .LBB2_359
; %bb.352:                              ;   in Loop: Header=BB2_142 Depth=2
	v_mov_b32_e32 v96, 0
	s_mov_b32 s27, exec_lo
	v_cmpx_ne_u32_e32 0, v128
	s_cbranch_execz .LBB2_358
; %bb.353:                              ;   in Loop: Header=BB2_142 Depth=2
	v_bfe_u32 v96, v128, 23, 8
	s_delay_alu instid0(VALU_DEP_1) | instskip(SKIP_1) | instid1(VALU_DEP_2)
	v_sub_nc_u32_e32 v130, 0x78, v96
	v_cmp_gt_u32_e32 vcc_lo, 0x79, v96
	v_dual_cndmask_b32 v130, 0, v130 :: v_dual_and_b32 v129, 0x7fffff, v128
	s_delay_alu instid0(VALU_DEP_1) | instskip(SKIP_2) | instid1(VALU_DEP_4)
	v_or_b32_e32 v131, 0x800000, v129
	v_cmp_eq_u32_e32 vcc_lo, 0, v96
	v_add_nc_u32_e32 v96, 0xffffff89, v96
	v_cndmask_b32_e64 v130, v130, 0x77, vcc_lo
	s_delay_alu instid0(VALU_DEP_4) | instskip(NEXT) | instid1(VALU_DEP_3)
	v_cndmask_b32_e32 v129, v131, v129, vcc_lo
	v_cndmask_b32_e64 v96, v96, 0xffffff8a, vcc_lo
	s_delay_alu instid0(VALU_DEP_3) | instskip(NEXT) | instid1(VALU_DEP_3)
	v_lshl_add_u32 v131, 0x100000, v130, -1
	v_lshrrev_b32_e32 v132, v130, v129
	v_lshlrev_b32_e64 v134, v130, 0x80000
	s_delay_alu instid0(VALU_DEP_4) | instskip(NEXT) | instid1(VALU_DEP_4)
	v_add_nc_u32_e32 v130, v130, v96
	v_and_b32_e32 v129, v131, v129
	s_delay_alu instid0(VALU_DEP_4) | instskip(NEXT) | instid1(VALU_DEP_2)
	v_bfe_u32 v133, v132, 20, 1
	v_cmp_eq_u32_e64 s12, v129, v134
	s_delay_alu instid0(VALU_DEP_2) | instskip(NEXT) | instid1(VALU_DEP_1)
	v_add_nc_u32_e32 v131, -1, v133
	v_cndmask_b32_e64 v129, 0, v131, s12
	v_lshrrev_b32_e32 v131, 23, v132
	s_mov_b32 s12, exec_lo
	s_delay_alu instid0(VALU_DEP_2) | instskip(NEXT) | instid1(VALU_DEP_2)
	v_add_nc_u32_e32 v129, v129, v132
	v_xor_b32_e32 v131, 1, v131
	s_delay_alu instid0(VALU_DEP_2) | instskip(NEXT) | instid1(VALU_DEP_1)
	v_and_b32_e32 v96, 0xfffff, v129
	v_add_nc_u32_e32 v129, v96, v132
                                        ; implicit-def: $vgpr96
	s_delay_alu instid0(VALU_DEP_3)
	v_cmpx_ne_u32_e64 v130, v131
	s_xor_b32 s12, exec_lo, s12
; %bb.354:                              ;   in Loop: Header=BB2_142 Depth=2
	s_delay_alu instid0(VALU_DEP_2) | instskip(SKIP_2) | instid1(VALU_DEP_2)
	v_cmp_lt_u32_e32 vcc_lo, 0xffffff, v129
	v_sub_nc_u32_e32 v96, v130, v131
	v_cndmask_b32_e64 v130, 0, 1, vcc_lo
	v_add_co_ci_u32_e32 v96, vcc_lo, 0, v96, vcc_lo
	s_delay_alu instid0(VALU_DEP_2)
	v_lshrrev_b32_e32 v129, v130, v129
; %bb.355:                              ;   in Loop: Header=BB2_142 Depth=2
	s_and_not1_saveexec_b32 s12, s12
; %bb.356:                              ;   in Loop: Header=BB2_142 Depth=2
	s_delay_alu instid0(VALU_DEP_1)
	v_bfe_u32 v96, v129, 23, 1
; %bb.357:                              ;   in Loop: Header=BB2_142 Depth=2
	s_or_b32 exec_lo, exec_lo, s12
	v_lshrrev_b32_e32 v129, 20, v129
	s_delay_alu instid0(VALU_DEP_2) | instskip(SKIP_2) | instid1(VALU_DEP_2)
	v_cmp_gt_i32_e32 vcc_lo, 16, v96
	v_lshrrev_b32_e32 v128, 24, v128
	v_min_i32_e32 v130, 15, v96
	v_dual_cndmask_b32 v129, 7, v129 :: v_dual_and_b32 v128, 0x80, v128
	s_delay_alu instid0(VALU_DEP_2) | instskip(NEXT) | instid1(VALU_DEP_2)
	v_lshlrev_b32_e32 v130, 3, v130
	v_or_b32_e32 v96, v96, v129
	s_delay_alu instid0(VALU_DEP_1) | instskip(SKIP_1) | instid1(VALU_DEP_1)
	v_cmp_ne_u32_e32 vcc_lo, 0, v96
	v_and_b32_e32 v131, 7, v129
	v_or3_b32 v128, v130, v128, v131
	s_delay_alu instid0(VALU_DEP_1)
	v_cndmask_b32_e32 v96, 0, v128, vcc_lo
.LBB2_358:                              ;   in Loop: Header=BB2_142 Depth=2
	s_or_b32 exec_lo, exec_lo, s27
.LBB2_359:                              ;   in Loop: Header=BB2_142 Depth=2
	s_delay_alu instid0(SALU_CYCLE_1) | instskip(SKIP_3) | instid1(VALU_DEP_1)
	s_or_b32 exec_lo, exec_lo, s26
	v_and_b32_e32 v129, 0xff, v100
	s_mov_b32 s12, 0
	s_mov_b32 s27, exec_lo
                                        ; implicit-def: $sgpr26
	v_cmpx_lt_i16_e64 0x7f, v129
	s_xor_b32 s27, exec_lo, s27
	s_cbranch_execnz .LBB2_669
; %bb.360:                              ;   in Loop: Header=BB2_142 Depth=2
	s_or_saveexec_b32 s27, s27
	v_mov_b32_e32 v128, s26
	s_xor_b32 exec_lo, exec_lo, s27
	s_cbranch_execnz .LBB2_672
.LBB2_361:                              ;   in Loop: Header=BB2_142 Depth=2
	s_or_b32 exec_lo, exec_lo, s27
	s_and_saveexec_b32 s26, s12
	s_cbranch_execz .LBB2_363
.LBB2_362:                              ;   in Loop: Header=BB2_142 Depth=2
	v_bfe_u32 v131, v100, 3, 4
	s_delay_alu instid0(VALU_DEP_1) | instskip(SKIP_1) | instid1(VALU_DEP_1)
	v_cmp_eq_u32_e32 vcc_lo, 0, v131
	v_and_b32_e32 v128, 7, v100
	v_clz_i32_u32_e32 v129, v128
	s_delay_alu instid0(VALU_DEP_1) | instskip(NEXT) | instid1(VALU_DEP_1)
	v_min_u32_e32 v129, 32, v129
	v_subrev_nc_u32_e32 v130, 28, v129
	v_sub_nc_u32_e32 v129, 29, v129
	s_delay_alu instid0(VALU_DEP_1) | instskip(SKIP_1) | instid1(VALU_DEP_2)
	v_dual_cndmask_b32 v129, v131, v129 :: v_dual_lshlrev_b32 v130, v130, v100
	v_lshlrev_b32_e32 v100, 24, v100
	v_and_b32_e32 v130, 7, v130
	s_delay_alu instid0(VALU_DEP_3) | instskip(NEXT) | instid1(VALU_DEP_3)
	v_lshl_add_u32 v129, v129, 23, 0x3b800000
	v_and_b32_e32 v100, 0x80000000, v100
	s_delay_alu instid0(VALU_DEP_3) | instskip(NEXT) | instid1(VALU_DEP_1)
	v_cndmask_b32_e32 v128, v128, v130, vcc_lo
	v_lshlrev_b32_e32 v128, 20, v128
	s_delay_alu instid0(VALU_DEP_1)
	v_or3_b32 v128, v100, v129, v128
.LBB2_363:                              ;   in Loop: Header=BB2_142 Depth=2
	s_or_b32 exec_lo, exec_lo, s26
	v_lshrrev_b16 v100, 8, v10
	s_mov_b32 s12, 0
	s_mov_b32 s27, exec_lo
                                        ; implicit-def: $sgpr26
	s_delay_alu instid0(VALU_DEP_1)
	v_cmpx_lt_i16_e32 0x7f, v100
	s_xor_b32 s27, exec_lo, s27
	s_cbranch_execnz .LBB2_673
; %bb.364:                              ;   in Loop: Header=BB2_142 Depth=2
	s_or_saveexec_b32 s27, s27
	v_mov_b32_e32 v129, s26
	s_xor_b32 exec_lo, exec_lo, s27
	s_cbranch_execnz .LBB2_676
.LBB2_365:                              ;   in Loop: Header=BB2_142 Depth=2
	s_or_b32 exec_lo, exec_lo, s27
	s_and_saveexec_b32 s26, s12
	s_cbranch_execz .LBB2_367
.LBB2_366:                              ;   in Loop: Header=BB2_142 Depth=2
	v_and_b32_e32 v129, 0xffff, v100
	v_lshlrev_b32_e32 v100, 24, v100
	s_delay_alu instid0(VALU_DEP_2) | instskip(NEXT) | instid1(VALU_DEP_2)
	v_and_b32_e32 v130, 7, v129
	v_and_b32_e32 v100, 0x80000000, v100
	s_delay_alu instid0(VALU_DEP_2) | instskip(NEXT) | instid1(VALU_DEP_1)
	v_clz_i32_u32_e32 v131, v130
	v_min_u32_e32 v131, 32, v131
	s_delay_alu instid0(VALU_DEP_1) | instskip(SKIP_1) | instid1(VALU_DEP_2)
	v_subrev_nc_u32_e32 v132, 28, v131
	v_sub_nc_u32_e32 v131, 29, v131
	v_lshlrev_b32_e32 v132, v132, v129
	v_bfe_u32 v129, v129, 3, 4
	s_delay_alu instid0(VALU_DEP_2) | instskip(NEXT) | instid1(VALU_DEP_2)
	v_and_b32_e32 v132, 7, v132
	v_cmp_eq_u32_e32 vcc_lo, 0, v129
	s_delay_alu instid0(VALU_DEP_2) | instskip(NEXT) | instid1(VALU_DEP_1)
	v_dual_cndmask_b32 v129, v129, v131 :: v_dual_cndmask_b32 v130, v130, v132
	v_lshl_add_u32 v129, v129, 23, 0x3b800000
	s_delay_alu instid0(VALU_DEP_2) | instskip(NEXT) | instid1(VALU_DEP_1)
	v_lshlrev_b32_e32 v130, 20, v130
	v_or3_b32 v129, v100, v129, v130
.LBB2_367:                              ;   in Loop: Header=BB2_142 Depth=2
	s_or_b32 exec_lo, exec_lo, s26
	s_delay_alu instid0(VALU_DEP_1) | instskip(NEXT) | instid1(VALU_DEP_1)
	v_add_f32_e32 v128, v128, v129
	v_and_b32_e32 v100, 0x7f800000, v128
	s_delay_alu instid0(VALU_DEP_1)
	v_cmp_ne_u32_e32 vcc_lo, 0x7f800000, v100
	v_mov_b32_e32 v100, 0x80
	s_and_saveexec_b32 s26, vcc_lo
	s_cbranch_execz .LBB2_375
; %bb.368:                              ;   in Loop: Header=BB2_142 Depth=2
	v_mov_b32_e32 v100, 0
	s_mov_b32 s27, exec_lo
	v_cmpx_ne_u32_e32 0, v128
	s_cbranch_execz .LBB2_374
; %bb.369:                              ;   in Loop: Header=BB2_142 Depth=2
	v_bfe_u32 v100, v128, 23, 8
	s_delay_alu instid0(VALU_DEP_1) | instskip(SKIP_1) | instid1(VALU_DEP_2)
	v_sub_nc_u32_e32 v130, 0x78, v100
	v_cmp_gt_u32_e32 vcc_lo, 0x79, v100
	v_dual_cndmask_b32 v130, 0, v130 :: v_dual_and_b32 v129, 0x7fffff, v128
	s_delay_alu instid0(VALU_DEP_1) | instskip(SKIP_2) | instid1(VALU_DEP_4)
	v_or_b32_e32 v131, 0x800000, v129
	v_cmp_eq_u32_e32 vcc_lo, 0, v100
	v_add_nc_u32_e32 v100, 0xffffff89, v100
	v_cndmask_b32_e64 v130, v130, 0x77, vcc_lo
	s_delay_alu instid0(VALU_DEP_4) | instskip(NEXT) | instid1(VALU_DEP_3)
	v_cndmask_b32_e32 v129, v131, v129, vcc_lo
	v_cndmask_b32_e64 v100, v100, 0xffffff8a, vcc_lo
	s_delay_alu instid0(VALU_DEP_3) | instskip(NEXT) | instid1(VALU_DEP_3)
	v_lshl_add_u32 v131, 0x100000, v130, -1
	v_lshrrev_b32_e32 v132, v130, v129
	v_lshlrev_b32_e64 v134, v130, 0x80000
	s_delay_alu instid0(VALU_DEP_4) | instskip(NEXT) | instid1(VALU_DEP_4)
	v_add_nc_u32_e32 v130, v130, v100
	v_and_b32_e32 v129, v131, v129
	s_delay_alu instid0(VALU_DEP_4) | instskip(NEXT) | instid1(VALU_DEP_2)
	v_bfe_u32 v133, v132, 20, 1
	v_cmp_eq_u32_e64 s12, v129, v134
	s_delay_alu instid0(VALU_DEP_2) | instskip(NEXT) | instid1(VALU_DEP_1)
	v_add_nc_u32_e32 v131, -1, v133
	v_cndmask_b32_e64 v129, 0, v131, s12
	v_lshrrev_b32_e32 v131, 23, v132
	s_mov_b32 s12, exec_lo
	s_delay_alu instid0(VALU_DEP_2) | instskip(NEXT) | instid1(VALU_DEP_2)
	v_add_nc_u32_e32 v129, v129, v132
	v_xor_b32_e32 v131, 1, v131
	s_delay_alu instid0(VALU_DEP_2) | instskip(NEXT) | instid1(VALU_DEP_1)
	v_and_b32_e32 v100, 0xfffff, v129
	v_add_nc_u32_e32 v129, v100, v132
                                        ; implicit-def: $vgpr100
	s_delay_alu instid0(VALU_DEP_3)
	v_cmpx_ne_u32_e64 v130, v131
	s_xor_b32 s12, exec_lo, s12
; %bb.370:                              ;   in Loop: Header=BB2_142 Depth=2
	s_delay_alu instid0(VALU_DEP_2) | instskip(SKIP_2) | instid1(VALU_DEP_2)
	v_cmp_lt_u32_e32 vcc_lo, 0xffffff, v129
	v_sub_nc_u32_e32 v100, v130, v131
	v_cndmask_b32_e64 v130, 0, 1, vcc_lo
	v_add_co_ci_u32_e32 v100, vcc_lo, 0, v100, vcc_lo
	s_delay_alu instid0(VALU_DEP_2)
	v_lshrrev_b32_e32 v129, v130, v129
; %bb.371:                              ;   in Loop: Header=BB2_142 Depth=2
	s_and_not1_saveexec_b32 s12, s12
; %bb.372:                              ;   in Loop: Header=BB2_142 Depth=2
	s_delay_alu instid0(VALU_DEP_1)
	v_bfe_u32 v100, v129, 23, 1
; %bb.373:                              ;   in Loop: Header=BB2_142 Depth=2
	s_or_b32 exec_lo, exec_lo, s12
	v_lshrrev_b32_e32 v129, 20, v129
	s_delay_alu instid0(VALU_DEP_2) | instskip(SKIP_2) | instid1(VALU_DEP_2)
	v_cmp_gt_i32_e32 vcc_lo, 16, v100
	v_lshrrev_b32_e32 v128, 24, v128
	v_min_i32_e32 v130, 15, v100
	v_dual_cndmask_b32 v129, 7, v129 :: v_dual_and_b32 v128, 0x80, v128
	s_delay_alu instid0(VALU_DEP_2) | instskip(NEXT) | instid1(VALU_DEP_2)
	v_lshlrev_b32_e32 v130, 3, v130
	v_or_b32_e32 v100, v100, v129
	s_delay_alu instid0(VALU_DEP_1) | instskip(SKIP_1) | instid1(VALU_DEP_1)
	v_cmp_ne_u32_e32 vcc_lo, 0, v100
	v_and_b32_e32 v131, 7, v129
	v_or3_b32 v128, v130, v128, v131
	s_delay_alu instid0(VALU_DEP_1)
	v_cndmask_b32_e32 v100, 0, v128, vcc_lo
.LBB2_374:                              ;   in Loop: Header=BB2_142 Depth=2
	s_or_b32 exec_lo, exec_lo, s27
.LBB2_375:                              ;   in Loop: Header=BB2_142 Depth=2
	s_delay_alu instid0(SALU_CYCLE_1) | instskip(SKIP_3) | instid1(VALU_DEP_1)
	s_or_b32 exec_lo, exec_lo, s26
	v_and_b32_e32 v129, 0xff, v114
	s_mov_b32 s12, 0
	s_mov_b32 s27, exec_lo
                                        ; implicit-def: $sgpr26
	v_cmpx_lt_i16_e64 0x7f, v129
	s_xor_b32 s27, exec_lo, s27
	s_cbranch_execnz .LBB2_677
; %bb.376:                              ;   in Loop: Header=BB2_142 Depth=2
	s_or_saveexec_b32 s27, s27
	v_mov_b32_e32 v128, s26
	s_xor_b32 exec_lo, exec_lo, s27
	s_cbranch_execnz .LBB2_680
.LBB2_377:                              ;   in Loop: Header=BB2_142 Depth=2
	s_or_b32 exec_lo, exec_lo, s27
	s_and_saveexec_b32 s26, s12
	s_cbranch_execz .LBB2_379
.LBB2_378:                              ;   in Loop: Header=BB2_142 Depth=2
	v_bfe_u32 v131, v114, 3, 4
	s_delay_alu instid0(VALU_DEP_1) | instskip(SKIP_1) | instid1(VALU_DEP_1)
	v_cmp_eq_u32_e32 vcc_lo, 0, v131
	v_and_b32_e32 v128, 7, v114
	v_clz_i32_u32_e32 v129, v128
	s_delay_alu instid0(VALU_DEP_1) | instskip(NEXT) | instid1(VALU_DEP_1)
	v_min_u32_e32 v129, 32, v129
	v_subrev_nc_u32_e32 v130, 28, v129
	v_sub_nc_u32_e32 v129, 29, v129
	s_delay_alu instid0(VALU_DEP_1) | instskip(SKIP_1) | instid1(VALU_DEP_2)
	v_dual_cndmask_b32 v129, v131, v129 :: v_dual_lshlrev_b32 v130, v130, v114
	v_lshlrev_b32_e32 v114, 24, v114
	v_and_b32_e32 v130, 7, v130
	s_delay_alu instid0(VALU_DEP_3) | instskip(NEXT) | instid1(VALU_DEP_3)
	v_lshl_add_u32 v129, v129, 23, 0x3b800000
	v_and_b32_e32 v114, 0x80000000, v114
	s_delay_alu instid0(VALU_DEP_3) | instskip(NEXT) | instid1(VALU_DEP_1)
	v_cndmask_b32_e32 v128, v128, v130, vcc_lo
	v_lshlrev_b32_e32 v128, 20, v128
	s_delay_alu instid0(VALU_DEP_1)
	v_or3_b32 v128, v114, v129, v128
.LBB2_379:                              ;   in Loop: Header=BB2_142 Depth=2
	s_or_b32 exec_lo, exec_lo, s26
	v_lshrrev_b32_e32 v114, 16, v10
	s_mov_b32 s12, 0
	s_mov_b32 s27, exec_lo
                                        ; implicit-def: $sgpr26
	s_delay_alu instid0(VALU_DEP_1) | instskip(NEXT) | instid1(VALU_DEP_1)
	v_and_b32_e32 v130, 0xff, v114
	v_cmpx_lt_i16_e64 0x7f, v130
	s_xor_b32 s27, exec_lo, s27
	s_cbranch_execnz .LBB2_681
; %bb.380:                              ;   in Loop: Header=BB2_142 Depth=2
	s_or_saveexec_b32 s27, s27
	v_mov_b32_e32 v129, s26
	s_xor_b32 exec_lo, exec_lo, s27
	s_cbranch_execnz .LBB2_684
.LBB2_381:                              ;   in Loop: Header=BB2_142 Depth=2
	s_or_b32 exec_lo, exec_lo, s27
	s_and_saveexec_b32 s26, s12
	s_cbranch_execz .LBB2_383
.LBB2_382:                              ;   in Loop: Header=BB2_142 Depth=2
	v_bfe_u32 v129, v10, 16, 3
	v_lshlrev_b32_e32 v132, 8, v10
	s_delay_alu instid0(VALU_DEP_2) | instskip(NEXT) | instid1(VALU_DEP_1)
	v_clz_i32_u32_e32 v130, v129
	v_min_u32_e32 v130, 32, v130
	s_delay_alu instid0(VALU_DEP_1) | instskip(SKIP_1) | instid1(VALU_DEP_2)
	v_subrev_nc_u32_e32 v131, 28, v130
	v_sub_nc_u32_e32 v130, 29, v130
	v_lshlrev_b32_e32 v114, v131, v114
	v_bfe_u32 v131, v10, 19, 4
	s_delay_alu instid0(VALU_DEP_2) | instskip(NEXT) | instid1(VALU_DEP_2)
	v_and_b32_e32 v114, 7, v114
	v_cmp_eq_u32_e32 vcc_lo, 0, v131
	v_cndmask_b32_e32 v130, v131, v130, vcc_lo
	s_delay_alu instid0(VALU_DEP_3) | instskip(NEXT) | instid1(VALU_DEP_2)
	v_dual_cndmask_b32 v114, v129, v114 :: v_dual_and_b32 v129, 0x80000000, v132
	v_lshl_add_u32 v130, v130, 23, 0x3b800000
	s_delay_alu instid0(VALU_DEP_2) | instskip(NEXT) | instid1(VALU_DEP_1)
	v_lshlrev_b32_e32 v114, 20, v114
	v_or3_b32 v129, v129, v130, v114
.LBB2_383:                              ;   in Loop: Header=BB2_142 Depth=2
	s_or_b32 exec_lo, exec_lo, s26
	s_delay_alu instid0(VALU_DEP_1) | instskip(NEXT) | instid1(VALU_DEP_1)
	v_add_f32_e32 v128, v128, v129
	v_and_b32_e32 v114, 0x7f800000, v128
	s_delay_alu instid0(VALU_DEP_1)
	v_cmp_ne_u32_e32 vcc_lo, 0x7f800000, v114
	v_mov_b32_e32 v114, 0x80
	s_and_saveexec_b32 s26, vcc_lo
	s_cbranch_execz .LBB2_391
; %bb.384:                              ;   in Loop: Header=BB2_142 Depth=2
	v_mov_b32_e32 v114, 0
	s_mov_b32 s27, exec_lo
	v_cmpx_ne_u32_e32 0, v128
	s_cbranch_execz .LBB2_390
; %bb.385:                              ;   in Loop: Header=BB2_142 Depth=2
	v_bfe_u32 v114, v128, 23, 8
	s_delay_alu instid0(VALU_DEP_1) | instskip(SKIP_1) | instid1(VALU_DEP_2)
	v_sub_nc_u32_e32 v130, 0x78, v114
	v_cmp_gt_u32_e32 vcc_lo, 0x79, v114
	v_dual_cndmask_b32 v130, 0, v130 :: v_dual_and_b32 v129, 0x7fffff, v128
	s_delay_alu instid0(VALU_DEP_1) | instskip(SKIP_2) | instid1(VALU_DEP_4)
	v_or_b32_e32 v131, 0x800000, v129
	v_cmp_eq_u32_e32 vcc_lo, 0, v114
	v_add_nc_u32_e32 v114, 0xffffff89, v114
	v_cndmask_b32_e64 v130, v130, 0x77, vcc_lo
	s_delay_alu instid0(VALU_DEP_4) | instskip(NEXT) | instid1(VALU_DEP_3)
	v_cndmask_b32_e32 v129, v131, v129, vcc_lo
	v_cndmask_b32_e64 v114, v114, 0xffffff8a, vcc_lo
	s_delay_alu instid0(VALU_DEP_3) | instskip(NEXT) | instid1(VALU_DEP_3)
	v_lshl_add_u32 v131, 0x100000, v130, -1
	v_lshrrev_b32_e32 v132, v130, v129
	v_lshlrev_b32_e64 v134, v130, 0x80000
	s_delay_alu instid0(VALU_DEP_4) | instskip(NEXT) | instid1(VALU_DEP_4)
	v_add_nc_u32_e32 v130, v130, v114
	v_and_b32_e32 v129, v131, v129
	s_delay_alu instid0(VALU_DEP_4) | instskip(NEXT) | instid1(VALU_DEP_2)
	v_bfe_u32 v133, v132, 20, 1
	v_cmp_eq_u32_e64 s12, v129, v134
	s_delay_alu instid0(VALU_DEP_2) | instskip(NEXT) | instid1(VALU_DEP_1)
	v_add_nc_u32_e32 v131, -1, v133
	v_cndmask_b32_e64 v129, 0, v131, s12
	v_lshrrev_b32_e32 v131, 23, v132
	s_mov_b32 s12, exec_lo
	s_delay_alu instid0(VALU_DEP_2) | instskip(NEXT) | instid1(VALU_DEP_2)
	v_add_nc_u32_e32 v129, v129, v132
	v_xor_b32_e32 v131, 1, v131
	s_delay_alu instid0(VALU_DEP_2) | instskip(NEXT) | instid1(VALU_DEP_1)
	v_and_b32_e32 v114, 0xfffff, v129
	v_add_nc_u32_e32 v129, v114, v132
                                        ; implicit-def: $vgpr114
	s_delay_alu instid0(VALU_DEP_3)
	v_cmpx_ne_u32_e64 v130, v131
	s_xor_b32 s12, exec_lo, s12
; %bb.386:                              ;   in Loop: Header=BB2_142 Depth=2
	s_delay_alu instid0(VALU_DEP_2) | instskip(SKIP_2) | instid1(VALU_DEP_2)
	v_cmp_lt_u32_e32 vcc_lo, 0xffffff, v129
	v_sub_nc_u32_e32 v114, v130, v131
	v_cndmask_b32_e64 v130, 0, 1, vcc_lo
	v_add_co_ci_u32_e32 v114, vcc_lo, 0, v114, vcc_lo
	s_delay_alu instid0(VALU_DEP_2)
	v_lshrrev_b32_e32 v129, v130, v129
; %bb.387:                              ;   in Loop: Header=BB2_142 Depth=2
	s_and_not1_saveexec_b32 s12, s12
; %bb.388:                              ;   in Loop: Header=BB2_142 Depth=2
	s_delay_alu instid0(VALU_DEP_1)
	v_bfe_u32 v114, v129, 23, 1
; %bb.389:                              ;   in Loop: Header=BB2_142 Depth=2
	s_or_b32 exec_lo, exec_lo, s12
	v_lshrrev_b32_e32 v129, 20, v129
	s_delay_alu instid0(VALU_DEP_2) | instskip(SKIP_2) | instid1(VALU_DEP_2)
	v_cmp_gt_i32_e32 vcc_lo, 16, v114
	v_lshrrev_b32_e32 v128, 24, v128
	v_min_i32_e32 v130, 15, v114
	v_dual_cndmask_b32 v129, 7, v129 :: v_dual_and_b32 v128, 0x80, v128
	s_delay_alu instid0(VALU_DEP_2) | instskip(NEXT) | instid1(VALU_DEP_2)
	v_lshlrev_b32_e32 v130, 3, v130
	v_or_b32_e32 v114, v114, v129
	s_delay_alu instid0(VALU_DEP_1) | instskip(SKIP_1) | instid1(VALU_DEP_1)
	v_cmp_ne_u32_e32 vcc_lo, 0, v114
	v_and_b32_e32 v131, 7, v129
	v_or3_b32 v128, v130, v128, v131
	s_delay_alu instid0(VALU_DEP_1)
	v_cndmask_b32_e32 v114, 0, v128, vcc_lo
.LBB2_390:                              ;   in Loop: Header=BB2_142 Depth=2
	s_or_b32 exec_lo, exec_lo, s27
.LBB2_391:                              ;   in Loop: Header=BB2_142 Depth=2
	s_delay_alu instid0(SALU_CYCLE_1) | instskip(SKIP_3) | instid1(VALU_DEP_1)
	s_or_b32 exec_lo, exec_lo, s26
	v_and_b32_e32 v129, 0xff, v117
	s_mov_b32 s12, 0
	s_mov_b32 s27, exec_lo
                                        ; implicit-def: $sgpr26
	v_cmpx_lt_i16_e64 0x7f, v129
	s_xor_b32 s27, exec_lo, s27
	s_cbranch_execnz .LBB2_685
; %bb.392:                              ;   in Loop: Header=BB2_142 Depth=2
	s_or_saveexec_b32 s27, s27
	v_mov_b32_e32 v128, s26
	s_xor_b32 exec_lo, exec_lo, s27
	s_cbranch_execnz .LBB2_688
.LBB2_393:                              ;   in Loop: Header=BB2_142 Depth=2
	s_or_b32 exec_lo, exec_lo, s27
	s_and_saveexec_b32 s26, s12
	s_cbranch_execz .LBB2_395
.LBB2_394:                              ;   in Loop: Header=BB2_142 Depth=2
	v_lshlrev_b32_e32 v117, 8, v117
	s_delay_alu instid0(VALU_DEP_1) | instskip(SKIP_1) | instid1(VALU_DEP_2)
	v_and_b32_e32 v128, 0xff00, v117
	v_bfe_u32 v117, v117, 11, 4
	v_bfe_u32 v130, v128, 8, 3
	s_delay_alu instid0(VALU_DEP_2) | instskip(NEXT) | instid1(VALU_DEP_2)
	v_cmp_eq_u32_e32 vcc_lo, 0, v117
	v_clz_i32_u32_e32 v131, v130
	s_delay_alu instid0(VALU_DEP_1) | instskip(NEXT) | instid1(VALU_DEP_1)
	v_min_u32_e32 v131, 32, v131
	v_subrev_nc_u32_e32 v132, 28, v131
	v_sub_nc_u32_e32 v131, 29, v131
	s_delay_alu instid0(VALU_DEP_2) | instskip(NEXT) | instid1(VALU_DEP_2)
	v_lshlrev_b32_e32 v129, v132, v129
	v_cndmask_b32_e32 v117, v117, v131, vcc_lo
	s_delay_alu instid0(VALU_DEP_2) | instskip(SKIP_1) | instid1(VALU_DEP_3)
	v_and_b32_e32 v129, 7, v129
	v_lshlrev_b32_e32 v128, 16, v128
	v_lshl_add_u32 v117, v117, 23, 0x3b800000
	s_delay_alu instid0(VALU_DEP_2) | instskip(NEXT) | instid1(VALU_DEP_1)
	v_dual_cndmask_b32 v129, v130, v129 :: v_dual_and_b32 v128, 0x80000000, v128
	v_lshlrev_b32_e32 v129, 20, v129
	s_delay_alu instid0(VALU_DEP_1)
	v_or3_b32 v128, v128, v117, v129
.LBB2_395:                              ;   in Loop: Header=BB2_142 Depth=2
	s_or_b32 exec_lo, exec_lo, s26
	v_lshrrev_b32_e32 v117, 24, v10
	s_mov_b32 s12, 0
	s_mov_b32 s27, exec_lo
                                        ; implicit-def: $sgpr26
	s_delay_alu instid0(VALU_DEP_1)
	v_cmpx_lt_i16_e32 0x7f, v117
	s_xor_b32 s27, exec_lo, s27
	s_cbranch_execnz .LBB2_689
; %bb.396:                              ;   in Loop: Header=BB2_142 Depth=2
	s_or_saveexec_b32 s27, s27
	v_mov_b32_e32 v129, s26
	s_xor_b32 exec_lo, exec_lo, s27
	s_cbranch_execnz .LBB2_692
.LBB2_397:                              ;   in Loop: Header=BB2_142 Depth=2
	s_or_b32 exec_lo, exec_lo, s27
	s_and_saveexec_b32 s26, s12
	s_cbranch_execz .LBB2_399
.LBB2_398:                              ;   in Loop: Header=BB2_142 Depth=2
	v_bfe_u32 v129, v10, 24, 3
	s_delay_alu instid0(VALU_DEP_1) | instskip(NEXT) | instid1(VALU_DEP_1)
	v_clz_i32_u32_e32 v130, v129
	v_min_u32_e32 v130, 32, v130
	s_delay_alu instid0(VALU_DEP_1) | instskip(SKIP_1) | instid1(VALU_DEP_2)
	v_subrev_nc_u32_e32 v131, 28, v130
	v_sub_nc_u32_e32 v130, 29, v130
	v_lshlrev_b32_e32 v117, v131, v117
	v_bfe_u32 v131, v10, 27, 4
	v_and_b32_e32 v10, 0x80000000, v10
	s_delay_alu instid0(VALU_DEP_2) | instskip(NEXT) | instid1(VALU_DEP_4)
	v_cmp_eq_u32_e32 vcc_lo, 0, v131
	v_dual_cndmask_b32 v130, v131, v130 :: v_dual_and_b32 v117, 7, v117
	s_delay_alu instid0(VALU_DEP_1) | instskip(NEXT) | instid1(VALU_DEP_2)
	v_cndmask_b32_e32 v117, v129, v117, vcc_lo
	v_lshl_add_u32 v129, v130, 23, 0x3b800000
	s_delay_alu instid0(VALU_DEP_2) | instskip(NEXT) | instid1(VALU_DEP_1)
	v_lshlrev_b32_e32 v117, 20, v117
	v_or3_b32 v129, v10, v129, v117
.LBB2_399:                              ;   in Loop: Header=BB2_142 Depth=2
	s_or_b32 exec_lo, exec_lo, s26
	s_delay_alu instid0(VALU_DEP_1) | instskip(NEXT) | instid1(VALU_DEP_1)
	v_add_f32_e32 v117, v128, v129
	v_and_b32_e32 v10, 0x7f800000, v117
	s_delay_alu instid0(VALU_DEP_1)
	v_cmp_ne_u32_e32 vcc_lo, 0x7f800000, v10
	v_mov_b32_e32 v10, 0x80
	s_and_saveexec_b32 s26, vcc_lo
	s_cbranch_execz .LBB2_407
; %bb.400:                              ;   in Loop: Header=BB2_142 Depth=2
	v_mov_b32_e32 v10, 0
	s_mov_b32 s27, exec_lo
	v_cmpx_ne_u32_e32 0, v117
	s_cbranch_execz .LBB2_406
; %bb.401:                              ;   in Loop: Header=BB2_142 Depth=2
	v_bfe_u32 v10, v117, 23, 8
	v_and_b32_e32 v128, 0x7fffff, v117
	s_delay_alu instid0(VALU_DEP_2) | instskip(SKIP_1) | instid1(VALU_DEP_3)
	v_sub_nc_u32_e32 v129, 0x78, v10
	v_cmp_gt_u32_e32 vcc_lo, 0x79, v10
	v_or_b32_e32 v130, 0x800000, v128
	s_delay_alu instid0(VALU_DEP_3) | instskip(SKIP_2) | instid1(VALU_DEP_4)
	v_cndmask_b32_e32 v129, 0, v129, vcc_lo
	v_cmp_eq_u32_e32 vcc_lo, 0, v10
	v_add_nc_u32_e32 v10, 0xffffff89, v10
	v_cndmask_b32_e32 v128, v130, v128, vcc_lo
	s_delay_alu instid0(VALU_DEP_4) | instskip(NEXT) | instid1(VALU_DEP_3)
	v_cndmask_b32_e64 v129, v129, 0x77, vcc_lo
	v_cndmask_b32_e64 v10, v10, 0xffffff8a, vcc_lo
	s_delay_alu instid0(VALU_DEP_2) | instskip(SKIP_2) | instid1(VALU_DEP_4)
	v_lshrrev_b32_e32 v131, v129, v128
	v_lshl_add_u32 v130, 0x100000, v129, -1
	v_lshlrev_b32_e64 v133, v129, 0x80000
	v_add_nc_u32_e32 v129, v129, v10
	s_delay_alu instid0(VALU_DEP_4) | instskip(NEXT) | instid1(VALU_DEP_4)
	v_bfe_u32 v132, v131, 20, 1
	v_and_b32_e32 v128, v130, v128
	s_delay_alu instid0(VALU_DEP_2) | instskip(NEXT) | instid1(VALU_DEP_2)
	v_add_nc_u32_e32 v130, -1, v132
	v_cmp_eq_u32_e64 s12, v128, v133
	s_delay_alu instid0(VALU_DEP_1) | instskip(SKIP_2) | instid1(VALU_DEP_2)
	v_cndmask_b32_e64 v128, 0, v130, s12
	v_lshrrev_b32_e32 v130, 23, v131
	s_mov_b32 s12, exec_lo
	v_add_nc_u32_e32 v128, v128, v131
	s_delay_alu instid0(VALU_DEP_2) | instskip(NEXT) | instid1(VALU_DEP_2)
	v_xor_b32_e32 v130, 1, v130
	v_and_b32_e32 v10, 0xfffff, v128
	s_delay_alu instid0(VALU_DEP_1) | instskip(NEXT) | instid1(VALU_DEP_3)
	v_add_nc_u32_e32 v128, v10, v131
                                        ; implicit-def: $vgpr10
	v_cmpx_ne_u32_e64 v129, v130
	s_xor_b32 s12, exec_lo, s12
; %bb.402:                              ;   in Loop: Header=BB2_142 Depth=2
	s_delay_alu instid0(VALU_DEP_2) | instskip(SKIP_2) | instid1(VALU_DEP_2)
	v_cmp_lt_u32_e32 vcc_lo, 0xffffff, v128
	v_sub_nc_u32_e32 v10, v129, v130
	v_cndmask_b32_e64 v129, 0, 1, vcc_lo
	v_add_co_ci_u32_e32 v10, vcc_lo, 0, v10, vcc_lo
	s_delay_alu instid0(VALU_DEP_2)
	v_lshrrev_b32_e32 v128, v129, v128
; %bb.403:                              ;   in Loop: Header=BB2_142 Depth=2
	s_and_not1_saveexec_b32 s12, s12
; %bb.404:                              ;   in Loop: Header=BB2_142 Depth=2
	s_delay_alu instid0(VALU_DEP_1)
	v_bfe_u32 v10, v128, 23, 1
; %bb.405:                              ;   in Loop: Header=BB2_142 Depth=2
	s_or_b32 exec_lo, exec_lo, s12
	v_lshrrev_b32_e32 v128, 20, v128
	s_delay_alu instid0(VALU_DEP_2) | instskip(SKIP_2) | instid1(VALU_DEP_2)
	v_cmp_gt_i32_e32 vcc_lo, 16, v10
	v_lshrrev_b32_e32 v117, 24, v117
	v_min_i32_e32 v129, 15, v10
	v_dual_cndmask_b32 v128, 7, v128 :: v_dual_and_b32 v117, 0x80, v117
	s_delay_alu instid0(VALU_DEP_2) | instskip(NEXT) | instid1(VALU_DEP_2)
	v_lshlrev_b32_e32 v129, 3, v129
	v_and_b32_e32 v130, 7, v128
	v_or_b32_e32 v10, v10, v128
	s_delay_alu instid0(VALU_DEP_2) | instskip(NEXT) | instid1(VALU_DEP_2)
	v_or3_b32 v117, v129, v117, v130
	v_cmp_ne_u32_e32 vcc_lo, 0, v10
	s_delay_alu instid0(VALU_DEP_2)
	v_cndmask_b32_e32 v10, 0, v117, vcc_lo
.LBB2_406:                              ;   in Loop: Header=BB2_142 Depth=2
	s_or_b32 exec_lo, exec_lo, s27
.LBB2_407:                              ;   in Loop: Header=BB2_142 Depth=2
	s_delay_alu instid0(SALU_CYCLE_1) | instskip(SKIP_3) | instid1(VALU_DEP_1)
	s_or_b32 exec_lo, exec_lo, s26
	v_or_b32_e32 v119, v119, v116
	s_mov_b32 s12, 0
	s_mov_b32 s27, exec_lo
                                        ; implicit-def: $sgpr26
	v_and_b32_e32 v117, 0xff, v119
	s_delay_alu instid0(VALU_DEP_1)
	v_cmpx_lt_i16_e32 0x7f, v117
	s_xor_b32 s27, exec_lo, s27
	s_cbranch_execnz .LBB2_693
; %bb.408:                              ;   in Loop: Header=BB2_142 Depth=2
	s_or_saveexec_b32 s27, s27
	v_mov_b32_e32 v116, s26
	s_xor_b32 exec_lo, exec_lo, s27
	s_cbranch_execnz .LBB2_696
.LBB2_409:                              ;   in Loop: Header=BB2_142 Depth=2
	s_or_b32 exec_lo, exec_lo, s27
	s_and_saveexec_b32 s26, s12
	s_cbranch_execz .LBB2_411
.LBB2_410:                              ;   in Loop: Header=BB2_142 Depth=2
	v_bfe_u32 v129, v119, 3, 4
	v_lshlrev_b32_e32 v130, 24, v119
	s_delay_alu instid0(VALU_DEP_2) | instskip(SKIP_1) | instid1(VALU_DEP_1)
	v_cmp_eq_u32_e32 vcc_lo, 0, v129
	v_and_b32_e32 v116, 7, v119
	v_clz_i32_u32_e32 v117, v116
	s_delay_alu instid0(VALU_DEP_1) | instskip(NEXT) | instid1(VALU_DEP_1)
	v_min_u32_e32 v117, 32, v117
	v_subrev_nc_u32_e32 v128, 28, v117
	v_sub_nc_u32_e32 v117, 29, v117
	s_delay_alu instid0(VALU_DEP_1) | instskip(NEXT) | instid1(VALU_DEP_1)
	v_dual_cndmask_b32 v117, v129, v117 :: v_dual_lshlrev_b32 v128, v128, v119
	v_and_b32_e32 v128, 7, v128
	s_delay_alu instid0(VALU_DEP_2) | instskip(NEXT) | instid1(VALU_DEP_2)
	v_lshl_add_u32 v117, v117, 23, 0x3b800000
	v_cndmask_b32_e32 v116, v116, v128, vcc_lo
	v_and_b32_e32 v128, 0x80000000, v130
	s_delay_alu instid0(VALU_DEP_2) | instskip(NEXT) | instid1(VALU_DEP_1)
	v_lshlrev_b32_e32 v116, 20, v116
	v_or3_b32 v116, v128, v117, v116
.LBB2_411:                              ;   in Loop: Header=BB2_142 Depth=2
	s_or_b32 exec_lo, exec_lo, s26
	v_and_b32_e32 v128, 0xff, v11
	s_mov_b32 s12, 0
	s_mov_b32 s27, exec_lo
                                        ; implicit-def: $sgpr26
	s_delay_alu instid0(VALU_DEP_1)
	v_cmpx_lt_i16_e64 0x7f, v128
	s_xor_b32 s27, exec_lo, s27
	s_cbranch_execnz .LBB2_697
; %bb.412:                              ;   in Loop: Header=BB2_142 Depth=2
	s_or_saveexec_b32 s27, s27
	v_mov_b32_e32 v117, s26
	s_xor_b32 exec_lo, exec_lo, s27
	s_cbranch_execnz .LBB2_700
.LBB2_413:                              ;   in Loop: Header=BB2_142 Depth=2
	s_or_b32 exec_lo, exec_lo, s27
	s_and_saveexec_b32 s26, s12
	s_cbranch_execz .LBB2_415
.LBB2_414:                              ;   in Loop: Header=BB2_142 Depth=2
	v_bfe_u32 v130, v11, 3, 4
	v_lshlrev_b32_e32 v131, 24, v11
	s_delay_alu instid0(VALU_DEP_2) | instskip(SKIP_1) | instid1(VALU_DEP_1)
	v_cmp_eq_u32_e32 vcc_lo, 0, v130
	v_and_b32_e32 v117, 7, v11
	v_clz_i32_u32_e32 v128, v117
	s_delay_alu instid0(VALU_DEP_1) | instskip(NEXT) | instid1(VALU_DEP_1)
	v_min_u32_e32 v128, 32, v128
	v_subrev_nc_u32_e32 v129, 28, v128
	v_sub_nc_u32_e32 v128, 29, v128
	s_delay_alu instid0(VALU_DEP_1) | instskip(NEXT) | instid1(VALU_DEP_1)
	v_dual_cndmask_b32 v128, v130, v128 :: v_dual_lshlrev_b32 v129, v129, v11
	v_and_b32_e32 v129, 7, v129
	s_delay_alu instid0(VALU_DEP_2) | instskip(NEXT) | instid1(VALU_DEP_2)
	v_lshl_add_u32 v128, v128, 23, 0x3b800000
	v_cndmask_b32_e32 v117, v117, v129, vcc_lo
	v_and_b32_e32 v129, 0x80000000, v131
	s_delay_alu instid0(VALU_DEP_2) | instskip(NEXT) | instid1(VALU_DEP_1)
	v_lshlrev_b32_e32 v117, 20, v117
	v_or3_b32 v117, v129, v128, v117
.LBB2_415:                              ;   in Loop: Header=BB2_142 Depth=2
	s_or_b32 exec_lo, exec_lo, s26
	s_delay_alu instid0(VALU_DEP_1) | instskip(NEXT) | instid1(VALU_DEP_1)
	v_add_f32_e32 v117, v116, v117
	v_and_b32_e32 v116, 0x7f800000, v117
	s_delay_alu instid0(VALU_DEP_1)
	v_cmp_ne_u32_e32 vcc_lo, 0x7f800000, v116
	v_mov_b32_e32 v116, 0x80
	s_and_saveexec_b32 s26, vcc_lo
	s_cbranch_execz .LBB2_423
; %bb.416:                              ;   in Loop: Header=BB2_142 Depth=2
	v_mov_b32_e32 v116, 0
	s_mov_b32 s27, exec_lo
	v_cmpx_ne_u32_e32 0, v117
	s_cbranch_execz .LBB2_422
; %bb.417:                              ;   in Loop: Header=BB2_142 Depth=2
	v_bfe_u32 v116, v117, 23, 8
	v_and_b32_e32 v128, 0x7fffff, v117
	s_delay_alu instid0(VALU_DEP_2) | instskip(SKIP_1) | instid1(VALU_DEP_3)
	v_sub_nc_u32_e32 v129, 0x78, v116
	v_cmp_gt_u32_e32 vcc_lo, 0x79, v116
	v_or_b32_e32 v130, 0x800000, v128
	s_delay_alu instid0(VALU_DEP_3) | instskip(SKIP_2) | instid1(VALU_DEP_4)
	v_cndmask_b32_e32 v129, 0, v129, vcc_lo
	v_cmp_eq_u32_e32 vcc_lo, 0, v116
	v_add_nc_u32_e32 v116, 0xffffff89, v116
	v_cndmask_b32_e32 v128, v130, v128, vcc_lo
	s_delay_alu instid0(VALU_DEP_4) | instskip(NEXT) | instid1(VALU_DEP_3)
	v_cndmask_b32_e64 v129, v129, 0x77, vcc_lo
	v_cndmask_b32_e64 v116, v116, 0xffffff8a, vcc_lo
	s_delay_alu instid0(VALU_DEP_2) | instskip(SKIP_2) | instid1(VALU_DEP_4)
	v_lshrrev_b32_e32 v131, v129, v128
	v_lshl_add_u32 v130, 0x100000, v129, -1
	v_lshlrev_b32_e64 v133, v129, 0x80000
	v_add_nc_u32_e32 v129, v129, v116
	s_delay_alu instid0(VALU_DEP_4) | instskip(NEXT) | instid1(VALU_DEP_4)
	v_bfe_u32 v132, v131, 20, 1
	v_and_b32_e32 v128, v130, v128
	s_delay_alu instid0(VALU_DEP_2) | instskip(NEXT) | instid1(VALU_DEP_2)
	v_add_nc_u32_e32 v130, -1, v132
	v_cmp_eq_u32_e64 s12, v128, v133
	s_delay_alu instid0(VALU_DEP_1) | instskip(SKIP_2) | instid1(VALU_DEP_2)
	v_cndmask_b32_e64 v128, 0, v130, s12
	v_lshrrev_b32_e32 v130, 23, v131
	s_mov_b32 s12, exec_lo
	v_add_nc_u32_e32 v128, v128, v131
	s_delay_alu instid0(VALU_DEP_2) | instskip(NEXT) | instid1(VALU_DEP_2)
	v_xor_b32_e32 v130, 1, v130
	v_and_b32_e32 v116, 0xfffff, v128
	s_delay_alu instid0(VALU_DEP_1) | instskip(NEXT) | instid1(VALU_DEP_3)
	v_add_nc_u32_e32 v128, v116, v131
                                        ; implicit-def: $vgpr116
	v_cmpx_ne_u32_e64 v129, v130
	s_xor_b32 s12, exec_lo, s12
; %bb.418:                              ;   in Loop: Header=BB2_142 Depth=2
	s_delay_alu instid0(VALU_DEP_2) | instskip(SKIP_2) | instid1(VALU_DEP_2)
	v_cmp_lt_u32_e32 vcc_lo, 0xffffff, v128
	v_sub_nc_u32_e32 v116, v129, v130
	v_cndmask_b32_e64 v129, 0, 1, vcc_lo
	v_add_co_ci_u32_e32 v116, vcc_lo, 0, v116, vcc_lo
	s_delay_alu instid0(VALU_DEP_2)
	v_lshrrev_b32_e32 v128, v129, v128
; %bb.419:                              ;   in Loop: Header=BB2_142 Depth=2
	s_and_not1_saveexec_b32 s12, s12
; %bb.420:                              ;   in Loop: Header=BB2_142 Depth=2
	s_delay_alu instid0(VALU_DEP_1)
	v_bfe_u32 v116, v128, 23, 1
; %bb.421:                              ;   in Loop: Header=BB2_142 Depth=2
	s_or_b32 exec_lo, exec_lo, s12
	v_lshrrev_b32_e32 v128, 20, v128
	s_delay_alu instid0(VALU_DEP_2) | instskip(SKIP_2) | instid1(VALU_DEP_2)
	v_cmp_gt_i32_e32 vcc_lo, 16, v116
	v_lshrrev_b32_e32 v117, 24, v117
	v_min_i32_e32 v129, 15, v116
	v_dual_cndmask_b32 v128, 7, v128 :: v_dual_and_b32 v117, 0x80, v117
	s_delay_alu instid0(VALU_DEP_2) | instskip(NEXT) | instid1(VALU_DEP_2)
	v_lshlrev_b32_e32 v129, 3, v129
	v_and_b32_e32 v130, 7, v128
	v_or_b32_e32 v116, v116, v128
	s_delay_alu instid0(VALU_DEP_2) | instskip(NEXT) | instid1(VALU_DEP_2)
	v_or3_b32 v117, v129, v117, v130
	v_cmp_ne_u32_e32 vcc_lo, 0, v116
	s_delay_alu instid0(VALU_DEP_2)
	v_cndmask_b32_e32 v116, 0, v117, vcc_lo
.LBB2_422:                              ;   in Loop: Header=BB2_142 Depth=2
	s_or_b32 exec_lo, exec_lo, s27
.LBB2_423:                              ;   in Loop: Header=BB2_142 Depth=2
	s_delay_alu instid0(SALU_CYCLE_1) | instskip(SKIP_3) | instid1(VALU_DEP_1)
	s_or_b32 exec_lo, exec_lo, s26
	v_lshrrev_b16 v128, 8, v119
	s_mov_b32 s12, 0
	s_mov_b32 s27, exec_lo
                                        ; implicit-def: $sgpr26
	v_cmpx_lt_i16_e64 0x7f, v128
	s_xor_b32 s27, exec_lo, s27
	s_cbranch_execnz .LBB2_701
; %bb.424:                              ;   in Loop: Header=BB2_142 Depth=2
	s_or_saveexec_b32 s27, s27
	v_mov_b32_e32 v117, s26
	s_xor_b32 exec_lo, exec_lo, s27
	s_cbranch_execnz .LBB2_704
.LBB2_425:                              ;   in Loop: Header=BB2_142 Depth=2
	s_or_b32 exec_lo, exec_lo, s27
	s_and_saveexec_b32 s26, s12
	s_cbranch_execz .LBB2_427
.LBB2_426:                              ;   in Loop: Header=BB2_142 Depth=2
	v_and_b32_e32 v117, 0xffff, v128
	s_delay_alu instid0(VALU_DEP_1) | instskip(NEXT) | instid1(VALU_DEP_1)
	v_and_b32_e32 v129, 7, v117
	v_clz_i32_u32_e32 v130, v129
	s_delay_alu instid0(VALU_DEP_1) | instskip(NEXT) | instid1(VALU_DEP_1)
	v_min_u32_e32 v130, 32, v130
	v_subrev_nc_u32_e32 v131, 28, v130
	v_sub_nc_u32_e32 v130, 29, v130
	s_delay_alu instid0(VALU_DEP_2) | instskip(SKIP_1) | instid1(VALU_DEP_2)
	v_lshlrev_b32_e32 v131, v131, v117
	v_bfe_u32 v117, v117, 3, 4
	v_and_b32_e32 v131, 7, v131
	s_delay_alu instid0(VALU_DEP_2) | instskip(SKIP_1) | instid1(VALU_DEP_1)
	v_cmp_eq_u32_e32 vcc_lo, 0, v117
	v_dual_cndmask_b32 v117, v117, v130 :: v_dual_lshlrev_b32 v128, 24, v128
	v_dual_cndmask_b32 v129, v129, v131 :: v_dual_and_b32 v128, 0x80000000, v128
	s_delay_alu instid0(VALU_DEP_2) | instskip(NEXT) | instid1(VALU_DEP_2)
	v_lshl_add_u32 v117, v117, 23, 0x3b800000
	v_lshlrev_b32_e32 v129, 20, v129
	s_delay_alu instid0(VALU_DEP_1)
	v_or3_b32 v117, v128, v117, v129
.LBB2_427:                              ;   in Loop: Header=BB2_142 Depth=2
	s_or_b32 exec_lo, exec_lo, s26
	v_lshrrev_b16 v128, 8, v11
	s_mov_b32 s12, 0
	s_mov_b32 s27, exec_lo
                                        ; implicit-def: $sgpr26
	s_delay_alu instid0(VALU_DEP_1)
	v_cmpx_lt_i16_e64 0x7f, v128
	s_xor_b32 s27, exec_lo, s27
	s_cbranch_execnz .LBB2_705
; %bb.428:                              ;   in Loop: Header=BB2_142 Depth=2
	s_or_saveexec_b32 s27, s27
	v_mov_b32_e32 v129, s26
	s_xor_b32 exec_lo, exec_lo, s27
	s_cbranch_execnz .LBB2_708
.LBB2_429:                              ;   in Loop: Header=BB2_142 Depth=2
	s_or_b32 exec_lo, exec_lo, s27
	s_and_saveexec_b32 s26, s12
	s_cbranch_execz .LBB2_431
.LBB2_430:                              ;   in Loop: Header=BB2_142 Depth=2
	v_and_b32_e32 v129, 0xffff, v128
	v_lshlrev_b32_e32 v128, 24, v128
	s_delay_alu instid0(VALU_DEP_2) | instskip(NEXT) | instid1(VALU_DEP_2)
	v_and_b32_e32 v130, 7, v129
	v_and_b32_e32 v128, 0x80000000, v128
	s_delay_alu instid0(VALU_DEP_2) | instskip(NEXT) | instid1(VALU_DEP_1)
	v_clz_i32_u32_e32 v131, v130
	v_min_u32_e32 v131, 32, v131
	s_delay_alu instid0(VALU_DEP_1) | instskip(SKIP_1) | instid1(VALU_DEP_2)
	v_subrev_nc_u32_e32 v132, 28, v131
	v_sub_nc_u32_e32 v131, 29, v131
	v_lshlrev_b32_e32 v132, v132, v129
	v_bfe_u32 v129, v129, 3, 4
	s_delay_alu instid0(VALU_DEP_2) | instskip(NEXT) | instid1(VALU_DEP_2)
	v_and_b32_e32 v132, 7, v132
	v_cmp_eq_u32_e32 vcc_lo, 0, v129
	s_delay_alu instid0(VALU_DEP_2) | instskip(NEXT) | instid1(VALU_DEP_1)
	v_dual_cndmask_b32 v129, v129, v131 :: v_dual_cndmask_b32 v130, v130, v132
	v_lshl_add_u32 v129, v129, 23, 0x3b800000
	s_delay_alu instid0(VALU_DEP_2) | instskip(NEXT) | instid1(VALU_DEP_1)
	v_lshlrev_b32_e32 v130, 20, v130
	v_or3_b32 v129, v128, v129, v130
.LBB2_431:                              ;   in Loop: Header=BB2_142 Depth=2
	s_or_b32 exec_lo, exec_lo, s26
	s_delay_alu instid0(VALU_DEP_1) | instskip(NEXT) | instid1(VALU_DEP_1)
	v_add_f32_e32 v128, v117, v129
	v_and_b32_e32 v117, 0x7f800000, v128
	s_delay_alu instid0(VALU_DEP_1)
	v_cmp_ne_u32_e32 vcc_lo, 0x7f800000, v117
	v_mov_b32_e32 v117, 0x8000
	s_and_saveexec_b32 s26, vcc_lo
	s_cbranch_execz .LBB2_439
; %bb.432:                              ;   in Loop: Header=BB2_142 Depth=2
	v_mov_b32_e32 v117, 0
	s_mov_b32 s27, exec_lo
	v_cmpx_ne_u32_e32 0, v128
	s_cbranch_execz .LBB2_438
; %bb.433:                              ;   in Loop: Header=BB2_142 Depth=2
	v_bfe_u32 v117, v128, 23, 8
	s_delay_alu instid0(VALU_DEP_1) | instskip(SKIP_1) | instid1(VALU_DEP_2)
	v_sub_nc_u32_e32 v130, 0x78, v117
	v_cmp_gt_u32_e32 vcc_lo, 0x79, v117
	v_dual_cndmask_b32 v130, 0, v130 :: v_dual_and_b32 v129, 0x7fffff, v128
	s_delay_alu instid0(VALU_DEP_1) | instskip(SKIP_2) | instid1(VALU_DEP_4)
	v_or_b32_e32 v131, 0x800000, v129
	v_cmp_eq_u32_e32 vcc_lo, 0, v117
	v_add_nc_u32_e32 v117, 0xffffff89, v117
	v_cndmask_b32_e64 v130, v130, 0x77, vcc_lo
	s_delay_alu instid0(VALU_DEP_4) | instskip(NEXT) | instid1(VALU_DEP_3)
	v_cndmask_b32_e32 v129, v131, v129, vcc_lo
	v_cndmask_b32_e64 v117, v117, 0xffffff8a, vcc_lo
	s_delay_alu instid0(VALU_DEP_3) | instskip(NEXT) | instid1(VALU_DEP_3)
	v_lshl_add_u32 v131, 0x100000, v130, -1
	v_lshrrev_b32_e32 v132, v130, v129
	v_lshlrev_b32_e64 v134, v130, 0x80000
	s_delay_alu instid0(VALU_DEP_4) | instskip(NEXT) | instid1(VALU_DEP_4)
	v_add_nc_u32_e32 v130, v130, v117
	v_and_b32_e32 v129, v131, v129
	s_delay_alu instid0(VALU_DEP_4) | instskip(NEXT) | instid1(VALU_DEP_2)
	v_bfe_u32 v133, v132, 20, 1
	v_cmp_eq_u32_e64 s12, v129, v134
	s_delay_alu instid0(VALU_DEP_2) | instskip(NEXT) | instid1(VALU_DEP_1)
	v_add_nc_u32_e32 v131, -1, v133
	v_cndmask_b32_e64 v129, 0, v131, s12
	v_lshrrev_b32_e32 v131, 23, v132
	s_mov_b32 s12, exec_lo
	s_delay_alu instid0(VALU_DEP_2) | instskip(NEXT) | instid1(VALU_DEP_2)
	v_add_nc_u32_e32 v129, v129, v132
	v_xor_b32_e32 v131, 1, v131
	s_delay_alu instid0(VALU_DEP_2) | instskip(NEXT) | instid1(VALU_DEP_1)
	v_and_b32_e32 v117, 0xfffff, v129
	v_add_nc_u32_e32 v129, v117, v132
                                        ; implicit-def: $vgpr117
	s_delay_alu instid0(VALU_DEP_3)
	v_cmpx_ne_u32_e64 v130, v131
	s_xor_b32 s12, exec_lo, s12
; %bb.434:                              ;   in Loop: Header=BB2_142 Depth=2
	s_delay_alu instid0(VALU_DEP_2) | instskip(SKIP_2) | instid1(VALU_DEP_2)
	v_cmp_lt_u32_e32 vcc_lo, 0xffffff, v129
	v_sub_nc_u32_e32 v117, v130, v131
	v_cndmask_b32_e64 v130, 0, 1, vcc_lo
	v_add_co_ci_u32_e32 v117, vcc_lo, 0, v117, vcc_lo
	s_delay_alu instid0(VALU_DEP_2)
	v_lshrrev_b32_e32 v129, v130, v129
; %bb.435:                              ;   in Loop: Header=BB2_142 Depth=2
	s_and_not1_saveexec_b32 s12, s12
; %bb.436:                              ;   in Loop: Header=BB2_142 Depth=2
	s_delay_alu instid0(VALU_DEP_1)
	v_bfe_u32 v117, v129, 23, 1
; %bb.437:                              ;   in Loop: Header=BB2_142 Depth=2
	s_or_b32 exec_lo, exec_lo, s12
	v_lshrrev_b32_e32 v129, 20, v129
	s_delay_alu instid0(VALU_DEP_2) | instskip(SKIP_2) | instid1(VALU_DEP_2)
	v_cmp_gt_i32_e32 vcc_lo, 16, v117
	v_min_i32_e32 v130, 15, v117
	v_lshrrev_b32_e32 v128, 24, v128
	v_dual_cndmask_b32 v129, 7, v129 :: v_dual_lshlrev_b32 v130, 3, v130
	s_delay_alu instid0(VALU_DEP_2) | instskip(NEXT) | instid1(VALU_DEP_2)
	v_and_b32_e32 v128, 0x80, v128
	v_or_b32_e32 v117, v117, v129
	v_and_b32_e32 v131, 7, v129
	s_delay_alu instid0(VALU_DEP_2) | instskip(SKIP_1) | instid1(VALU_DEP_1)
	v_cmp_ne_u32_e32 vcc_lo, 0, v117
	v_and_b32_e32 v130, 0xf8, v130
	v_or3_b32 v128, v128, v130, v131
	s_delay_alu instid0(VALU_DEP_1) | instskip(NEXT) | instid1(VALU_DEP_1)
	v_lshlrev_b32_e32 v128, 8, v128
	v_cndmask_b32_e32 v117, 0, v128, vcc_lo
.LBB2_438:                              ;   in Loop: Header=BB2_142 Depth=2
	s_or_b32 exec_lo, exec_lo, s27
.LBB2_439:                              ;   in Loop: Header=BB2_142 Depth=2
	s_delay_alu instid0(SALU_CYCLE_1) | instskip(SKIP_3) | instid1(VALU_DEP_1)
	s_or_b32 exec_lo, exec_lo, s26
	v_or_b32_e32 v118, v118, v115
	s_mov_b32 s12, 0
	s_mov_b32 s27, exec_lo
                                        ; implicit-def: $sgpr26
	v_and_b32_e32 v128, 0xff, v118
	s_delay_alu instid0(VALU_DEP_1)
	v_cmpx_lt_i16_e64 0x7f, v128
	s_xor_b32 s27, exec_lo, s27
	s_cbranch_execnz .LBB2_709
; %bb.440:                              ;   in Loop: Header=BB2_142 Depth=2
	s_or_saveexec_b32 s27, s27
	v_mov_b32_e32 v115, s26
	s_xor_b32 exec_lo, exec_lo, s27
	s_cbranch_execnz .LBB2_712
.LBB2_441:                              ;   in Loop: Header=BB2_142 Depth=2
	s_or_b32 exec_lo, exec_lo, s27
	v_lshl_or_b32 v118, v118, 16, v119
	s_and_saveexec_b32 s26, s12
	s_cbranch_execz .LBB2_443
.LBB2_442:                              ;   in Loop: Header=BB2_142 Depth=2
	s_delay_alu instid0(VALU_DEP_1) | instskip(SKIP_1) | instid1(VALU_DEP_2)
	v_bfe_u32 v115, v118, 16, 3
	v_lshrrev_b32_e32 v128, 16, v118
	v_clz_i32_u32_e32 v119, v115
	s_delay_alu instid0(VALU_DEP_1) | instskip(NEXT) | instid1(VALU_DEP_1)
	v_min_u32_e32 v119, 32, v119
	v_subrev_nc_u32_e32 v129, 28, v119
	v_sub_nc_u32_e32 v119, 29, v119
	s_delay_alu instid0(VALU_DEP_2) | instskip(SKIP_1) | instid1(VALU_DEP_1)
	v_lshlrev_b32_e32 v128, v129, v128
	v_bfe_u32 v129, v118, 19, 4
	v_cmp_eq_u32_e32 vcc_lo, 0, v129
	s_delay_alu instid0(VALU_DEP_3) | instskip(NEXT) | instid1(VALU_DEP_1)
	v_dual_cndmask_b32 v119, v129, v119 :: v_dual_and_b32 v128, 7, v128
	v_dual_cndmask_b32 v115, v115, v128 :: v_dual_lshlrev_b32 v130, 8, v118
	s_delay_alu instid0(VALU_DEP_2) | instskip(NEXT) | instid1(VALU_DEP_2)
	v_lshl_add_u32 v119, v119, 23, 0x3b800000
	v_and_b32_e32 v128, 0x80000000, v130
	s_delay_alu instid0(VALU_DEP_3) | instskip(NEXT) | instid1(VALU_DEP_1)
	v_lshlrev_b32_e32 v115, 20, v115
	v_or3_b32 v115, v128, v119, v115
.LBB2_443:                              ;   in Loop: Header=BB2_142 Depth=2
	s_or_b32 exec_lo, exec_lo, s26
	v_lshrrev_b32_e32 v119, 16, v11
	s_mov_b32 s12, 0
	s_mov_b32 s27, exec_lo
                                        ; implicit-def: $sgpr26
	s_delay_alu instid0(VALU_DEP_1) | instskip(NEXT) | instid1(VALU_DEP_1)
	v_and_b32_e32 v129, 0xff, v119
	v_cmpx_lt_i16_e64 0x7f, v129
	s_xor_b32 s27, exec_lo, s27
	s_cbranch_execnz .LBB2_713
; %bb.444:                              ;   in Loop: Header=BB2_142 Depth=2
	s_or_saveexec_b32 s27, s27
	v_mov_b32_e32 v128, s26
	s_xor_b32 exec_lo, exec_lo, s27
	s_cbranch_execnz .LBB2_716
.LBB2_445:                              ;   in Loop: Header=BB2_142 Depth=2
	s_or_b32 exec_lo, exec_lo, s27
	s_and_saveexec_b32 s26, s12
	s_cbranch_execz .LBB2_447
.LBB2_446:                              ;   in Loop: Header=BB2_142 Depth=2
	v_bfe_u32 v128, v11, 16, 3
	v_lshlrev_b32_e32 v131, 8, v11
	s_delay_alu instid0(VALU_DEP_2) | instskip(NEXT) | instid1(VALU_DEP_1)
	v_clz_i32_u32_e32 v129, v128
	v_min_u32_e32 v129, 32, v129
	s_delay_alu instid0(VALU_DEP_1) | instskip(SKIP_1) | instid1(VALU_DEP_2)
	v_subrev_nc_u32_e32 v130, 28, v129
	v_sub_nc_u32_e32 v129, 29, v129
	v_lshlrev_b32_e32 v119, v130, v119
	v_bfe_u32 v130, v11, 19, 4
	s_delay_alu instid0(VALU_DEP_2) | instskip(NEXT) | instid1(VALU_DEP_2)
	v_and_b32_e32 v119, 7, v119
	v_cmp_eq_u32_e32 vcc_lo, 0, v130
	v_cndmask_b32_e32 v129, v130, v129, vcc_lo
	s_delay_alu instid0(VALU_DEP_3) | instskip(SKIP_1) | instid1(VALU_DEP_3)
	v_cndmask_b32_e32 v119, v128, v119, vcc_lo
	v_and_b32_e32 v128, 0x80000000, v131
	v_lshl_add_u32 v129, v129, 23, 0x3b800000
	s_delay_alu instid0(VALU_DEP_3) | instskip(NEXT) | instid1(VALU_DEP_1)
	v_lshlrev_b32_e32 v119, 20, v119
	v_or3_b32 v128, v128, v129, v119
.LBB2_447:                              ;   in Loop: Header=BB2_142 Depth=2
	s_or_b32 exec_lo, exec_lo, s26
	s_delay_alu instid0(VALU_DEP_1) | instskip(NEXT) | instid1(VALU_DEP_1)
	v_add_f32_e32 v119, v115, v128
	v_and_b32_e32 v115, 0x7f800000, v119
	s_delay_alu instid0(VALU_DEP_1)
	v_cmp_ne_u32_e32 vcc_lo, 0x7f800000, v115
	v_mov_b32_e32 v115, 0x80
	s_and_saveexec_b32 s26, vcc_lo
	s_cbranch_execz .LBB2_455
; %bb.448:                              ;   in Loop: Header=BB2_142 Depth=2
	v_mov_b32_e32 v115, 0
	s_mov_b32 s27, exec_lo
	v_cmpx_ne_u32_e32 0, v119
	s_cbranch_execz .LBB2_454
; %bb.449:                              ;   in Loop: Header=BB2_142 Depth=2
	v_bfe_u32 v115, v119, 23, 8
	s_delay_alu instid0(VALU_DEP_1) | instskip(SKIP_1) | instid1(VALU_DEP_2)
	v_sub_nc_u32_e32 v129, 0x78, v115
	v_cmp_gt_u32_e32 vcc_lo, 0x79, v115
	v_dual_cndmask_b32 v129, 0, v129 :: v_dual_and_b32 v128, 0x7fffff, v119
	s_delay_alu instid0(VALU_DEP_1) | instskip(SKIP_2) | instid1(VALU_DEP_4)
	v_or_b32_e32 v130, 0x800000, v128
	v_cmp_eq_u32_e32 vcc_lo, 0, v115
	v_add_nc_u32_e32 v115, 0xffffff89, v115
	v_cndmask_b32_e64 v129, v129, 0x77, vcc_lo
	s_delay_alu instid0(VALU_DEP_4) | instskip(NEXT) | instid1(VALU_DEP_3)
	v_cndmask_b32_e32 v128, v130, v128, vcc_lo
	v_cndmask_b32_e64 v115, v115, 0xffffff8a, vcc_lo
	s_delay_alu instid0(VALU_DEP_3) | instskip(NEXT) | instid1(VALU_DEP_3)
	v_lshl_add_u32 v130, 0x100000, v129, -1
	v_lshrrev_b32_e32 v131, v129, v128
	v_lshlrev_b32_e64 v133, v129, 0x80000
	s_delay_alu instid0(VALU_DEP_4) | instskip(NEXT) | instid1(VALU_DEP_4)
	v_add_nc_u32_e32 v129, v129, v115
	v_and_b32_e32 v128, v130, v128
	s_delay_alu instid0(VALU_DEP_4) | instskip(NEXT) | instid1(VALU_DEP_2)
	v_bfe_u32 v132, v131, 20, 1
	v_cmp_eq_u32_e64 s12, v128, v133
	s_delay_alu instid0(VALU_DEP_2) | instskip(NEXT) | instid1(VALU_DEP_1)
	v_add_nc_u32_e32 v130, -1, v132
	v_cndmask_b32_e64 v128, 0, v130, s12
	v_lshrrev_b32_e32 v130, 23, v131
	s_mov_b32 s12, exec_lo
	s_delay_alu instid0(VALU_DEP_2) | instskip(NEXT) | instid1(VALU_DEP_2)
	v_add_nc_u32_e32 v128, v128, v131
	v_xor_b32_e32 v130, 1, v130
	s_delay_alu instid0(VALU_DEP_2) | instskip(NEXT) | instid1(VALU_DEP_1)
	v_and_b32_e32 v115, 0xfffff, v128
	v_add_nc_u32_e32 v128, v115, v131
                                        ; implicit-def: $vgpr115
	s_delay_alu instid0(VALU_DEP_3)
	v_cmpx_ne_u32_e64 v129, v130
	s_xor_b32 s12, exec_lo, s12
; %bb.450:                              ;   in Loop: Header=BB2_142 Depth=2
	s_delay_alu instid0(VALU_DEP_2) | instskip(SKIP_2) | instid1(VALU_DEP_2)
	v_cmp_lt_u32_e32 vcc_lo, 0xffffff, v128
	v_sub_nc_u32_e32 v115, v129, v130
	v_cndmask_b32_e64 v129, 0, 1, vcc_lo
	v_add_co_ci_u32_e32 v115, vcc_lo, 0, v115, vcc_lo
	s_delay_alu instid0(VALU_DEP_2)
	v_lshrrev_b32_e32 v128, v129, v128
; %bb.451:                              ;   in Loop: Header=BB2_142 Depth=2
	s_and_not1_saveexec_b32 s12, s12
; %bb.452:                              ;   in Loop: Header=BB2_142 Depth=2
	s_delay_alu instid0(VALU_DEP_1)
	v_bfe_u32 v115, v128, 23, 1
; %bb.453:                              ;   in Loop: Header=BB2_142 Depth=2
	s_or_b32 exec_lo, exec_lo, s12
	v_lshrrev_b32_e32 v128, 20, v128
	s_delay_alu instid0(VALU_DEP_2) | instskip(SKIP_2) | instid1(VALU_DEP_2)
	v_cmp_gt_i32_e32 vcc_lo, 16, v115
	v_min_i32_e32 v129, 15, v115
	v_lshrrev_b32_e32 v119, 24, v119
	v_dual_cndmask_b32 v128, 7, v128 :: v_dual_lshlrev_b32 v129, 3, v129
	s_delay_alu instid0(VALU_DEP_2) | instskip(NEXT) | instid1(VALU_DEP_2)
	v_and_b32_e32 v119, 0x80, v119
	v_or_b32_e32 v115, v115, v128
	s_delay_alu instid0(VALU_DEP_3) | instskip(NEXT) | instid1(VALU_DEP_2)
	v_and_b32_e32 v129, 0xf8, v129
	v_cmp_ne_u32_e32 vcc_lo, 0, v115
	v_and_b32_e32 v130, 7, v128
	s_delay_alu instid0(VALU_DEP_1) | instskip(NEXT) | instid1(VALU_DEP_1)
	v_or3_b32 v119, v129, v119, v130
	v_cndmask_b32_e32 v115, 0, v119, vcc_lo
.LBB2_454:                              ;   in Loop: Header=BB2_142 Depth=2
	s_or_b32 exec_lo, exec_lo, s27
.LBB2_455:                              ;   in Loop: Header=BB2_142 Depth=2
	s_delay_alu instid0(SALU_CYCLE_1) | instskip(SKIP_3) | instid1(VALU_DEP_1)
	s_or_b32 exec_lo, exec_lo, s26
	v_lshrrev_b32_e32 v128, 24, v118
	s_mov_b32 s12, 0
	s_mov_b32 s27, exec_lo
                                        ; implicit-def: $sgpr26
	v_cmpx_lt_i16_e64 0x7f, v128
	s_xor_b32 s27, exec_lo, s27
	s_cbranch_execnz .LBB2_717
; %bb.456:                              ;   in Loop: Header=BB2_142 Depth=2
	s_or_saveexec_b32 s27, s27
	v_mov_b32_e32 v119, s26
	s_xor_b32 exec_lo, exec_lo, s27
	s_cbranch_execnz .LBB2_720
.LBB2_457:                              ;   in Loop: Header=BB2_142 Depth=2
	s_or_b32 exec_lo, exec_lo, s27
	s_and_saveexec_b32 s26, s12
	s_cbranch_execz .LBB2_459
.LBB2_458:                              ;   in Loop: Header=BB2_142 Depth=2
	v_bfe_u32 v119, v118, 24, 3
	s_delay_alu instid0(VALU_DEP_1) | instskip(NEXT) | instid1(VALU_DEP_1)
	v_clz_i32_u32_e32 v129, v119
	v_min_u32_e32 v129, 32, v129
	s_delay_alu instid0(VALU_DEP_1) | instskip(SKIP_1) | instid1(VALU_DEP_2)
	v_subrev_nc_u32_e32 v130, 28, v129
	v_sub_nc_u32_e32 v129, 29, v129
	v_lshlrev_b32_e32 v128, v130, v128
	v_bfe_u32 v130, v118, 27, 4
	v_and_b32_e32 v118, 0x80000000, v118
	s_delay_alu instid0(VALU_DEP_2) | instskip(NEXT) | instid1(VALU_DEP_4)
	v_cmp_eq_u32_e32 vcc_lo, 0, v130
	v_dual_cndmask_b32 v129, v130, v129 :: v_dual_and_b32 v128, 7, v128
	s_delay_alu instid0(VALU_DEP_1) | instskip(NEXT) | instid1(VALU_DEP_2)
	v_cndmask_b32_e32 v119, v119, v128, vcc_lo
	v_lshl_add_u32 v128, v129, 23, 0x3b800000
	s_delay_alu instid0(VALU_DEP_2) | instskip(NEXT) | instid1(VALU_DEP_1)
	v_lshlrev_b32_e32 v119, 20, v119
	v_or3_b32 v119, v118, v128, v119
.LBB2_459:                              ;   in Loop: Header=BB2_142 Depth=2
	s_or_b32 exec_lo, exec_lo, s26
	v_lshrrev_b32_e32 v118, 24, v11
	s_mov_b32 s12, 0
	s_mov_b32 s27, exec_lo
                                        ; implicit-def: $sgpr26
	s_delay_alu instid0(VALU_DEP_1)
	v_cmpx_lt_i16_e32 0x7f, v118
	s_xor_b32 s27, exec_lo, s27
	s_cbranch_execnz .LBB2_721
; %bb.460:                              ;   in Loop: Header=BB2_142 Depth=2
	s_or_saveexec_b32 s27, s27
	v_mov_b32_e32 v128, s26
	s_xor_b32 exec_lo, exec_lo, s27
	s_cbranch_execnz .LBB2_724
.LBB2_461:                              ;   in Loop: Header=BB2_142 Depth=2
	s_or_b32 exec_lo, exec_lo, s27
	s_and_saveexec_b32 s26, s12
	s_cbranch_execz .LBB2_463
.LBB2_462:                              ;   in Loop: Header=BB2_142 Depth=2
	v_bfe_u32 v128, v11, 24, 3
	s_delay_alu instid0(VALU_DEP_1) | instskip(NEXT) | instid1(VALU_DEP_1)
	v_clz_i32_u32_e32 v129, v128
	v_min_u32_e32 v129, 32, v129
	s_delay_alu instid0(VALU_DEP_1) | instskip(SKIP_1) | instid1(VALU_DEP_2)
	v_subrev_nc_u32_e32 v130, 28, v129
	v_sub_nc_u32_e32 v129, 29, v129
	v_lshlrev_b32_e32 v118, v130, v118
	v_bfe_u32 v130, v11, 27, 4
	v_and_b32_e32 v11, 0x80000000, v11
	s_delay_alu instid0(VALU_DEP_2) | instskip(NEXT) | instid1(VALU_DEP_4)
	v_cmp_eq_u32_e32 vcc_lo, 0, v130
	v_dual_cndmask_b32 v129, v130, v129 :: v_dual_and_b32 v118, 7, v118
	s_delay_alu instid0(VALU_DEP_1) | instskip(NEXT) | instid1(VALU_DEP_2)
	v_cndmask_b32_e32 v118, v128, v118, vcc_lo
	v_lshl_add_u32 v128, v129, 23, 0x3b800000
	s_delay_alu instid0(VALU_DEP_2) | instskip(NEXT) | instid1(VALU_DEP_1)
	v_lshlrev_b32_e32 v118, 20, v118
	v_or3_b32 v128, v11, v128, v118
.LBB2_463:                              ;   in Loop: Header=BB2_142 Depth=2
	s_or_b32 exec_lo, exec_lo, s26
	s_delay_alu instid0(VALU_DEP_1) | instskip(NEXT) | instid1(VALU_DEP_1)
	v_add_f32_e32 v118, v119, v128
	v_and_b32_e32 v11, 0x7f800000, v118
	s_delay_alu instid0(VALU_DEP_1)
	v_cmp_ne_u32_e32 vcc_lo, 0x7f800000, v11
	v_mov_b32_e32 v11, 0x8000
	s_and_saveexec_b32 s26, vcc_lo
	s_cbranch_execz .LBB2_471
; %bb.464:                              ;   in Loop: Header=BB2_142 Depth=2
	v_mov_b32_e32 v11, 0
	s_mov_b32 s27, exec_lo
	v_cmpx_ne_u32_e32 0, v118
	s_cbranch_execz .LBB2_470
; %bb.465:                              ;   in Loop: Header=BB2_142 Depth=2
	v_bfe_u32 v11, v118, 23, 8
	s_delay_alu instid0(VALU_DEP_1) | instskip(SKIP_1) | instid1(VALU_DEP_2)
	v_sub_nc_u32_e32 v128, 0x78, v11
	v_cmp_gt_u32_e32 vcc_lo, 0x79, v11
	v_dual_cndmask_b32 v128, 0, v128 :: v_dual_and_b32 v119, 0x7fffff, v118
	s_delay_alu instid0(VALU_DEP_1) | instskip(SKIP_2) | instid1(VALU_DEP_4)
	v_or_b32_e32 v129, 0x800000, v119
	v_cmp_eq_u32_e32 vcc_lo, 0, v11
	v_add_nc_u32_e32 v11, 0xffffff89, v11
	v_cndmask_b32_e64 v128, v128, 0x77, vcc_lo
	s_delay_alu instid0(VALU_DEP_4) | instskip(NEXT) | instid1(VALU_DEP_3)
	v_cndmask_b32_e32 v119, v129, v119, vcc_lo
	v_cndmask_b32_e64 v11, v11, 0xffffff8a, vcc_lo
	s_delay_alu instid0(VALU_DEP_3) | instskip(NEXT) | instid1(VALU_DEP_3)
	v_lshl_add_u32 v129, 0x100000, v128, -1
	v_lshrrev_b32_e32 v130, v128, v119
	v_lshlrev_b32_e64 v132, v128, 0x80000
	s_delay_alu instid0(VALU_DEP_4) | instskip(NEXT) | instid1(VALU_DEP_4)
	v_add_nc_u32_e32 v128, v128, v11
	v_and_b32_e32 v119, v129, v119
	s_delay_alu instid0(VALU_DEP_4) | instskip(NEXT) | instid1(VALU_DEP_2)
	v_bfe_u32 v131, v130, 20, 1
	v_cmp_eq_u32_e64 s12, v119, v132
	s_delay_alu instid0(VALU_DEP_2) | instskip(NEXT) | instid1(VALU_DEP_1)
	v_add_nc_u32_e32 v129, -1, v131
	v_cndmask_b32_e64 v119, 0, v129, s12
	v_lshrrev_b32_e32 v129, 23, v130
	s_mov_b32 s12, exec_lo
	s_delay_alu instid0(VALU_DEP_2) | instskip(NEXT) | instid1(VALU_DEP_2)
	v_add_nc_u32_e32 v119, v119, v130
	v_xor_b32_e32 v129, 1, v129
	s_delay_alu instid0(VALU_DEP_2) | instskip(NEXT) | instid1(VALU_DEP_1)
	v_and_b32_e32 v11, 0xfffff, v119
	v_add_nc_u32_e32 v119, v11, v130
                                        ; implicit-def: $vgpr11
	s_delay_alu instid0(VALU_DEP_3)
	v_cmpx_ne_u32_e64 v128, v129
	s_xor_b32 s12, exec_lo, s12
; %bb.466:                              ;   in Loop: Header=BB2_142 Depth=2
	s_delay_alu instid0(VALU_DEP_2) | instskip(SKIP_2) | instid1(VALU_DEP_2)
	v_cmp_lt_u32_e32 vcc_lo, 0xffffff, v119
	v_sub_nc_u32_e32 v11, v128, v129
	v_cndmask_b32_e64 v128, 0, 1, vcc_lo
	v_add_co_ci_u32_e32 v11, vcc_lo, 0, v11, vcc_lo
	s_delay_alu instid0(VALU_DEP_2)
	v_lshrrev_b32_e32 v119, v128, v119
; %bb.467:                              ;   in Loop: Header=BB2_142 Depth=2
	s_and_not1_saveexec_b32 s12, s12
; %bb.468:                              ;   in Loop: Header=BB2_142 Depth=2
	s_delay_alu instid0(VALU_DEP_1)
	v_bfe_u32 v11, v119, 23, 1
; %bb.469:                              ;   in Loop: Header=BB2_142 Depth=2
	s_or_b32 exec_lo, exec_lo, s12
	v_lshrrev_b32_e32 v119, 20, v119
	s_delay_alu instid0(VALU_DEP_2) | instskip(SKIP_2) | instid1(VALU_DEP_2)
	v_cmp_gt_i32_e32 vcc_lo, 16, v11
	v_min_i32_e32 v128, 15, v11
	v_lshrrev_b32_e32 v118, 24, v118
	v_dual_cndmask_b32 v119, 7, v119 :: v_dual_lshlrev_b32 v128, 3, v128
	s_delay_alu instid0(VALU_DEP_2) | instskip(NEXT) | instid1(VALU_DEP_2)
	v_and_b32_e32 v118, 0x80, v118
	v_or_b32_e32 v11, v11, v119
	v_and_b32_e32 v129, 7, v119
	s_delay_alu instid0(VALU_DEP_2) | instskip(SKIP_1) | instid1(VALU_DEP_1)
	v_cmp_ne_u32_e32 vcc_lo, 0, v11
	v_and_b32_e32 v128, 0xf8, v128
	v_or3_b32 v118, v118, v128, v129
	s_delay_alu instid0(VALU_DEP_1) | instskip(NEXT) | instid1(VALU_DEP_1)
	v_lshlrev_b32_e32 v118, 8, v118
	v_cndmask_b32_e32 v11, 0, v118, vcc_lo
.LBB2_470:                              ;   in Loop: Header=BB2_142 Depth=2
	s_or_b32 exec_lo, exec_lo, s27
.LBB2_471:                              ;   in Loop: Header=BB2_142 Depth=2
	s_delay_alu instid0(SALU_CYCLE_1) | instskip(SKIP_3) | instid1(VALU_DEP_1)
	s_or_b32 exec_lo, exec_lo, s26
	v_and_b32_e32 v119, 0xff, v113
	s_mov_b32 s12, 0
	s_mov_b32 s27, exec_lo
                                        ; implicit-def: $sgpr26
	v_cmpx_lt_i16_e32 0x7f, v119
	s_xor_b32 s27, exec_lo, s27
	s_cbranch_execnz .LBB2_725
; %bb.472:                              ;   in Loop: Header=BB2_142 Depth=2
	s_or_saveexec_b32 s27, s27
	v_mov_b32_e32 v118, s26
	s_xor_b32 exec_lo, exec_lo, s27
	s_cbranch_execnz .LBB2_728
.LBB2_473:                              ;   in Loop: Header=BB2_142 Depth=2
	s_or_b32 exec_lo, exec_lo, s27
	s_and_saveexec_b32 s26, s12
	s_cbranch_execz .LBB2_475
.LBB2_474:                              ;   in Loop: Header=BB2_142 Depth=2
	v_bfe_u32 v129, v113, 3, 4
	s_delay_alu instid0(VALU_DEP_1) | instskip(SKIP_1) | instid1(VALU_DEP_1)
	v_cmp_eq_u32_e32 vcc_lo, 0, v129
	v_and_b32_e32 v118, 7, v113
	v_clz_i32_u32_e32 v119, v118
	s_delay_alu instid0(VALU_DEP_1) | instskip(NEXT) | instid1(VALU_DEP_1)
	v_min_u32_e32 v119, 32, v119
	v_subrev_nc_u32_e32 v128, 28, v119
	v_sub_nc_u32_e32 v119, 29, v119
	s_delay_alu instid0(VALU_DEP_1) | instskip(NEXT) | instid1(VALU_DEP_1)
	v_dual_cndmask_b32 v119, v129, v119 :: v_dual_lshlrev_b32 v128, v128, v113
	v_and_b32_e32 v128, 7, v128
	v_lshlrev_b32_e32 v113, 24, v113
	s_delay_alu instid0(VALU_DEP_3) | instskip(NEXT) | instid1(VALU_DEP_2)
	v_lshl_add_u32 v119, v119, 23, 0x3b800000
	v_dual_cndmask_b32 v118, v118, v128 :: v_dual_and_b32 v113, 0x80000000, v113
	s_delay_alu instid0(VALU_DEP_1) | instskip(NEXT) | instid1(VALU_DEP_1)
	v_lshlrev_b32_e32 v118, 20, v118
	v_or3_b32 v118, v113, v119, v118
.LBB2_475:                              ;   in Loop: Header=BB2_142 Depth=2
	s_or_b32 exec_lo, exec_lo, s26
	v_and_b32_e32 v119, 0xff, v12
	s_mov_b32 s12, 0
	s_mov_b32 s27, exec_lo
                                        ; implicit-def: $sgpr26
	s_delay_alu instid0(VALU_DEP_1)
	v_cmpx_lt_i16_e32 0x7f, v119
	s_xor_b32 s27, exec_lo, s27
	s_cbranch_execnz .LBB2_729
; %bb.476:                              ;   in Loop: Header=BB2_142 Depth=2
	s_or_saveexec_b32 s27, s27
	v_mov_b32_e32 v113, s26
	s_xor_b32 exec_lo, exec_lo, s27
	s_cbranch_execnz .LBB2_732
.LBB2_477:                              ;   in Loop: Header=BB2_142 Depth=2
	s_or_b32 exec_lo, exec_lo, s27
	s_and_saveexec_b32 s26, s12
	s_cbranch_execz .LBB2_479
.LBB2_478:                              ;   in Loop: Header=BB2_142 Depth=2
	v_and_b32_e32 v113, 7, v12
	v_bfe_u32 v129, v12, 3, 4
	v_lshlrev_b32_e32 v130, 24, v12
	s_delay_alu instid0(VALU_DEP_3) | instskip(NEXT) | instid1(VALU_DEP_3)
	v_clz_i32_u32_e32 v119, v113
	v_cmp_eq_u32_e32 vcc_lo, 0, v129
	s_delay_alu instid0(VALU_DEP_2) | instskip(NEXT) | instid1(VALU_DEP_1)
	v_min_u32_e32 v119, 32, v119
	v_subrev_nc_u32_e32 v128, 28, v119
	v_sub_nc_u32_e32 v119, 29, v119
	s_delay_alu instid0(VALU_DEP_1) | instskip(NEXT) | instid1(VALU_DEP_1)
	v_dual_cndmask_b32 v119, v129, v119 :: v_dual_lshlrev_b32 v128, v128, v12
	v_and_b32_e32 v128, 7, v128
	s_delay_alu instid0(VALU_DEP_2) | instskip(NEXT) | instid1(VALU_DEP_2)
	v_lshl_add_u32 v119, v119, 23, 0x3b800000
	v_dual_cndmask_b32 v113, v113, v128 :: v_dual_and_b32 v128, 0x80000000, v130
	s_delay_alu instid0(VALU_DEP_1) | instskip(NEXT) | instid1(VALU_DEP_1)
	v_lshlrev_b32_e32 v113, 20, v113
	v_or3_b32 v113, v128, v119, v113
.LBB2_479:                              ;   in Loop: Header=BB2_142 Depth=2
	s_or_b32 exec_lo, exec_lo, s26
	s_delay_alu instid0(VALU_DEP_1) | instskip(NEXT) | instid1(VALU_DEP_1)
	v_add_f32_e32 v118, v118, v113
	v_and_b32_e32 v113, 0x7f800000, v118
	s_delay_alu instid0(VALU_DEP_1)
	v_cmp_ne_u32_e32 vcc_lo, 0x7f800000, v113
	v_mov_b32_e32 v113, 0x80
	s_and_saveexec_b32 s26, vcc_lo
	s_cbranch_execz .LBB2_487
; %bb.480:                              ;   in Loop: Header=BB2_142 Depth=2
	v_mov_b32_e32 v113, 0
	s_mov_b32 s27, exec_lo
	v_cmpx_ne_u32_e32 0, v118
	s_cbranch_execz .LBB2_486
; %bb.481:                              ;   in Loop: Header=BB2_142 Depth=2
	v_bfe_u32 v113, v118, 23, 8
	s_delay_alu instid0(VALU_DEP_1) | instskip(SKIP_1) | instid1(VALU_DEP_2)
	v_sub_nc_u32_e32 v128, 0x78, v113
	v_cmp_gt_u32_e32 vcc_lo, 0x79, v113
	v_dual_cndmask_b32 v128, 0, v128 :: v_dual_and_b32 v119, 0x7fffff, v118
	s_delay_alu instid0(VALU_DEP_1) | instskip(SKIP_2) | instid1(VALU_DEP_4)
	v_or_b32_e32 v129, 0x800000, v119
	v_cmp_eq_u32_e32 vcc_lo, 0, v113
	v_add_nc_u32_e32 v113, 0xffffff89, v113
	v_cndmask_b32_e64 v128, v128, 0x77, vcc_lo
	s_delay_alu instid0(VALU_DEP_2) | instskip(SKIP_1) | instid1(VALU_DEP_3)
	v_cndmask_b32_e64 v113, v113, 0xffffff8a, vcc_lo
	v_cndmask_b32_e32 v119, v129, v119, vcc_lo
	v_lshl_add_u32 v129, 0x100000, v128, -1
	v_lshlrev_b32_e64 v132, v128, 0x80000
	s_delay_alu instid0(VALU_DEP_3) | instskip(SKIP_1) | instid1(VALU_DEP_4)
	v_lshrrev_b32_e32 v130, v128, v119
	v_add_nc_u32_e32 v128, v128, v113
	v_and_b32_e32 v119, v129, v119
	s_delay_alu instid0(VALU_DEP_3) | instskip(NEXT) | instid1(VALU_DEP_2)
	v_bfe_u32 v131, v130, 20, 1
	v_cmp_eq_u32_e64 s12, v119, v132
	s_delay_alu instid0(VALU_DEP_2) | instskip(NEXT) | instid1(VALU_DEP_1)
	v_add_nc_u32_e32 v129, -1, v131
	v_cndmask_b32_e64 v119, 0, v129, s12
	v_lshrrev_b32_e32 v129, 23, v130
	s_mov_b32 s12, exec_lo
	s_delay_alu instid0(VALU_DEP_2) | instskip(NEXT) | instid1(VALU_DEP_2)
	v_add_nc_u32_e32 v119, v119, v130
	v_xor_b32_e32 v129, 1, v129
	s_delay_alu instid0(VALU_DEP_2) | instskip(NEXT) | instid1(VALU_DEP_1)
	v_and_b32_e32 v113, 0xfffff, v119
	v_add_nc_u32_e32 v119, v113, v130
                                        ; implicit-def: $vgpr113
	s_delay_alu instid0(VALU_DEP_3)
	v_cmpx_ne_u32_e64 v128, v129
	s_xor_b32 s12, exec_lo, s12
; %bb.482:                              ;   in Loop: Header=BB2_142 Depth=2
	s_delay_alu instid0(VALU_DEP_2) | instskip(SKIP_2) | instid1(VALU_DEP_2)
	v_cmp_lt_u32_e32 vcc_lo, 0xffffff, v119
	v_sub_nc_u32_e32 v113, v128, v129
	v_cndmask_b32_e64 v128, 0, 1, vcc_lo
	v_add_co_ci_u32_e32 v113, vcc_lo, 0, v113, vcc_lo
	s_delay_alu instid0(VALU_DEP_2)
	v_lshrrev_b32_e32 v119, v128, v119
; %bb.483:                              ;   in Loop: Header=BB2_142 Depth=2
	s_and_not1_saveexec_b32 s12, s12
; %bb.484:                              ;   in Loop: Header=BB2_142 Depth=2
	s_delay_alu instid0(VALU_DEP_1)
	v_bfe_u32 v113, v119, 23, 1
; %bb.485:                              ;   in Loop: Header=BB2_142 Depth=2
	s_or_b32 exec_lo, exec_lo, s12
	v_lshrrev_b32_e32 v119, 20, v119
	s_delay_alu instid0(VALU_DEP_2) | instskip(SKIP_2) | instid1(VALU_DEP_2)
	v_cmp_gt_i32_e32 vcc_lo, 16, v113
	v_lshrrev_b32_e32 v118, 24, v118
	v_min_i32_e32 v128, 15, v113
	v_dual_cndmask_b32 v119, 7, v119 :: v_dual_and_b32 v118, 0x80, v118
	s_delay_alu instid0(VALU_DEP_1) | instskip(SKIP_1) | instid1(VALU_DEP_2)
	v_or_b32_e32 v113, v113, v119
	v_and_b32_e32 v129, 7, v119
	v_cmp_ne_u32_e32 vcc_lo, 0, v113
	v_lshlrev_b32_e32 v128, 3, v128
	s_delay_alu instid0(VALU_DEP_1) | instskip(NEXT) | instid1(VALU_DEP_1)
	v_or3_b32 v118, v128, v118, v129
	v_cndmask_b32_e32 v113, 0, v118, vcc_lo
.LBB2_486:                              ;   in Loop: Header=BB2_142 Depth=2
	s_or_b32 exec_lo, exec_lo, s27
.LBB2_487:                              ;   in Loop: Header=BB2_142 Depth=2
	s_delay_alu instid0(SALU_CYCLE_1) | instskip(SKIP_3) | instid1(VALU_DEP_1)
	s_or_b32 exec_lo, exec_lo, s26
	v_and_b32_e32 v119, 0xff, v103
	s_mov_b32 s12, 0
	s_mov_b32 s27, exec_lo
                                        ; implicit-def: $sgpr26
	v_cmpx_lt_i16_e32 0x7f, v119
	s_xor_b32 s27, exec_lo, s27
	s_cbranch_execnz .LBB2_733
; %bb.488:                              ;   in Loop: Header=BB2_142 Depth=2
	s_or_saveexec_b32 s27, s27
	v_mov_b32_e32 v118, s26
	s_xor_b32 exec_lo, exec_lo, s27
	s_cbranch_execnz .LBB2_736
.LBB2_489:                              ;   in Loop: Header=BB2_142 Depth=2
	s_or_b32 exec_lo, exec_lo, s27
	s_and_saveexec_b32 s26, s12
	s_cbranch_execz .LBB2_491
.LBB2_490:                              ;   in Loop: Header=BB2_142 Depth=2
	v_and_b32_e32 v118, 7, v103
	v_bfe_u32 v129, v103, 3, 4
	s_delay_alu instid0(VALU_DEP_2) | instskip(NEXT) | instid1(VALU_DEP_2)
	v_clz_i32_u32_e32 v119, v118
	v_cmp_eq_u32_e32 vcc_lo, 0, v129
	s_delay_alu instid0(VALU_DEP_2) | instskip(NEXT) | instid1(VALU_DEP_1)
	v_min_u32_e32 v119, 32, v119
	v_subrev_nc_u32_e32 v128, 28, v119
	v_sub_nc_u32_e32 v119, 29, v119
	s_delay_alu instid0(VALU_DEP_2) | instskip(NEXT) | instid1(VALU_DEP_1)
	v_lshlrev_b32_e32 v128, v128, v103
	v_dual_cndmask_b32 v119, v129, v119 :: v_dual_and_b32 v128, 7, v128
	v_lshlrev_b32_e32 v103, 24, v103
	s_delay_alu instid0(VALU_DEP_2) | instskip(NEXT) | instid1(VALU_DEP_2)
	v_lshl_add_u32 v119, v119, 23, 0x3b800000
	v_dual_cndmask_b32 v118, v118, v128 :: v_dual_and_b32 v103, 0x80000000, v103
	s_delay_alu instid0(VALU_DEP_1) | instskip(NEXT) | instid1(VALU_DEP_1)
	v_lshlrev_b32_e32 v118, 20, v118
	v_or3_b32 v118, v103, v119, v118
.LBB2_491:                              ;   in Loop: Header=BB2_142 Depth=2
	s_or_b32 exec_lo, exec_lo, s26
	v_lshrrev_b16 v103, 8, v12
	s_mov_b32 s12, 0
	s_mov_b32 s27, exec_lo
                                        ; implicit-def: $sgpr26
	s_delay_alu instid0(VALU_DEP_1)
	v_cmpx_lt_i16_e32 0x7f, v103
	s_xor_b32 s27, exec_lo, s27
	s_cbranch_execnz .LBB2_737
; %bb.492:                              ;   in Loop: Header=BB2_142 Depth=2
	s_or_saveexec_b32 s27, s27
	v_mov_b32_e32 v119, s26
	s_xor_b32 exec_lo, exec_lo, s27
	s_cbranch_execnz .LBB2_740
.LBB2_493:                              ;   in Loop: Header=BB2_142 Depth=2
	s_or_b32 exec_lo, exec_lo, s27
	s_and_saveexec_b32 s26, s12
	s_cbranch_execz .LBB2_495
.LBB2_494:                              ;   in Loop: Header=BB2_142 Depth=2
	v_and_b32_e32 v119, 0xffff, v103
	v_lshlrev_b32_e32 v103, 24, v103
	s_delay_alu instid0(VALU_DEP_2) | instskip(NEXT) | instid1(VALU_DEP_2)
	v_and_b32_e32 v128, 7, v119
	v_and_b32_e32 v103, 0x80000000, v103
	s_delay_alu instid0(VALU_DEP_2) | instskip(NEXT) | instid1(VALU_DEP_1)
	v_clz_i32_u32_e32 v129, v128
	v_min_u32_e32 v129, 32, v129
	s_delay_alu instid0(VALU_DEP_1) | instskip(SKIP_1) | instid1(VALU_DEP_2)
	v_subrev_nc_u32_e32 v130, 28, v129
	v_sub_nc_u32_e32 v129, 29, v129
	v_lshlrev_b32_e32 v130, v130, v119
	v_bfe_u32 v119, v119, 3, 4
	s_delay_alu instid0(VALU_DEP_2) | instskip(NEXT) | instid1(VALU_DEP_2)
	v_and_b32_e32 v130, 7, v130
	v_cmp_eq_u32_e32 vcc_lo, 0, v119
	s_delay_alu instid0(VALU_DEP_2) | instskip(NEXT) | instid1(VALU_DEP_1)
	v_dual_cndmask_b32 v119, v119, v129 :: v_dual_cndmask_b32 v128, v128, v130
	v_lshl_add_u32 v119, v119, 23, 0x3b800000
	s_delay_alu instid0(VALU_DEP_2) | instskip(NEXT) | instid1(VALU_DEP_1)
	v_lshlrev_b32_e32 v128, 20, v128
	v_or3_b32 v119, v103, v119, v128
.LBB2_495:                              ;   in Loop: Header=BB2_142 Depth=2
	s_or_b32 exec_lo, exec_lo, s26
	s_delay_alu instid0(VALU_DEP_1) | instskip(NEXT) | instid1(VALU_DEP_1)
	v_add_f32_e32 v118, v118, v119
	v_and_b32_e32 v103, 0x7f800000, v118
	s_delay_alu instid0(VALU_DEP_1)
	v_cmp_ne_u32_e32 vcc_lo, 0x7f800000, v103
	v_mov_b32_e32 v103, 0x80
	s_and_saveexec_b32 s26, vcc_lo
	s_cbranch_execz .LBB2_503
; %bb.496:                              ;   in Loop: Header=BB2_142 Depth=2
	v_mov_b32_e32 v103, 0
	s_mov_b32 s27, exec_lo
	v_cmpx_ne_u32_e32 0, v118
	s_cbranch_execz .LBB2_502
; %bb.497:                              ;   in Loop: Header=BB2_142 Depth=2
	v_bfe_u32 v103, v118, 23, 8
	s_delay_alu instid0(VALU_DEP_1) | instskip(SKIP_1) | instid1(VALU_DEP_2)
	v_sub_nc_u32_e32 v128, 0x78, v103
	v_cmp_gt_u32_e32 vcc_lo, 0x79, v103
	v_dual_cndmask_b32 v128, 0, v128 :: v_dual_and_b32 v119, 0x7fffff, v118
	s_delay_alu instid0(VALU_DEP_1) | instskip(SKIP_2) | instid1(VALU_DEP_4)
	v_or_b32_e32 v129, 0x800000, v119
	v_cmp_eq_u32_e32 vcc_lo, 0, v103
	v_add_nc_u32_e32 v103, 0xffffff89, v103
	v_cndmask_b32_e64 v128, v128, 0x77, vcc_lo
	s_delay_alu instid0(VALU_DEP_4) | instskip(NEXT) | instid1(VALU_DEP_3)
	v_cndmask_b32_e32 v119, v129, v119, vcc_lo
	v_cndmask_b32_e64 v103, v103, 0xffffff8a, vcc_lo
	s_delay_alu instid0(VALU_DEP_3) | instskip(NEXT) | instid1(VALU_DEP_3)
	v_lshl_add_u32 v129, 0x100000, v128, -1
	v_lshrrev_b32_e32 v130, v128, v119
	v_lshlrev_b32_e64 v132, v128, 0x80000
	s_delay_alu instid0(VALU_DEP_4) | instskip(NEXT) | instid1(VALU_DEP_4)
	v_add_nc_u32_e32 v128, v128, v103
	v_and_b32_e32 v119, v129, v119
	s_delay_alu instid0(VALU_DEP_4) | instskip(NEXT) | instid1(VALU_DEP_2)
	v_bfe_u32 v131, v130, 20, 1
	v_cmp_eq_u32_e64 s12, v119, v132
	s_delay_alu instid0(VALU_DEP_2) | instskip(NEXT) | instid1(VALU_DEP_1)
	v_add_nc_u32_e32 v129, -1, v131
	v_cndmask_b32_e64 v119, 0, v129, s12
	v_lshrrev_b32_e32 v129, 23, v130
	s_mov_b32 s12, exec_lo
	s_delay_alu instid0(VALU_DEP_2) | instskip(NEXT) | instid1(VALU_DEP_2)
	v_add_nc_u32_e32 v119, v119, v130
	v_xor_b32_e32 v129, 1, v129
	s_delay_alu instid0(VALU_DEP_2) | instskip(NEXT) | instid1(VALU_DEP_1)
	v_and_b32_e32 v103, 0xfffff, v119
	v_add_nc_u32_e32 v119, v103, v130
                                        ; implicit-def: $vgpr103
	s_delay_alu instid0(VALU_DEP_3)
	v_cmpx_ne_u32_e64 v128, v129
	s_xor_b32 s12, exec_lo, s12
; %bb.498:                              ;   in Loop: Header=BB2_142 Depth=2
	s_delay_alu instid0(VALU_DEP_2) | instskip(SKIP_2) | instid1(VALU_DEP_2)
	v_cmp_lt_u32_e32 vcc_lo, 0xffffff, v119
	v_sub_nc_u32_e32 v103, v128, v129
	v_cndmask_b32_e64 v128, 0, 1, vcc_lo
	v_add_co_ci_u32_e32 v103, vcc_lo, 0, v103, vcc_lo
	s_delay_alu instid0(VALU_DEP_2)
	v_lshrrev_b32_e32 v119, v128, v119
; %bb.499:                              ;   in Loop: Header=BB2_142 Depth=2
	s_and_not1_saveexec_b32 s12, s12
; %bb.500:                              ;   in Loop: Header=BB2_142 Depth=2
	s_delay_alu instid0(VALU_DEP_1)
	v_bfe_u32 v103, v119, 23, 1
; %bb.501:                              ;   in Loop: Header=BB2_142 Depth=2
	s_or_b32 exec_lo, exec_lo, s12
	v_lshrrev_b32_e32 v119, 20, v119
	s_delay_alu instid0(VALU_DEP_2) | instskip(SKIP_2) | instid1(VALU_DEP_2)
	v_cmp_gt_i32_e32 vcc_lo, 16, v103
	v_lshrrev_b32_e32 v118, 24, v118
	v_min_i32_e32 v128, 15, v103
	v_dual_cndmask_b32 v119, 7, v119 :: v_dual_and_b32 v118, 0x80, v118
	s_delay_alu instid0(VALU_DEP_1) | instskip(SKIP_1) | instid1(VALU_DEP_2)
	v_or_b32_e32 v103, v103, v119
	v_and_b32_e32 v129, 7, v119
	v_cmp_ne_u32_e32 vcc_lo, 0, v103
	v_lshlrev_b32_e32 v128, 3, v128
	s_delay_alu instid0(VALU_DEP_1) | instskip(NEXT) | instid1(VALU_DEP_1)
	v_or3_b32 v118, v128, v118, v129
	v_cndmask_b32_e32 v103, 0, v118, vcc_lo
.LBB2_502:                              ;   in Loop: Header=BB2_142 Depth=2
	s_or_b32 exec_lo, exec_lo, s27
.LBB2_503:                              ;   in Loop: Header=BB2_142 Depth=2
	s_delay_alu instid0(SALU_CYCLE_1) | instskip(SKIP_3) | instid1(VALU_DEP_1)
	s_or_b32 exec_lo, exec_lo, s26
	v_and_b32_e32 v119, 0xff, v102
	s_mov_b32 s12, 0
	s_mov_b32 s27, exec_lo
                                        ; implicit-def: $sgpr26
	v_cmpx_lt_i16_e32 0x7f, v119
	s_xor_b32 s27, exec_lo, s27
	s_cbranch_execnz .LBB2_741
; %bb.504:                              ;   in Loop: Header=BB2_142 Depth=2
	s_or_saveexec_b32 s27, s27
	v_mov_b32_e32 v118, s26
	s_xor_b32 exec_lo, exec_lo, s27
	s_cbranch_execnz .LBB2_744
.LBB2_505:                              ;   in Loop: Header=BB2_142 Depth=2
	s_or_b32 exec_lo, exec_lo, s27
	s_and_saveexec_b32 s26, s12
	s_cbranch_execz .LBB2_507
.LBB2_506:                              ;   in Loop: Header=BB2_142 Depth=2
	v_bfe_u32 v129, v102, 3, 4
	s_delay_alu instid0(VALU_DEP_1) | instskip(SKIP_1) | instid1(VALU_DEP_1)
	v_cmp_eq_u32_e32 vcc_lo, 0, v129
	v_and_b32_e32 v118, 7, v102
	v_clz_i32_u32_e32 v119, v118
	s_delay_alu instid0(VALU_DEP_1) | instskip(NEXT) | instid1(VALU_DEP_1)
	v_min_u32_e32 v119, 32, v119
	v_subrev_nc_u32_e32 v128, 28, v119
	v_sub_nc_u32_e32 v119, 29, v119
	s_delay_alu instid0(VALU_DEP_1) | instskip(SKIP_1) | instid1(VALU_DEP_2)
	v_dual_cndmask_b32 v119, v129, v119 :: v_dual_lshlrev_b32 v128, v128, v102
	v_lshlrev_b32_e32 v102, 24, v102
	v_and_b32_e32 v128, 7, v128
	s_delay_alu instid0(VALU_DEP_3) | instskip(NEXT) | instid1(VALU_DEP_3)
	v_lshl_add_u32 v119, v119, 23, 0x3b800000
	v_and_b32_e32 v102, 0x80000000, v102
	s_delay_alu instid0(VALU_DEP_3) | instskip(NEXT) | instid1(VALU_DEP_1)
	v_cndmask_b32_e32 v118, v118, v128, vcc_lo
	v_lshlrev_b32_e32 v118, 20, v118
	s_delay_alu instid0(VALU_DEP_1)
	v_or3_b32 v118, v102, v119, v118
.LBB2_507:                              ;   in Loop: Header=BB2_142 Depth=2
	s_or_b32 exec_lo, exec_lo, s26
	v_lshrrev_b32_e32 v102, 16, v12
	s_mov_b32 s12, 0
	s_mov_b32 s27, exec_lo
                                        ; implicit-def: $sgpr26
	s_delay_alu instid0(VALU_DEP_1) | instskip(NEXT) | instid1(VALU_DEP_1)
	v_and_b32_e32 v128, 0xff, v102
	v_cmpx_lt_i16_e64 0x7f, v128
	s_xor_b32 s27, exec_lo, s27
	s_cbranch_execnz .LBB2_745
; %bb.508:                              ;   in Loop: Header=BB2_142 Depth=2
	s_or_saveexec_b32 s27, s27
	v_mov_b32_e32 v119, s26
	s_xor_b32 exec_lo, exec_lo, s27
	s_cbranch_execnz .LBB2_748
.LBB2_509:                              ;   in Loop: Header=BB2_142 Depth=2
	s_or_b32 exec_lo, exec_lo, s27
	s_and_saveexec_b32 s26, s12
	s_cbranch_execz .LBB2_511
.LBB2_510:                              ;   in Loop: Header=BB2_142 Depth=2
	v_bfe_u32 v119, v12, 16, 3
	v_lshlrev_b32_e32 v130, 8, v12
	s_delay_alu instid0(VALU_DEP_2) | instskip(NEXT) | instid1(VALU_DEP_1)
	v_clz_i32_u32_e32 v128, v119
	v_min_u32_e32 v128, 32, v128
	s_delay_alu instid0(VALU_DEP_1) | instskip(SKIP_1) | instid1(VALU_DEP_2)
	v_subrev_nc_u32_e32 v129, 28, v128
	v_sub_nc_u32_e32 v128, 29, v128
	v_lshlrev_b32_e32 v102, v129, v102
	v_bfe_u32 v129, v12, 19, 4
	s_delay_alu instid0(VALU_DEP_2) | instskip(NEXT) | instid1(VALU_DEP_2)
	v_and_b32_e32 v102, 7, v102
	v_cmp_eq_u32_e32 vcc_lo, 0, v129
	v_cndmask_b32_e32 v128, v129, v128, vcc_lo
	s_delay_alu instid0(VALU_DEP_3) | instskip(SKIP_1) | instid1(VALU_DEP_3)
	v_cndmask_b32_e32 v102, v119, v102, vcc_lo
	v_and_b32_e32 v119, 0x80000000, v130
	v_lshl_add_u32 v128, v128, 23, 0x3b800000
	s_delay_alu instid0(VALU_DEP_3) | instskip(NEXT) | instid1(VALU_DEP_1)
	v_lshlrev_b32_e32 v102, 20, v102
	v_or3_b32 v119, v119, v128, v102
.LBB2_511:                              ;   in Loop: Header=BB2_142 Depth=2
	s_or_b32 exec_lo, exec_lo, s26
	s_delay_alu instid0(VALU_DEP_1) | instskip(NEXT) | instid1(VALU_DEP_1)
	v_add_f32_e32 v118, v118, v119
	v_and_b32_e32 v102, 0x7f800000, v118
	s_delay_alu instid0(VALU_DEP_1)
	v_cmp_ne_u32_e32 vcc_lo, 0x7f800000, v102
	v_mov_b32_e32 v102, 0x80
	s_and_saveexec_b32 s26, vcc_lo
	s_cbranch_execz .LBB2_519
; %bb.512:                              ;   in Loop: Header=BB2_142 Depth=2
	v_mov_b32_e32 v102, 0
	s_mov_b32 s27, exec_lo
	v_cmpx_ne_u32_e32 0, v118
	s_cbranch_execz .LBB2_518
; %bb.513:                              ;   in Loop: Header=BB2_142 Depth=2
	v_bfe_u32 v102, v118, 23, 8
	s_delay_alu instid0(VALU_DEP_1) | instskip(SKIP_1) | instid1(VALU_DEP_2)
	v_sub_nc_u32_e32 v128, 0x78, v102
	v_cmp_gt_u32_e32 vcc_lo, 0x79, v102
	v_dual_cndmask_b32 v128, 0, v128 :: v_dual_and_b32 v119, 0x7fffff, v118
	s_delay_alu instid0(VALU_DEP_1) | instskip(SKIP_2) | instid1(VALU_DEP_4)
	v_or_b32_e32 v129, 0x800000, v119
	v_cmp_eq_u32_e32 vcc_lo, 0, v102
	v_add_nc_u32_e32 v102, 0xffffff89, v102
	v_cndmask_b32_e64 v128, v128, 0x77, vcc_lo
	s_delay_alu instid0(VALU_DEP_4) | instskip(NEXT) | instid1(VALU_DEP_3)
	v_cndmask_b32_e32 v119, v129, v119, vcc_lo
	v_cndmask_b32_e64 v102, v102, 0xffffff8a, vcc_lo
	s_delay_alu instid0(VALU_DEP_3) | instskip(NEXT) | instid1(VALU_DEP_3)
	v_lshl_add_u32 v129, 0x100000, v128, -1
	v_lshrrev_b32_e32 v130, v128, v119
	v_lshlrev_b32_e64 v132, v128, 0x80000
	s_delay_alu instid0(VALU_DEP_4) | instskip(NEXT) | instid1(VALU_DEP_4)
	v_add_nc_u32_e32 v128, v128, v102
	v_and_b32_e32 v119, v129, v119
	s_delay_alu instid0(VALU_DEP_4) | instskip(NEXT) | instid1(VALU_DEP_2)
	v_bfe_u32 v131, v130, 20, 1
	v_cmp_eq_u32_e64 s12, v119, v132
	s_delay_alu instid0(VALU_DEP_2) | instskip(NEXT) | instid1(VALU_DEP_1)
	v_add_nc_u32_e32 v129, -1, v131
	v_cndmask_b32_e64 v119, 0, v129, s12
	v_lshrrev_b32_e32 v129, 23, v130
	s_mov_b32 s12, exec_lo
	s_delay_alu instid0(VALU_DEP_2) | instskip(NEXT) | instid1(VALU_DEP_2)
	v_add_nc_u32_e32 v119, v119, v130
	v_xor_b32_e32 v129, 1, v129
	s_delay_alu instid0(VALU_DEP_2) | instskip(NEXT) | instid1(VALU_DEP_1)
	v_and_b32_e32 v102, 0xfffff, v119
	v_add_nc_u32_e32 v119, v102, v130
                                        ; implicit-def: $vgpr102
	s_delay_alu instid0(VALU_DEP_3)
	v_cmpx_ne_u32_e64 v128, v129
	s_xor_b32 s12, exec_lo, s12
; %bb.514:                              ;   in Loop: Header=BB2_142 Depth=2
	s_delay_alu instid0(VALU_DEP_2) | instskip(SKIP_2) | instid1(VALU_DEP_2)
	v_cmp_lt_u32_e32 vcc_lo, 0xffffff, v119
	v_sub_nc_u32_e32 v102, v128, v129
	v_cndmask_b32_e64 v128, 0, 1, vcc_lo
	v_add_co_ci_u32_e32 v102, vcc_lo, 0, v102, vcc_lo
	s_delay_alu instid0(VALU_DEP_2)
	v_lshrrev_b32_e32 v119, v128, v119
; %bb.515:                              ;   in Loop: Header=BB2_142 Depth=2
	s_and_not1_saveexec_b32 s12, s12
; %bb.516:                              ;   in Loop: Header=BB2_142 Depth=2
	s_delay_alu instid0(VALU_DEP_1)
	v_bfe_u32 v102, v119, 23, 1
; %bb.517:                              ;   in Loop: Header=BB2_142 Depth=2
	s_or_b32 exec_lo, exec_lo, s12
	v_lshrrev_b32_e32 v119, 20, v119
	s_delay_alu instid0(VALU_DEP_2) | instskip(SKIP_2) | instid1(VALU_DEP_2)
	v_cmp_gt_i32_e32 vcc_lo, 16, v102
	v_lshrrev_b32_e32 v118, 24, v118
	v_min_i32_e32 v128, 15, v102
	v_dual_cndmask_b32 v119, 7, v119 :: v_dual_and_b32 v118, 0x80, v118
	s_delay_alu instid0(VALU_DEP_2) | instskip(NEXT) | instid1(VALU_DEP_2)
	v_lshlrev_b32_e32 v128, 3, v128
	v_or_b32_e32 v102, v102, v119
	s_delay_alu instid0(VALU_DEP_1) | instskip(SKIP_1) | instid1(VALU_DEP_1)
	v_cmp_ne_u32_e32 vcc_lo, 0, v102
	v_and_b32_e32 v129, 7, v119
	v_or3_b32 v118, v128, v118, v129
	s_delay_alu instid0(VALU_DEP_1)
	v_cndmask_b32_e32 v102, 0, v118, vcc_lo
.LBB2_518:                              ;   in Loop: Header=BB2_142 Depth=2
	s_or_b32 exec_lo, exec_lo, s27
.LBB2_519:                              ;   in Loop: Header=BB2_142 Depth=2
	s_delay_alu instid0(SALU_CYCLE_1) | instskip(SKIP_3) | instid1(VALU_DEP_1)
	s_or_b32 exec_lo, exec_lo, s26
	v_and_b32_e32 v119, 0xff, v99
	s_mov_b32 s12, 0
	s_mov_b32 s27, exec_lo
                                        ; implicit-def: $sgpr26
	v_cmpx_lt_i16_e32 0x7f, v119
	s_xor_b32 s27, exec_lo, s27
	s_cbranch_execnz .LBB2_749
; %bb.520:                              ;   in Loop: Header=BB2_142 Depth=2
	s_or_saveexec_b32 s27, s27
	v_mov_b32_e32 v118, s26
	s_xor_b32 exec_lo, exec_lo, s27
	s_cbranch_execnz .LBB2_752
.LBB2_521:                              ;   in Loop: Header=BB2_142 Depth=2
	s_or_b32 exec_lo, exec_lo, s27
	s_and_saveexec_b32 s26, s12
	s_cbranch_execz .LBB2_523
.LBB2_522:                              ;   in Loop: Header=BB2_142 Depth=2
	v_lshlrev_b32_e32 v99, 8, v99
	s_delay_alu instid0(VALU_DEP_1) | instskip(SKIP_1) | instid1(VALU_DEP_2)
	v_and_b32_e32 v118, 0xff00, v99
	v_bfe_u32 v99, v99, 11, 4
	v_bfe_u32 v128, v118, 8, 3
	s_delay_alu instid0(VALU_DEP_2) | instskip(NEXT) | instid1(VALU_DEP_2)
	v_cmp_eq_u32_e32 vcc_lo, 0, v99
	v_clz_i32_u32_e32 v129, v128
	s_delay_alu instid0(VALU_DEP_1) | instskip(NEXT) | instid1(VALU_DEP_1)
	v_min_u32_e32 v129, 32, v129
	v_subrev_nc_u32_e32 v130, 28, v129
	v_sub_nc_u32_e32 v129, 29, v129
	s_delay_alu instid0(VALU_DEP_2) | instskip(NEXT) | instid1(VALU_DEP_2)
	v_lshlrev_b32_e32 v119, v130, v119
	v_cndmask_b32_e32 v99, v99, v129, vcc_lo
	s_delay_alu instid0(VALU_DEP_2) | instskip(SKIP_1) | instid1(VALU_DEP_3)
	v_and_b32_e32 v119, 7, v119
	v_lshlrev_b32_e32 v118, 16, v118
	v_lshl_add_u32 v99, v99, 23, 0x3b800000
	s_delay_alu instid0(VALU_DEP_2) | instskip(NEXT) | instid1(VALU_DEP_1)
	v_dual_cndmask_b32 v119, v128, v119 :: v_dual_and_b32 v118, 0x80000000, v118
	v_lshlrev_b32_e32 v119, 20, v119
	s_delay_alu instid0(VALU_DEP_1)
	v_or3_b32 v118, v118, v99, v119
.LBB2_523:                              ;   in Loop: Header=BB2_142 Depth=2
	s_or_b32 exec_lo, exec_lo, s26
	v_lshrrev_b32_e32 v99, 24, v12
	s_mov_b32 s12, 0
	s_mov_b32 s27, exec_lo
                                        ; implicit-def: $sgpr26
	s_delay_alu instid0(VALU_DEP_1)
	v_cmpx_lt_i16_e32 0x7f, v99
	s_xor_b32 s27, exec_lo, s27
	s_cbranch_execnz .LBB2_753
; %bb.524:                              ;   in Loop: Header=BB2_142 Depth=2
	s_or_saveexec_b32 s27, s27
	v_mov_b32_e32 v119, s26
	s_xor_b32 exec_lo, exec_lo, s27
	s_cbranch_execnz .LBB2_756
.LBB2_525:                              ;   in Loop: Header=BB2_142 Depth=2
	s_or_b32 exec_lo, exec_lo, s27
	s_and_saveexec_b32 s26, s12
	s_cbranch_execz .LBB2_527
.LBB2_526:                              ;   in Loop: Header=BB2_142 Depth=2
	v_bfe_u32 v119, v12, 24, 3
	s_delay_alu instid0(VALU_DEP_1) | instskip(NEXT) | instid1(VALU_DEP_1)
	v_clz_i32_u32_e32 v128, v119
	v_min_u32_e32 v128, 32, v128
	s_delay_alu instid0(VALU_DEP_1) | instskip(SKIP_1) | instid1(VALU_DEP_2)
	v_subrev_nc_u32_e32 v129, 28, v128
	v_sub_nc_u32_e32 v128, 29, v128
	v_lshlrev_b32_e32 v99, v129, v99
	v_bfe_u32 v129, v12, 27, 4
	v_and_b32_e32 v12, 0x80000000, v12
	s_delay_alu instid0(VALU_DEP_2) | instskip(NEXT) | instid1(VALU_DEP_4)
	v_cmp_eq_u32_e32 vcc_lo, 0, v129
	v_dual_cndmask_b32 v128, v129, v128 :: v_dual_and_b32 v99, 7, v99
	s_delay_alu instid0(VALU_DEP_1) | instskip(NEXT) | instid1(VALU_DEP_2)
	v_cndmask_b32_e32 v99, v119, v99, vcc_lo
	v_lshl_add_u32 v119, v128, 23, 0x3b800000
	s_delay_alu instid0(VALU_DEP_2) | instskip(NEXT) | instid1(VALU_DEP_1)
	v_lshlrev_b32_e32 v99, 20, v99
	v_or3_b32 v119, v12, v119, v99
.LBB2_527:                              ;   in Loop: Header=BB2_142 Depth=2
	s_or_b32 exec_lo, exec_lo, s26
	s_delay_alu instid0(VALU_DEP_1) | instskip(NEXT) | instid1(VALU_DEP_1)
	v_add_f32_e32 v99, v118, v119
	v_and_b32_e32 v12, 0x7f800000, v99
	s_delay_alu instid0(VALU_DEP_1)
	v_cmp_ne_u32_e32 vcc_lo, 0x7f800000, v12
	v_mov_b32_e32 v12, 0x80
	s_and_saveexec_b32 s26, vcc_lo
	s_cbranch_execz .LBB2_535
; %bb.528:                              ;   in Loop: Header=BB2_142 Depth=2
	v_mov_b32_e32 v12, 0
	s_mov_b32 s27, exec_lo
	v_cmpx_ne_u32_e32 0, v99
	s_cbranch_execz .LBB2_534
; %bb.529:                              ;   in Loop: Header=BB2_142 Depth=2
	v_bfe_u32 v12, v99, 23, 8
	v_and_b32_e32 v118, 0x7fffff, v99
	s_delay_alu instid0(VALU_DEP_2) | instskip(SKIP_1) | instid1(VALU_DEP_3)
	v_sub_nc_u32_e32 v119, 0x78, v12
	v_cmp_gt_u32_e32 vcc_lo, 0x79, v12
	v_or_b32_e32 v128, 0x800000, v118
	s_delay_alu instid0(VALU_DEP_3) | instskip(SKIP_2) | instid1(VALU_DEP_4)
	v_cndmask_b32_e32 v119, 0, v119, vcc_lo
	v_cmp_eq_u32_e32 vcc_lo, 0, v12
	v_add_nc_u32_e32 v12, 0xffffff89, v12
	v_cndmask_b32_e32 v118, v128, v118, vcc_lo
	s_delay_alu instid0(VALU_DEP_4) | instskip(NEXT) | instid1(VALU_DEP_3)
	v_cndmask_b32_e64 v119, v119, 0x77, vcc_lo
	v_cndmask_b32_e64 v12, v12, 0xffffff8a, vcc_lo
	s_delay_alu instid0(VALU_DEP_2) | instskip(SKIP_2) | instid1(VALU_DEP_4)
	v_lshrrev_b32_e32 v129, v119, v118
	v_lshl_add_u32 v128, 0x100000, v119, -1
	v_lshlrev_b32_e64 v131, v119, 0x80000
	v_add_nc_u32_e32 v119, v119, v12
	s_delay_alu instid0(VALU_DEP_4) | instskip(NEXT) | instid1(VALU_DEP_4)
	v_bfe_u32 v130, v129, 20, 1
	v_and_b32_e32 v118, v128, v118
	s_delay_alu instid0(VALU_DEP_2) | instskip(NEXT) | instid1(VALU_DEP_2)
	v_add_nc_u32_e32 v128, -1, v130
	v_cmp_eq_u32_e64 s12, v118, v131
	s_delay_alu instid0(VALU_DEP_1) | instskip(SKIP_2) | instid1(VALU_DEP_2)
	v_cndmask_b32_e64 v118, 0, v128, s12
	v_lshrrev_b32_e32 v128, 23, v129
	s_mov_b32 s12, exec_lo
	v_add_nc_u32_e32 v118, v118, v129
	s_delay_alu instid0(VALU_DEP_2) | instskip(NEXT) | instid1(VALU_DEP_2)
	v_xor_b32_e32 v128, 1, v128
	v_and_b32_e32 v12, 0xfffff, v118
	s_delay_alu instid0(VALU_DEP_1) | instskip(NEXT) | instid1(VALU_DEP_3)
	v_add_nc_u32_e32 v118, v12, v129
                                        ; implicit-def: $vgpr12
	v_cmpx_ne_u32_e64 v119, v128
	s_xor_b32 s12, exec_lo, s12
; %bb.530:                              ;   in Loop: Header=BB2_142 Depth=2
	s_delay_alu instid0(VALU_DEP_2) | instskip(SKIP_2) | instid1(VALU_DEP_2)
	v_cmp_lt_u32_e32 vcc_lo, 0xffffff, v118
	v_sub_nc_u32_e32 v12, v119, v128
	v_cndmask_b32_e64 v119, 0, 1, vcc_lo
	v_add_co_ci_u32_e32 v12, vcc_lo, 0, v12, vcc_lo
	s_delay_alu instid0(VALU_DEP_2)
	v_lshrrev_b32_e32 v118, v119, v118
; %bb.531:                              ;   in Loop: Header=BB2_142 Depth=2
	s_and_not1_saveexec_b32 s12, s12
; %bb.532:                              ;   in Loop: Header=BB2_142 Depth=2
	s_delay_alu instid0(VALU_DEP_1)
	v_bfe_u32 v12, v118, 23, 1
; %bb.533:                              ;   in Loop: Header=BB2_142 Depth=2
	s_or_b32 exec_lo, exec_lo, s12
	v_lshrrev_b32_e32 v118, 20, v118
	s_delay_alu instid0(VALU_DEP_2) | instskip(SKIP_2) | instid1(VALU_DEP_2)
	v_cmp_gt_i32_e32 vcc_lo, 16, v12
	v_lshrrev_b32_e32 v99, 24, v99
	v_min_i32_e32 v119, 15, v12
	v_dual_cndmask_b32 v118, 7, v118 :: v_dual_and_b32 v99, 0x80, v99
	s_delay_alu instid0(VALU_DEP_2) | instskip(NEXT) | instid1(VALU_DEP_2)
	v_lshlrev_b32_e32 v119, 3, v119
	v_and_b32_e32 v128, 7, v118
	v_or_b32_e32 v12, v12, v118
	s_delay_alu instid0(VALU_DEP_2) | instskip(NEXT) | instid1(VALU_DEP_2)
	v_or3_b32 v99, v119, v99, v128
	v_cmp_ne_u32_e32 vcc_lo, 0, v12
	s_delay_alu instid0(VALU_DEP_2)
	v_cndmask_b32_e32 v12, 0, v99, vcc_lo
.LBB2_534:                              ;   in Loop: Header=BB2_142 Depth=2
	s_or_b32 exec_lo, exec_lo, s27
.LBB2_535:                              ;   in Loop: Header=BB2_142 Depth=2
	s_delay_alu instid0(SALU_CYCLE_1) | instskip(SKIP_3) | instid1(VALU_DEP_1)
	s_or_b32 exec_lo, exec_lo, s26
	v_or_b32_e32 v99, v112, v98
	s_mov_b32 s12, 0
	s_mov_b32 s27, exec_lo
                                        ; implicit-def: $sgpr26
	v_and_b32_e32 v112, 0xff, v99
	s_delay_alu instid0(VALU_DEP_1)
	v_cmpx_lt_i16_e32 0x7f, v112
	s_xor_b32 s27, exec_lo, s27
	s_cbranch_execnz .LBB2_757
; %bb.536:                              ;   in Loop: Header=BB2_142 Depth=2
	s_or_saveexec_b32 s27, s27
	v_mov_b32_e32 v98, s26
	s_xor_b32 exec_lo, exec_lo, s27
	s_cbranch_execnz .LBB2_760
.LBB2_537:                              ;   in Loop: Header=BB2_142 Depth=2
	s_or_b32 exec_lo, exec_lo, s27
	s_and_saveexec_b32 s26, s12
	s_cbranch_execz .LBB2_539
.LBB2_538:                              ;   in Loop: Header=BB2_142 Depth=2
	v_and_b32_e32 v98, 7, v99
	v_bfe_u32 v119, v99, 3, 4
	v_lshlrev_b32_e32 v128, 24, v99
	s_delay_alu instid0(VALU_DEP_3) | instskip(NEXT) | instid1(VALU_DEP_3)
	v_clz_i32_u32_e32 v112, v98
	v_cmp_eq_u32_e32 vcc_lo, 0, v119
	s_delay_alu instid0(VALU_DEP_2) | instskip(NEXT) | instid1(VALU_DEP_1)
	v_min_u32_e32 v112, 32, v112
	v_subrev_nc_u32_e32 v118, 28, v112
	v_sub_nc_u32_e32 v112, 29, v112
	s_delay_alu instid0(VALU_DEP_2) | instskip(NEXT) | instid1(VALU_DEP_2)
	v_lshlrev_b32_e32 v118, v118, v99
	v_cndmask_b32_e32 v112, v119, v112, vcc_lo
	s_delay_alu instid0(VALU_DEP_2) | instskip(NEXT) | instid1(VALU_DEP_2)
	v_and_b32_e32 v118, 7, v118
	v_lshl_add_u32 v112, v112, 23, 0x3b800000
	s_delay_alu instid0(VALU_DEP_2) | instskip(SKIP_1) | instid1(VALU_DEP_2)
	v_cndmask_b32_e32 v98, v98, v118, vcc_lo
	v_and_b32_e32 v118, 0x80000000, v128
	v_lshlrev_b32_e32 v98, 20, v98
	s_delay_alu instid0(VALU_DEP_1)
	v_or3_b32 v98, v118, v112, v98
.LBB2_539:                              ;   in Loop: Header=BB2_142 Depth=2
	s_or_b32 exec_lo, exec_lo, s26
	v_and_b32_e32 v118, 0xff, v13
	s_mov_b32 s12, 0
	s_mov_b32 s27, exec_lo
                                        ; implicit-def: $sgpr26
	s_delay_alu instid0(VALU_DEP_1)
	v_cmpx_lt_i16_e32 0x7f, v118
	s_xor_b32 s27, exec_lo, s27
	s_cbranch_execnz .LBB2_761
; %bb.540:                              ;   in Loop: Header=BB2_142 Depth=2
	s_or_saveexec_b32 s27, s27
	v_mov_b32_e32 v112, s26
	s_xor_b32 exec_lo, exec_lo, s27
	s_cbranch_execnz .LBB2_764
.LBB2_541:                              ;   in Loop: Header=BB2_142 Depth=2
	s_or_b32 exec_lo, exec_lo, s27
	s_and_saveexec_b32 s26, s12
	s_cbranch_execz .LBB2_543
.LBB2_542:                              ;   in Loop: Header=BB2_142 Depth=2
	v_and_b32_e32 v112, 7, v13
	v_bfe_u32 v128, v13, 3, 4
	s_delay_alu instid0(VALU_DEP_2) | instskip(NEXT) | instid1(VALU_DEP_2)
	v_clz_i32_u32_e32 v118, v112
	v_cmp_eq_u32_e32 vcc_lo, 0, v128
	s_delay_alu instid0(VALU_DEP_2) | instskip(NEXT) | instid1(VALU_DEP_1)
	v_min_u32_e32 v118, 32, v118
	v_subrev_nc_u32_e32 v119, 28, v118
	v_sub_nc_u32_e32 v118, 29, v118
	s_delay_alu instid0(VALU_DEP_1) | instskip(NEXT) | instid1(VALU_DEP_1)
	v_dual_cndmask_b32 v118, v128, v118 :: v_dual_lshlrev_b32 v119, v119, v13
	v_and_b32_e32 v119, 7, v119
	v_lshlrev_b32_e32 v129, 24, v13
	s_delay_alu instid0(VALU_DEP_3) | instskip(NEXT) | instid1(VALU_DEP_2)
	v_lshl_add_u32 v118, v118, 23, 0x3b800000
	v_dual_cndmask_b32 v112, v112, v119 :: v_dual_and_b32 v119, 0x80000000, v129
	s_delay_alu instid0(VALU_DEP_1) | instskip(NEXT) | instid1(VALU_DEP_1)
	v_lshlrev_b32_e32 v112, 20, v112
	v_or3_b32 v112, v119, v118, v112
.LBB2_543:                              ;   in Loop: Header=BB2_142 Depth=2
	s_or_b32 exec_lo, exec_lo, s26
	s_delay_alu instid0(VALU_DEP_1) | instskip(NEXT) | instid1(VALU_DEP_1)
	v_add_f32_e32 v112, v98, v112
	v_and_b32_e32 v98, 0x7f800000, v112
	s_delay_alu instid0(VALU_DEP_1)
	v_cmp_ne_u32_e32 vcc_lo, 0x7f800000, v98
	v_mov_b32_e32 v98, 0x80
	s_and_saveexec_b32 s26, vcc_lo
	s_cbranch_execz .LBB2_551
; %bb.544:                              ;   in Loop: Header=BB2_142 Depth=2
	v_mov_b32_e32 v98, 0
	s_mov_b32 s27, exec_lo
	v_cmpx_ne_u32_e32 0, v112
	s_cbranch_execz .LBB2_550
; %bb.545:                              ;   in Loop: Header=BB2_142 Depth=2
	v_bfe_u32 v98, v112, 23, 8
	s_delay_alu instid0(VALU_DEP_1) | instskip(SKIP_1) | instid1(VALU_DEP_2)
	v_sub_nc_u32_e32 v119, 0x78, v98
	v_cmp_gt_u32_e32 vcc_lo, 0x79, v98
	v_dual_cndmask_b32 v119, 0, v119 :: v_dual_and_b32 v118, 0x7fffff, v112
	s_delay_alu instid0(VALU_DEP_1) | instskip(SKIP_2) | instid1(VALU_DEP_4)
	v_or_b32_e32 v128, 0x800000, v118
	v_cmp_eq_u32_e32 vcc_lo, 0, v98
	v_add_nc_u32_e32 v98, 0xffffff89, v98
	v_cndmask_b32_e64 v119, v119, 0x77, vcc_lo
	s_delay_alu instid0(VALU_DEP_4) | instskip(NEXT) | instid1(VALU_DEP_3)
	v_cndmask_b32_e32 v118, v128, v118, vcc_lo
	v_cndmask_b32_e64 v98, v98, 0xffffff8a, vcc_lo
	s_delay_alu instid0(VALU_DEP_3) | instskip(NEXT) | instid1(VALU_DEP_3)
	v_lshl_add_u32 v128, 0x100000, v119, -1
	v_lshrrev_b32_e32 v129, v119, v118
	v_lshlrev_b32_e64 v131, v119, 0x80000
	s_delay_alu instid0(VALU_DEP_4) | instskip(NEXT) | instid1(VALU_DEP_4)
	v_add_nc_u32_e32 v119, v119, v98
	v_and_b32_e32 v118, v128, v118
	s_delay_alu instid0(VALU_DEP_4) | instskip(NEXT) | instid1(VALU_DEP_2)
	v_bfe_u32 v130, v129, 20, 1
	v_cmp_eq_u32_e64 s12, v118, v131
	s_delay_alu instid0(VALU_DEP_2) | instskip(NEXT) | instid1(VALU_DEP_1)
	v_add_nc_u32_e32 v128, -1, v130
	v_cndmask_b32_e64 v118, 0, v128, s12
	v_lshrrev_b32_e32 v128, 23, v129
	s_mov_b32 s12, exec_lo
	s_delay_alu instid0(VALU_DEP_2) | instskip(NEXT) | instid1(VALU_DEP_2)
	v_add_nc_u32_e32 v118, v118, v129
	v_xor_b32_e32 v128, 1, v128
	s_delay_alu instid0(VALU_DEP_2) | instskip(NEXT) | instid1(VALU_DEP_1)
	v_and_b32_e32 v98, 0xfffff, v118
	v_add_nc_u32_e32 v118, v98, v129
                                        ; implicit-def: $vgpr98
	s_delay_alu instid0(VALU_DEP_3)
	v_cmpx_ne_u32_e64 v119, v128
	s_xor_b32 s12, exec_lo, s12
; %bb.546:                              ;   in Loop: Header=BB2_142 Depth=2
	s_delay_alu instid0(VALU_DEP_2) | instskip(SKIP_2) | instid1(VALU_DEP_2)
	v_cmp_lt_u32_e32 vcc_lo, 0xffffff, v118
	v_sub_nc_u32_e32 v98, v119, v128
	v_cndmask_b32_e64 v119, 0, 1, vcc_lo
	v_add_co_ci_u32_e32 v98, vcc_lo, 0, v98, vcc_lo
	s_delay_alu instid0(VALU_DEP_2)
	v_lshrrev_b32_e32 v118, v119, v118
; %bb.547:                              ;   in Loop: Header=BB2_142 Depth=2
	s_and_not1_saveexec_b32 s12, s12
; %bb.548:                              ;   in Loop: Header=BB2_142 Depth=2
	s_delay_alu instid0(VALU_DEP_1)
	v_bfe_u32 v98, v118, 23, 1
; %bb.549:                              ;   in Loop: Header=BB2_142 Depth=2
	s_or_b32 exec_lo, exec_lo, s12
	v_lshrrev_b32_e32 v118, 20, v118
	s_delay_alu instid0(VALU_DEP_2) | instskip(SKIP_2) | instid1(VALU_DEP_4)
	v_cmp_gt_i32_e32 vcc_lo, 16, v98
	v_lshrrev_b32_e32 v112, 24, v112
	v_min_i32_e32 v119, 15, v98
	v_cndmask_b32_e32 v118, 7, v118, vcc_lo
	s_delay_alu instid0(VALU_DEP_3) | instskip(NEXT) | instid1(VALU_DEP_3)
	v_and_b32_e32 v112, 0x80, v112
	v_lshlrev_b32_e32 v119, 3, v119
	s_delay_alu instid0(VALU_DEP_3) | instskip(SKIP_1) | instid1(VALU_DEP_2)
	v_and_b32_e32 v128, 7, v118
	v_or_b32_e32 v98, v98, v118
	v_or3_b32 v112, v119, v112, v128
	s_delay_alu instid0(VALU_DEP_2) | instskip(NEXT) | instid1(VALU_DEP_2)
	v_cmp_ne_u32_e32 vcc_lo, 0, v98
	v_cndmask_b32_e32 v98, 0, v112, vcc_lo
.LBB2_550:                              ;   in Loop: Header=BB2_142 Depth=2
	s_or_b32 exec_lo, exec_lo, s27
.LBB2_551:                              ;   in Loop: Header=BB2_142 Depth=2
	s_delay_alu instid0(SALU_CYCLE_1) | instskip(SKIP_3) | instid1(VALU_DEP_1)
	s_or_b32 exec_lo, exec_lo, s26
	v_lshrrev_b16 v118, 8, v99
	s_mov_b32 s12, 0
	s_mov_b32 s27, exec_lo
                                        ; implicit-def: $sgpr26
	v_cmpx_lt_i16_e32 0x7f, v118
	s_xor_b32 s27, exec_lo, s27
	s_cbranch_execnz .LBB2_765
; %bb.552:                              ;   in Loop: Header=BB2_142 Depth=2
	s_or_saveexec_b32 s27, s27
	v_mov_b32_e32 v112, s26
	s_xor_b32 exec_lo, exec_lo, s27
	s_cbranch_execnz .LBB2_768
.LBB2_553:                              ;   in Loop: Header=BB2_142 Depth=2
	s_or_b32 exec_lo, exec_lo, s27
	s_and_saveexec_b32 s26, s12
	s_cbranch_execz .LBB2_555
.LBB2_554:                              ;   in Loop: Header=BB2_142 Depth=2
	v_and_b32_e32 v112, 0xffff, v118
	v_lshlrev_b32_e32 v118, 24, v118
	s_delay_alu instid0(VALU_DEP_2) | instskip(NEXT) | instid1(VALU_DEP_2)
	v_and_b32_e32 v119, 7, v112
	v_and_b32_e32 v118, 0x80000000, v118
	s_delay_alu instid0(VALU_DEP_2) | instskip(NEXT) | instid1(VALU_DEP_1)
	v_clz_i32_u32_e32 v128, v119
	v_min_u32_e32 v128, 32, v128
	s_delay_alu instid0(VALU_DEP_1) | instskip(SKIP_1) | instid1(VALU_DEP_2)
	v_subrev_nc_u32_e32 v129, 28, v128
	v_sub_nc_u32_e32 v128, 29, v128
	v_lshlrev_b32_e32 v129, v129, v112
	v_bfe_u32 v112, v112, 3, 4
	s_delay_alu instid0(VALU_DEP_1) | instskip(NEXT) | instid1(VALU_DEP_3)
	v_cmp_eq_u32_e32 vcc_lo, 0, v112
	v_dual_cndmask_b32 v112, v112, v128 :: v_dual_and_b32 v129, 7, v129
	s_delay_alu instid0(VALU_DEP_1) | instskip(NEXT) | instid1(VALU_DEP_2)
	v_cndmask_b32_e32 v119, v119, v129, vcc_lo
	v_lshl_add_u32 v112, v112, 23, 0x3b800000
	s_delay_alu instid0(VALU_DEP_2) | instskip(NEXT) | instid1(VALU_DEP_1)
	v_lshlrev_b32_e32 v119, 20, v119
	v_or3_b32 v112, v118, v112, v119
.LBB2_555:                              ;   in Loop: Header=BB2_142 Depth=2
	s_or_b32 exec_lo, exec_lo, s26
	v_lshrrev_b16 v118, 8, v13
	s_mov_b32 s12, 0
	s_mov_b32 s27, exec_lo
                                        ; implicit-def: $sgpr26
	s_delay_alu instid0(VALU_DEP_1)
	v_cmpx_lt_i16_e32 0x7f, v118
	s_xor_b32 s27, exec_lo, s27
	s_cbranch_execnz .LBB2_769
; %bb.556:                              ;   in Loop: Header=BB2_142 Depth=2
	s_or_saveexec_b32 s27, s27
	v_mov_b32_e32 v119, s26
	s_xor_b32 exec_lo, exec_lo, s27
	s_cbranch_execnz .LBB2_772
.LBB2_557:                              ;   in Loop: Header=BB2_142 Depth=2
	s_or_b32 exec_lo, exec_lo, s27
	s_and_saveexec_b32 s26, s12
	s_cbranch_execz .LBB2_559
.LBB2_558:                              ;   in Loop: Header=BB2_142 Depth=2
	v_and_b32_e32 v119, 0xffff, v118
	v_lshlrev_b32_e32 v118, 24, v118
	s_delay_alu instid0(VALU_DEP_2) | instskip(NEXT) | instid1(VALU_DEP_2)
	v_and_b32_e32 v128, 7, v119
	v_and_b32_e32 v118, 0x80000000, v118
	s_delay_alu instid0(VALU_DEP_2) | instskip(NEXT) | instid1(VALU_DEP_1)
	v_clz_i32_u32_e32 v129, v128
	v_min_u32_e32 v129, 32, v129
	s_delay_alu instid0(VALU_DEP_1) | instskip(SKIP_1) | instid1(VALU_DEP_2)
	v_subrev_nc_u32_e32 v130, 28, v129
	v_sub_nc_u32_e32 v129, 29, v129
	v_lshlrev_b32_e32 v130, v130, v119
	v_bfe_u32 v119, v119, 3, 4
	s_delay_alu instid0(VALU_DEP_2) | instskip(NEXT) | instid1(VALU_DEP_2)
	v_and_b32_e32 v130, 7, v130
	v_cmp_eq_u32_e32 vcc_lo, 0, v119
	s_delay_alu instid0(VALU_DEP_2) | instskip(NEXT) | instid1(VALU_DEP_1)
	v_dual_cndmask_b32 v119, v119, v129 :: v_dual_cndmask_b32 v128, v128, v130
	v_lshl_add_u32 v119, v119, 23, 0x3b800000
	s_delay_alu instid0(VALU_DEP_2) | instskip(NEXT) | instid1(VALU_DEP_1)
	v_lshlrev_b32_e32 v128, 20, v128
	v_or3_b32 v119, v118, v119, v128
.LBB2_559:                              ;   in Loop: Header=BB2_142 Depth=2
	s_or_b32 exec_lo, exec_lo, s26
	s_delay_alu instid0(VALU_DEP_1) | instskip(NEXT) | instid1(VALU_DEP_1)
	v_add_f32_e32 v118, v112, v119
	v_and_b32_e32 v112, 0x7f800000, v118
	s_delay_alu instid0(VALU_DEP_1)
	v_cmp_ne_u32_e32 vcc_lo, 0x7f800000, v112
	v_mov_b32_e32 v112, 0x8000
	s_and_saveexec_b32 s26, vcc_lo
	s_cbranch_execz .LBB2_567
; %bb.560:                              ;   in Loop: Header=BB2_142 Depth=2
	v_mov_b32_e32 v112, 0
	s_mov_b32 s27, exec_lo
	v_cmpx_ne_u32_e32 0, v118
	s_cbranch_execz .LBB2_566
; %bb.561:                              ;   in Loop: Header=BB2_142 Depth=2
	v_bfe_u32 v112, v118, 23, 8
	s_delay_alu instid0(VALU_DEP_1) | instskip(SKIP_1) | instid1(VALU_DEP_2)
	v_sub_nc_u32_e32 v128, 0x78, v112
	v_cmp_gt_u32_e32 vcc_lo, 0x79, v112
	v_dual_cndmask_b32 v128, 0, v128 :: v_dual_and_b32 v119, 0x7fffff, v118
	s_delay_alu instid0(VALU_DEP_1) | instskip(SKIP_2) | instid1(VALU_DEP_4)
	v_or_b32_e32 v129, 0x800000, v119
	v_cmp_eq_u32_e32 vcc_lo, 0, v112
	v_add_nc_u32_e32 v112, 0xffffff89, v112
	v_cndmask_b32_e64 v128, v128, 0x77, vcc_lo
	s_delay_alu instid0(VALU_DEP_4) | instskip(NEXT) | instid1(VALU_DEP_3)
	v_cndmask_b32_e32 v119, v129, v119, vcc_lo
	v_cndmask_b32_e64 v112, v112, 0xffffff8a, vcc_lo
	s_delay_alu instid0(VALU_DEP_3) | instskip(NEXT) | instid1(VALU_DEP_3)
	v_lshl_add_u32 v129, 0x100000, v128, -1
	v_lshrrev_b32_e32 v130, v128, v119
	v_lshlrev_b32_e64 v132, v128, 0x80000
	s_delay_alu instid0(VALU_DEP_4) | instskip(NEXT) | instid1(VALU_DEP_4)
	v_add_nc_u32_e32 v128, v128, v112
	v_and_b32_e32 v119, v129, v119
	s_delay_alu instid0(VALU_DEP_4) | instskip(NEXT) | instid1(VALU_DEP_2)
	v_bfe_u32 v131, v130, 20, 1
	v_cmp_eq_u32_e64 s12, v119, v132
	s_delay_alu instid0(VALU_DEP_2) | instskip(NEXT) | instid1(VALU_DEP_1)
	v_add_nc_u32_e32 v129, -1, v131
	v_cndmask_b32_e64 v119, 0, v129, s12
	v_lshrrev_b32_e32 v129, 23, v130
	s_mov_b32 s12, exec_lo
	s_delay_alu instid0(VALU_DEP_2) | instskip(NEXT) | instid1(VALU_DEP_2)
	v_add_nc_u32_e32 v119, v119, v130
	v_xor_b32_e32 v129, 1, v129
	s_delay_alu instid0(VALU_DEP_2) | instskip(NEXT) | instid1(VALU_DEP_1)
	v_and_b32_e32 v112, 0xfffff, v119
	v_add_nc_u32_e32 v119, v112, v130
                                        ; implicit-def: $vgpr112
	s_delay_alu instid0(VALU_DEP_3)
	v_cmpx_ne_u32_e64 v128, v129
	s_xor_b32 s12, exec_lo, s12
; %bb.562:                              ;   in Loop: Header=BB2_142 Depth=2
	s_delay_alu instid0(VALU_DEP_2) | instskip(SKIP_2) | instid1(VALU_DEP_2)
	v_cmp_lt_u32_e32 vcc_lo, 0xffffff, v119
	v_sub_nc_u32_e32 v112, v128, v129
	v_cndmask_b32_e64 v128, 0, 1, vcc_lo
	v_add_co_ci_u32_e32 v112, vcc_lo, 0, v112, vcc_lo
	s_delay_alu instid0(VALU_DEP_2)
	v_lshrrev_b32_e32 v119, v128, v119
; %bb.563:                              ;   in Loop: Header=BB2_142 Depth=2
	s_and_not1_saveexec_b32 s12, s12
; %bb.564:                              ;   in Loop: Header=BB2_142 Depth=2
	s_delay_alu instid0(VALU_DEP_1)
	v_bfe_u32 v112, v119, 23, 1
; %bb.565:                              ;   in Loop: Header=BB2_142 Depth=2
	s_or_b32 exec_lo, exec_lo, s12
	v_lshrrev_b32_e32 v119, 20, v119
	s_delay_alu instid0(VALU_DEP_2) | instskip(SKIP_2) | instid1(VALU_DEP_2)
	v_cmp_gt_i32_e32 vcc_lo, 16, v112
	v_min_i32_e32 v128, 15, v112
	v_lshrrev_b32_e32 v118, 24, v118
	v_dual_cndmask_b32 v119, 7, v119 :: v_dual_lshlrev_b32 v128, 3, v128
	s_delay_alu instid0(VALU_DEP_2) | instskip(NEXT) | instid1(VALU_DEP_2)
	v_and_b32_e32 v118, 0x80, v118
	v_or_b32_e32 v112, v112, v119
	s_delay_alu instid0(VALU_DEP_3) | instskip(NEXT) | instid1(VALU_DEP_2)
	v_and_b32_e32 v128, 0xf8, v128
	v_cmp_ne_u32_e32 vcc_lo, 0, v112
	v_and_b32_e32 v129, 7, v119
	s_delay_alu instid0(VALU_DEP_1) | instskip(NEXT) | instid1(VALU_DEP_1)
	v_or3_b32 v118, v118, v128, v129
	v_lshlrev_b32_e32 v118, 8, v118
	s_delay_alu instid0(VALU_DEP_1)
	v_cndmask_b32_e32 v112, 0, v118, vcc_lo
.LBB2_566:                              ;   in Loop: Header=BB2_142 Depth=2
	s_or_b32 exec_lo, exec_lo, s27
.LBB2_567:                              ;   in Loop: Header=BB2_142 Depth=2
	s_delay_alu instid0(SALU_CYCLE_1) | instskip(SKIP_3) | instid1(VALU_DEP_1)
	s_or_b32 exec_lo, exec_lo, s26
	v_or_b32_e32 v101, v101, v97
	s_mov_b32 s12, 0
	s_mov_b32 s27, exec_lo
                                        ; implicit-def: $sgpr26
	v_and_b32_e32 v118, 0xff, v101
	s_delay_alu instid0(VALU_DEP_1)
	v_cmpx_lt_i16_e32 0x7f, v118
	s_xor_b32 s27, exec_lo, s27
	s_cbranch_execnz .LBB2_773
; %bb.568:                              ;   in Loop: Header=BB2_142 Depth=2
	s_or_saveexec_b32 s27, s27
	v_mov_b32_e32 v97, s26
	s_xor_b32 exec_lo, exec_lo, s27
	s_cbranch_execnz .LBB2_776
.LBB2_569:                              ;   in Loop: Header=BB2_142 Depth=2
	s_or_b32 exec_lo, exec_lo, s27
	v_lshl_or_b32 v99, v101, 16, v99
	s_and_saveexec_b32 s26, s12
	s_cbranch_execz .LBB2_571
.LBB2_570:                              ;   in Loop: Header=BB2_142 Depth=2
	s_delay_alu instid0(VALU_DEP_1) | instskip(SKIP_1) | instid1(VALU_DEP_2)
	v_bfe_u32 v97, v99, 16, 3
	v_lshrrev_b32_e32 v118, 16, v99
	v_clz_i32_u32_e32 v101, v97
	s_delay_alu instid0(VALU_DEP_1) | instskip(NEXT) | instid1(VALU_DEP_1)
	v_min_u32_e32 v101, 32, v101
	v_subrev_nc_u32_e32 v119, 28, v101
	v_sub_nc_u32_e32 v101, 29, v101
	s_delay_alu instid0(VALU_DEP_2) | instskip(SKIP_1) | instid1(VALU_DEP_1)
	v_lshlrev_b32_e32 v118, v119, v118
	v_bfe_u32 v119, v99, 19, 4
	v_cmp_eq_u32_e32 vcc_lo, 0, v119
	s_delay_alu instid0(VALU_DEP_3) | instskip(NEXT) | instid1(VALU_DEP_1)
	v_dual_cndmask_b32 v101, v119, v101 :: v_dual_and_b32 v118, 7, v118
	v_dual_cndmask_b32 v97, v97, v118 :: v_dual_lshlrev_b32 v128, 8, v99
	s_delay_alu instid0(VALU_DEP_2) | instskip(NEXT) | instid1(VALU_DEP_2)
	v_lshl_add_u32 v101, v101, 23, 0x3b800000
	v_and_b32_e32 v118, 0x80000000, v128
	s_delay_alu instid0(VALU_DEP_3) | instskip(NEXT) | instid1(VALU_DEP_1)
	v_lshlrev_b32_e32 v97, 20, v97
	v_or3_b32 v97, v118, v101, v97
.LBB2_571:                              ;   in Loop: Header=BB2_142 Depth=2
	s_or_b32 exec_lo, exec_lo, s26
	v_lshrrev_b32_e32 v101, 16, v13
	s_mov_b32 s12, 0
	s_mov_b32 s27, exec_lo
                                        ; implicit-def: $sgpr26
	s_delay_alu instid0(VALU_DEP_1) | instskip(NEXT) | instid1(VALU_DEP_1)
	v_and_b32_e32 v119, 0xff, v101
	v_cmpx_lt_i16_e32 0x7f, v119
	s_xor_b32 s27, exec_lo, s27
	s_cbranch_execnz .LBB2_777
; %bb.572:                              ;   in Loop: Header=BB2_142 Depth=2
	s_or_saveexec_b32 s27, s27
	v_mov_b32_e32 v118, s26
	s_xor_b32 exec_lo, exec_lo, s27
	s_cbranch_execnz .LBB2_780
.LBB2_573:                              ;   in Loop: Header=BB2_142 Depth=2
	s_or_b32 exec_lo, exec_lo, s27
	s_and_saveexec_b32 s26, s12
	s_cbranch_execz .LBB2_575
.LBB2_574:                              ;   in Loop: Header=BB2_142 Depth=2
	v_bfe_u32 v118, v13, 16, 3
	v_lshlrev_b32_e32 v129, 8, v13
	s_delay_alu instid0(VALU_DEP_2) | instskip(NEXT) | instid1(VALU_DEP_1)
	v_clz_i32_u32_e32 v119, v118
	v_min_u32_e32 v119, 32, v119
	s_delay_alu instid0(VALU_DEP_1) | instskip(SKIP_1) | instid1(VALU_DEP_2)
	v_subrev_nc_u32_e32 v128, 28, v119
	v_sub_nc_u32_e32 v119, 29, v119
	v_lshlrev_b32_e32 v101, v128, v101
	v_bfe_u32 v128, v13, 19, 4
	s_delay_alu instid0(VALU_DEP_2) | instskip(NEXT) | instid1(VALU_DEP_2)
	v_and_b32_e32 v101, 7, v101
	v_cmp_eq_u32_e32 vcc_lo, 0, v128
	v_cndmask_b32_e32 v119, v128, v119, vcc_lo
	s_delay_alu instid0(VALU_DEP_3) | instskip(SKIP_1) | instid1(VALU_DEP_3)
	v_cndmask_b32_e32 v101, v118, v101, vcc_lo
	v_and_b32_e32 v118, 0x80000000, v129
	v_lshl_add_u32 v119, v119, 23, 0x3b800000
	s_delay_alu instid0(VALU_DEP_3) | instskip(NEXT) | instid1(VALU_DEP_1)
	v_lshlrev_b32_e32 v101, 20, v101
	v_or3_b32 v118, v118, v119, v101
.LBB2_575:                              ;   in Loop: Header=BB2_142 Depth=2
	s_or_b32 exec_lo, exec_lo, s26
	s_delay_alu instid0(VALU_DEP_1) | instskip(NEXT) | instid1(VALU_DEP_1)
	v_add_f32_e32 v101, v97, v118
	v_and_b32_e32 v97, 0x7f800000, v101
	s_delay_alu instid0(VALU_DEP_1)
	v_cmp_ne_u32_e32 vcc_lo, 0x7f800000, v97
	v_mov_b32_e32 v97, 0x80
	s_and_saveexec_b32 s26, vcc_lo
	s_cbranch_execz .LBB2_583
; %bb.576:                              ;   in Loop: Header=BB2_142 Depth=2
	v_mov_b32_e32 v97, 0
	s_mov_b32 s27, exec_lo
	v_cmpx_ne_u32_e32 0, v101
	s_cbranch_execz .LBB2_582
; %bb.577:                              ;   in Loop: Header=BB2_142 Depth=2
	v_bfe_u32 v97, v101, 23, 8
	s_delay_alu instid0(VALU_DEP_1) | instskip(SKIP_1) | instid1(VALU_DEP_2)
	v_sub_nc_u32_e32 v119, 0x78, v97
	v_cmp_gt_u32_e32 vcc_lo, 0x79, v97
	v_dual_cndmask_b32 v119, 0, v119 :: v_dual_and_b32 v118, 0x7fffff, v101
	s_delay_alu instid0(VALU_DEP_1) | instskip(SKIP_2) | instid1(VALU_DEP_4)
	v_or_b32_e32 v128, 0x800000, v118
	v_cmp_eq_u32_e32 vcc_lo, 0, v97
	v_add_nc_u32_e32 v97, 0xffffff89, v97
	v_cndmask_b32_e64 v119, v119, 0x77, vcc_lo
	s_delay_alu instid0(VALU_DEP_4) | instskip(NEXT) | instid1(VALU_DEP_3)
	v_cndmask_b32_e32 v118, v128, v118, vcc_lo
	v_cndmask_b32_e64 v97, v97, 0xffffff8a, vcc_lo
	s_delay_alu instid0(VALU_DEP_3) | instskip(NEXT) | instid1(VALU_DEP_3)
	v_lshl_add_u32 v128, 0x100000, v119, -1
	v_lshrrev_b32_e32 v129, v119, v118
	v_lshlrev_b32_e64 v131, v119, 0x80000
	s_delay_alu instid0(VALU_DEP_4) | instskip(NEXT) | instid1(VALU_DEP_4)
	v_add_nc_u32_e32 v119, v119, v97
	v_and_b32_e32 v118, v128, v118
	s_delay_alu instid0(VALU_DEP_4) | instskip(NEXT) | instid1(VALU_DEP_2)
	v_bfe_u32 v130, v129, 20, 1
	v_cmp_eq_u32_e64 s12, v118, v131
	s_delay_alu instid0(VALU_DEP_2) | instskip(NEXT) | instid1(VALU_DEP_1)
	v_add_nc_u32_e32 v128, -1, v130
	v_cndmask_b32_e64 v118, 0, v128, s12
	v_lshrrev_b32_e32 v128, 23, v129
	s_mov_b32 s12, exec_lo
	s_delay_alu instid0(VALU_DEP_2) | instskip(NEXT) | instid1(VALU_DEP_2)
	v_add_nc_u32_e32 v118, v118, v129
	v_xor_b32_e32 v128, 1, v128
	s_delay_alu instid0(VALU_DEP_2) | instskip(NEXT) | instid1(VALU_DEP_1)
	v_and_b32_e32 v97, 0xfffff, v118
	v_add_nc_u32_e32 v118, v97, v129
                                        ; implicit-def: $vgpr97
	s_delay_alu instid0(VALU_DEP_3)
	v_cmpx_ne_u32_e64 v119, v128
	s_xor_b32 s12, exec_lo, s12
; %bb.578:                              ;   in Loop: Header=BB2_142 Depth=2
	s_delay_alu instid0(VALU_DEP_2) | instskip(SKIP_2) | instid1(VALU_DEP_2)
	v_cmp_lt_u32_e32 vcc_lo, 0xffffff, v118
	v_sub_nc_u32_e32 v97, v119, v128
	v_cndmask_b32_e64 v119, 0, 1, vcc_lo
	v_add_co_ci_u32_e32 v97, vcc_lo, 0, v97, vcc_lo
	s_delay_alu instid0(VALU_DEP_2)
	v_lshrrev_b32_e32 v118, v119, v118
; %bb.579:                              ;   in Loop: Header=BB2_142 Depth=2
	s_and_not1_saveexec_b32 s12, s12
; %bb.580:                              ;   in Loop: Header=BB2_142 Depth=2
	s_delay_alu instid0(VALU_DEP_1)
	v_bfe_u32 v97, v118, 23, 1
; %bb.581:                              ;   in Loop: Header=BB2_142 Depth=2
	s_or_b32 exec_lo, exec_lo, s12
	v_lshrrev_b32_e32 v118, 20, v118
	s_delay_alu instid0(VALU_DEP_2) | instskip(SKIP_2) | instid1(VALU_DEP_2)
	v_cmp_gt_i32_e32 vcc_lo, 16, v97
	v_min_i32_e32 v119, 15, v97
	v_lshrrev_b32_e32 v101, 24, v101
	v_dual_cndmask_b32 v118, 7, v118 :: v_dual_lshlrev_b32 v119, 3, v119
	s_delay_alu instid0(VALU_DEP_2) | instskip(NEXT) | instid1(VALU_DEP_2)
	v_and_b32_e32 v101, 0x80, v101
	v_or_b32_e32 v97, v97, v118
	s_delay_alu instid0(VALU_DEP_3) | instskip(NEXT) | instid1(VALU_DEP_2)
	v_and_b32_e32 v119, 0xf8, v119
	v_cmp_ne_u32_e32 vcc_lo, 0, v97
	v_and_b32_e32 v128, 7, v118
	s_delay_alu instid0(VALU_DEP_1) | instskip(NEXT) | instid1(VALU_DEP_1)
	v_or3_b32 v101, v119, v101, v128
	v_cndmask_b32_e32 v97, 0, v101, vcc_lo
.LBB2_582:                              ;   in Loop: Header=BB2_142 Depth=2
	s_or_b32 exec_lo, exec_lo, s27
.LBB2_583:                              ;   in Loop: Header=BB2_142 Depth=2
	s_delay_alu instid0(SALU_CYCLE_1) | instskip(SKIP_3) | instid1(VALU_DEP_1)
	s_or_b32 exec_lo, exec_lo, s26
	v_lshrrev_b32_e32 v118, 24, v99
	s_mov_b32 s12, 0
	s_mov_b32 s27, exec_lo
                                        ; implicit-def: $sgpr26
	v_cmpx_lt_i16_e32 0x7f, v118
	s_xor_b32 s27, exec_lo, s27
	s_cbranch_execnz .LBB2_781
; %bb.584:                              ;   in Loop: Header=BB2_142 Depth=2
	s_or_saveexec_b32 s27, s27
	v_mov_b32_e32 v101, s26
	s_xor_b32 exec_lo, exec_lo, s27
	s_cbranch_execnz .LBB2_784
.LBB2_585:                              ;   in Loop: Header=BB2_142 Depth=2
	s_or_b32 exec_lo, exec_lo, s27
	s_and_saveexec_b32 s26, s12
	s_cbranch_execz .LBB2_587
.LBB2_586:                              ;   in Loop: Header=BB2_142 Depth=2
	v_bfe_u32 v101, v99, 24, 3
	s_delay_alu instid0(VALU_DEP_1) | instskip(NEXT) | instid1(VALU_DEP_1)
	v_clz_i32_u32_e32 v119, v101
	v_min_u32_e32 v119, 32, v119
	s_delay_alu instid0(VALU_DEP_1) | instskip(SKIP_1) | instid1(VALU_DEP_2)
	v_subrev_nc_u32_e32 v128, 28, v119
	v_sub_nc_u32_e32 v119, 29, v119
	v_lshlrev_b32_e32 v118, v128, v118
	v_bfe_u32 v128, v99, 27, 4
	v_and_b32_e32 v99, 0x80000000, v99
	s_delay_alu instid0(VALU_DEP_2) | instskip(NEXT) | instid1(VALU_DEP_4)
	v_cmp_eq_u32_e32 vcc_lo, 0, v128
	v_dual_cndmask_b32 v119, v128, v119 :: v_dual_and_b32 v118, 7, v118
	s_delay_alu instid0(VALU_DEP_1) | instskip(NEXT) | instid1(VALU_DEP_2)
	v_cndmask_b32_e32 v101, v101, v118, vcc_lo
	v_lshl_add_u32 v118, v119, 23, 0x3b800000
	s_delay_alu instid0(VALU_DEP_2) | instskip(NEXT) | instid1(VALU_DEP_1)
	v_lshlrev_b32_e32 v101, 20, v101
	v_or3_b32 v101, v99, v118, v101
.LBB2_587:                              ;   in Loop: Header=BB2_142 Depth=2
	s_or_b32 exec_lo, exec_lo, s26
	v_lshrrev_b32_e32 v99, 24, v13
	s_mov_b32 s12, 0
	s_mov_b32 s27, exec_lo
                                        ; implicit-def: $sgpr26
	s_delay_alu instid0(VALU_DEP_1)
	v_cmpx_lt_i16_e32 0x7f, v99
	s_xor_b32 s27, exec_lo, s27
	s_cbranch_execnz .LBB2_785
; %bb.588:                              ;   in Loop: Header=BB2_142 Depth=2
	s_or_saveexec_b32 s27, s27
	v_mov_b32_e32 v118, s26
	s_xor_b32 exec_lo, exec_lo, s27
	s_cbranch_execnz .LBB2_788
.LBB2_589:                              ;   in Loop: Header=BB2_142 Depth=2
	s_or_b32 exec_lo, exec_lo, s27
	s_and_saveexec_b32 s26, s12
	s_cbranch_execz .LBB2_591
.LBB2_590:                              ;   in Loop: Header=BB2_142 Depth=2
	v_bfe_u32 v118, v13, 24, 3
	s_delay_alu instid0(VALU_DEP_1) | instskip(NEXT) | instid1(VALU_DEP_1)
	v_clz_i32_u32_e32 v119, v118
	v_min_u32_e32 v119, 32, v119
	s_delay_alu instid0(VALU_DEP_1) | instskip(SKIP_1) | instid1(VALU_DEP_2)
	v_subrev_nc_u32_e32 v128, 28, v119
	v_sub_nc_u32_e32 v119, 29, v119
	v_lshlrev_b32_e32 v99, v128, v99
	v_bfe_u32 v128, v13, 27, 4
	v_and_b32_e32 v13, 0x80000000, v13
	s_delay_alu instid0(VALU_DEP_3) | instskip(NEXT) | instid1(VALU_DEP_3)
	v_and_b32_e32 v99, 7, v99
	v_cmp_eq_u32_e32 vcc_lo, 0, v128
	v_cndmask_b32_e32 v119, v128, v119, vcc_lo
	s_delay_alu instid0(VALU_DEP_3) | instskip(NEXT) | instid1(VALU_DEP_2)
	v_cndmask_b32_e32 v99, v118, v99, vcc_lo
	v_lshl_add_u32 v118, v119, 23, 0x3b800000
	s_delay_alu instid0(VALU_DEP_2) | instskip(NEXT) | instid1(VALU_DEP_1)
	v_lshlrev_b32_e32 v99, 20, v99
	v_or3_b32 v118, v13, v118, v99
.LBB2_591:                              ;   in Loop: Header=BB2_142 Depth=2
	s_or_b32 exec_lo, exec_lo, s26
	s_delay_alu instid0(VALU_DEP_1) | instskip(NEXT) | instid1(VALU_DEP_1)
	v_add_f32_e32 v13, v101, v118
	v_and_b32_e32 v99, 0x7f800000, v13
	s_delay_alu instid0(VALU_DEP_1)
	v_cmp_ne_u32_e32 vcc_lo, 0x7f800000, v99
	v_mov_b32_e32 v99, 0x8000
	s_and_saveexec_b32 s26, vcc_lo
	s_cbranch_execz .LBB2_141
; %bb.592:                              ;   in Loop: Header=BB2_142 Depth=2
	v_mov_b32_e32 v99, 0
	s_mov_b32 s27, exec_lo
	v_cmpx_ne_u32_e32 0, v13
	s_cbranch_execz .LBB2_140
; %bb.593:                              ;   in Loop: Header=BB2_142 Depth=2
	v_bfe_u32 v99, v13, 23, 8
	s_delay_alu instid0(VALU_DEP_1) | instskip(SKIP_1) | instid1(VALU_DEP_2)
	v_sub_nc_u32_e32 v118, 0x78, v99
	v_cmp_gt_u32_e32 vcc_lo, 0x79, v99
	v_dual_cndmask_b32 v118, 0, v118 :: v_dual_and_b32 v101, 0x7fffff, v13
	s_delay_alu instid0(VALU_DEP_1) | instskip(SKIP_2) | instid1(VALU_DEP_4)
	v_or_b32_e32 v119, 0x800000, v101
	v_cmp_eq_u32_e32 vcc_lo, 0, v99
	v_add_nc_u32_e32 v99, 0xffffff89, v99
	v_cndmask_b32_e64 v118, v118, 0x77, vcc_lo
	s_delay_alu instid0(VALU_DEP_2) | instskip(SKIP_1) | instid1(VALU_DEP_3)
	v_cndmask_b32_e64 v99, v99, 0xffffff8a, vcc_lo
	v_cndmask_b32_e32 v101, v119, v101, vcc_lo
	v_lshl_add_u32 v119, 0x100000, v118, -1
	v_lshlrev_b32_e64 v130, v118, 0x80000
	s_delay_alu instid0(VALU_DEP_3) | instskip(SKIP_1) | instid1(VALU_DEP_4)
	v_lshrrev_b32_e32 v128, v118, v101
	v_add_nc_u32_e32 v118, v118, v99
	v_and_b32_e32 v101, v119, v101
	s_delay_alu instid0(VALU_DEP_3) | instskip(NEXT) | instid1(VALU_DEP_2)
	v_bfe_u32 v129, v128, 20, 1
	v_cmp_eq_u32_e64 s12, v101, v130
	s_delay_alu instid0(VALU_DEP_2) | instskip(NEXT) | instid1(VALU_DEP_1)
	v_add_nc_u32_e32 v119, -1, v129
	v_cndmask_b32_e64 v101, 0, v119, s12
	v_lshrrev_b32_e32 v119, 23, v128
	s_mov_b32 s12, exec_lo
	s_delay_alu instid0(VALU_DEP_2) | instskip(NEXT) | instid1(VALU_DEP_2)
	v_add_nc_u32_e32 v101, v101, v128
	v_xor_b32_e32 v119, 1, v119
	s_delay_alu instid0(VALU_DEP_2) | instskip(NEXT) | instid1(VALU_DEP_1)
	v_and_b32_e32 v99, 0xfffff, v101
	v_add_nc_u32_e32 v101, v99, v128
                                        ; implicit-def: $vgpr99
	s_delay_alu instid0(VALU_DEP_3)
	v_cmpx_ne_u32_e64 v118, v119
	s_xor_b32 s12, exec_lo, s12
; %bb.594:                              ;   in Loop: Header=BB2_142 Depth=2
	s_delay_alu instid0(VALU_DEP_2) | instskip(SKIP_2) | instid1(VALU_DEP_2)
	v_cmp_lt_u32_e32 vcc_lo, 0xffffff, v101
	v_sub_nc_u32_e32 v99, v118, v119
	v_cndmask_b32_e64 v118, 0, 1, vcc_lo
	v_add_co_ci_u32_e32 v99, vcc_lo, 0, v99, vcc_lo
	s_delay_alu instid0(VALU_DEP_2)
	v_lshrrev_b32_e32 v101, v118, v101
; %bb.595:                              ;   in Loop: Header=BB2_142 Depth=2
	s_and_not1_saveexec_b32 s12, s12
	s_cbranch_execz .LBB2_139
; %bb.596:                              ;   in Loop: Header=BB2_142 Depth=2
	s_delay_alu instid0(VALU_DEP_1)
	v_bfe_u32 v99, v101, 23, 1
	s_branch .LBB2_139
.LBB2_597:                              ;   in Loop: Header=BB2_142 Depth=2
	s_mov_b32 s12, -1
	s_mov_b32 s29, exec_lo
                                        ; implicit-def: $sgpr27
	v_cmpx_eq_u16_e32 0x80, v97
; %bb.598:                              ;   in Loop: Header=BB2_142 Depth=2
	s_mov_b32 s27, 0x7f800001
	s_xor_b32 s12, exec_lo, -1
; %bb.599:                              ;   in Loop: Header=BB2_142 Depth=2
	s_or_b32 exec_lo, exec_lo, s29
	s_delay_alu instid0(SALU_CYCLE_1)
	s_and_b32 s12, s12, exec_lo
                                        ; implicit-def: $vgpr97
	s_or_saveexec_b32 s28, s28
	v_mov_b32_e32 v96, s27
	s_xor_b32 exec_lo, exec_lo, s28
	s_cbranch_execz .LBB2_153
.LBB2_600:                              ;   in Loop: Header=BB2_142 Depth=2
	v_cmp_ne_u16_e32 vcc_lo, 0, v97
	v_mov_b32_e32 v96, 0
	s_and_not1_b32 s12, s12, exec_lo
	s_and_b32 s27, vcc_lo, exec_lo
	s_delay_alu instid0(SALU_CYCLE_1)
	s_or_b32 s12, s12, s27
	s_or_b32 exec_lo, exec_lo, s28
	s_and_saveexec_b32 s27, s12
	s_cbranch_execnz .LBB2_154
	s_branch .LBB2_155
.LBB2_601:                              ;   in Loop: Header=BB2_142 Depth=2
	s_mov_b32 s12, -1
	s_mov_b32 s29, exec_lo
                                        ; implicit-def: $sgpr27
	v_cmpx_eq_u16_e32 0x80, v97
; %bb.602:                              ;   in Loop: Header=BB2_142 Depth=2
	s_mov_b32 s27, 0x7f800001
	s_xor_b32 s12, exec_lo, -1
; %bb.603:                              ;   in Loop: Header=BB2_142 Depth=2
	s_or_b32 exec_lo, exec_lo, s29
	s_delay_alu instid0(SALU_CYCLE_1)
	s_and_b32 s12, s12, exec_lo
	s_or_saveexec_b32 s28, s28
	v_mov_b32_e32 v98, s27
	s_xor_b32 exec_lo, exec_lo, s28
	s_cbranch_execz .LBB2_165
.LBB2_604:                              ;   in Loop: Header=BB2_142 Depth=2
	v_cmp_ne_u16_e32 vcc_lo, 0, v97
	v_mov_b32_e32 v98, 0
	s_and_not1_b32 s12, s12, exec_lo
	s_and_b32 s27, vcc_lo, exec_lo
	s_delay_alu instid0(SALU_CYCLE_1)
	s_or_b32 s12, s12, s27
	s_or_b32 exec_lo, exec_lo, s28
	s_and_saveexec_b32 s27, s12
	s_cbranch_execnz .LBB2_166
	s_branch .LBB2_167
.LBB2_605:                              ;   in Loop: Header=BB2_142 Depth=2
	s_mov_b32 s12, -1
	s_mov_b32 s29, exec_lo
                                        ; implicit-def: $sgpr27
	v_cmpx_eq_u16_e32 0x80, v99
; %bb.606:                              ;   in Loop: Header=BB2_142 Depth=2
	s_mov_b32 s27, 0x7f800001
	s_xor_b32 s12, exec_lo, -1
; %bb.607:                              ;   in Loop: Header=BB2_142 Depth=2
	s_or_b32 exec_lo, exec_lo, s29
	s_delay_alu instid0(SALU_CYCLE_1)
	s_and_b32 s12, s12, exec_lo
                                        ; implicit-def: $vgpr99
	s_or_saveexec_b32 s28, s28
	v_mov_b32_e32 v98, s27
	s_xor_b32 exec_lo, exec_lo, s28
	s_cbranch_execz .LBB2_177
.LBB2_608:                              ;   in Loop: Header=BB2_142 Depth=2
	v_cmp_ne_u16_e32 vcc_lo, 0, v99
	v_mov_b32_e32 v98, 0
	s_and_not1_b32 s12, s12, exec_lo
	s_and_b32 s27, vcc_lo, exec_lo
	s_delay_alu instid0(SALU_CYCLE_1)
	s_or_b32 s12, s12, s27
	s_or_b32 exec_lo, exec_lo, s28
	s_and_saveexec_b32 s27, s12
	s_cbranch_execnz .LBB2_178
	s_branch .LBB2_179
.LBB2_609:                              ;   in Loop: Header=BB2_142 Depth=2
	s_mov_b32 s12, -1
	s_mov_b32 s29, exec_lo
                                        ; implicit-def: $sgpr27
	v_cmpx_eq_u16_e32 0x80, v97
; %bb.610:                              ;   in Loop: Header=BB2_142 Depth=2
	s_mov_b32 s27, 0x7f800001
	s_xor_b32 s12, exec_lo, -1
; %bb.611:                              ;   in Loop: Header=BB2_142 Depth=2
	s_or_b32 exec_lo, exec_lo, s29
	s_delay_alu instid0(SALU_CYCLE_1)
	s_and_b32 s12, s12, exec_lo
	s_or_saveexec_b32 s28, s28
	v_mov_b32_e32 v98, s27
	s_xor_b32 exec_lo, exec_lo, s28
	s_cbranch_execz .LBB2_189
.LBB2_612:                              ;   in Loop: Header=BB2_142 Depth=2
	v_cmp_ne_u16_e32 vcc_lo, 0, v97
	v_mov_b32_e32 v98, 0
	s_and_not1_b32 s12, s12, exec_lo
	s_and_b32 s27, vcc_lo, exec_lo
	s_delay_alu instid0(SALU_CYCLE_1)
	s_or_b32 s12, s12, s27
	s_or_b32 exec_lo, exec_lo, s28
	s_and_saveexec_b32 s27, s12
	s_cbranch_execnz .LBB2_190
	s_branch .LBB2_191
.LBB2_613:                              ;   in Loop: Header=BB2_142 Depth=2
	s_mov_b32 s12, -1
	s_mov_b32 s29, exec_lo
                                        ; implicit-def: $sgpr27
	v_cmpx_eq_u16_e32 0x80, v97
; %bb.614:                              ;   in Loop: Header=BB2_142 Depth=2
	s_mov_b32 s27, 0x7f800001
	s_xor_b32 s12, exec_lo, -1
; %bb.615:                              ;   in Loop: Header=BB2_142 Depth=2
	s_or_b32 exec_lo, exec_lo, s29
	s_delay_alu instid0(SALU_CYCLE_1)
	s_and_b32 s12, s12, exec_lo
                                        ; implicit-def: $vgpr97
	s_or_saveexec_b32 s28, s28
	v_mov_b32_e32 v10, s27
	s_xor_b32 exec_lo, exec_lo, s28
	s_cbranch_execz .LBB2_201
.LBB2_616:                              ;   in Loop: Header=BB2_142 Depth=2
	v_cmp_ne_u16_e32 vcc_lo, 0, v97
	v_mov_b32_e32 v10, 0
	s_and_not1_b32 s12, s12, exec_lo
	s_and_b32 s27, vcc_lo, exec_lo
	s_delay_alu instid0(SALU_CYCLE_1)
	s_or_b32 s12, s12, s27
	s_or_b32 exec_lo, exec_lo, s28
	s_and_saveexec_b32 s27, s12
	s_cbranch_execnz .LBB2_202
	s_branch .LBB2_203
.LBB2_617:                              ;   in Loop: Header=BB2_142 Depth=2
	s_mov_b32 s12, -1
	s_mov_b32 s29, exec_lo
                                        ; implicit-def: $sgpr27
	v_cmpx_eq_u16_e32 0x80, v10
; %bb.618:                              ;   in Loop: Header=BB2_142 Depth=2
	s_mov_b32 s27, 0x7f800001
	s_xor_b32 s12, exec_lo, -1
; %bb.619:                              ;   in Loop: Header=BB2_142 Depth=2
	s_or_b32 exec_lo, exec_lo, s29
	s_delay_alu instid0(SALU_CYCLE_1)
	s_and_b32 s12, s12, exec_lo
	s_or_saveexec_b32 s28, s28
	v_mov_b32_e32 v97, s27
	s_xor_b32 exec_lo, exec_lo, s28
	s_cbranch_execz .LBB2_213
.LBB2_620:                              ;   in Loop: Header=BB2_142 Depth=2
	v_cmp_ne_u16_e32 vcc_lo, 0, v10
	v_mov_b32_e32 v97, 0
	s_and_not1_b32 s12, s12, exec_lo
	s_and_b32 s27, vcc_lo, exec_lo
	s_delay_alu instid0(SALU_CYCLE_1)
	s_or_b32 s12, s12, s27
	s_or_b32 exec_lo, exec_lo, s28
	s_and_saveexec_b32 s27, s12
	s_cbranch_execnz .LBB2_214
	s_branch .LBB2_215
.LBB2_621:                              ;   in Loop: Header=BB2_142 Depth=2
	s_mov_b32 s12, -1
	s_mov_b32 s29, exec_lo
                                        ; implicit-def: $sgpr27
	v_cmpx_eq_u16_e32 0x80, v98
; %bb.622:                              ;   in Loop: Header=BB2_142 Depth=2
	s_mov_b32 s27, 0x7f800001
	s_xor_b32 s12, exec_lo, -1
; %bb.623:                              ;   in Loop: Header=BB2_142 Depth=2
	s_or_b32 exec_lo, exec_lo, s29
	s_delay_alu instid0(SALU_CYCLE_1)
	s_and_b32 s12, s12, exec_lo
                                        ; implicit-def: $vgpr98
	s_or_saveexec_b32 s28, s28
	v_mov_b32_e32 v97, s27
	s_xor_b32 exec_lo, exec_lo, s28
	s_cbranch_execz .LBB2_225
.LBB2_624:                              ;   in Loop: Header=BB2_142 Depth=2
	v_cmp_ne_u16_e32 vcc_lo, 0, v98
	v_mov_b32_e32 v97, 0
	s_and_not1_b32 s12, s12, exec_lo
	s_and_b32 s27, vcc_lo, exec_lo
	s_delay_alu instid0(SALU_CYCLE_1)
	s_or_b32 s12, s12, s27
	s_or_b32 exec_lo, exec_lo, s28
	s_and_saveexec_b32 s27, s12
	s_cbranch_execnz .LBB2_226
	s_branch .LBB2_227
.LBB2_625:                              ;   in Loop: Header=BB2_142 Depth=2
	s_mov_b32 s12, -1
	s_mov_b32 s29, exec_lo
                                        ; implicit-def: $sgpr27
	v_cmpx_eq_u16_e32 0x80, v10
; %bb.626:                              ;   in Loop: Header=BB2_142 Depth=2
	s_mov_b32 s27, 0x7f800001
	s_xor_b32 s12, exec_lo, -1
; %bb.627:                              ;   in Loop: Header=BB2_142 Depth=2
	s_or_b32 exec_lo, exec_lo, s29
	s_delay_alu instid0(SALU_CYCLE_1)
	s_and_b32 s12, s12, exec_lo
	s_or_saveexec_b32 s28, s28
	v_mov_b32_e32 v97, s27
	s_xor_b32 exec_lo, exec_lo, s28
	s_cbranch_execz .LBB2_237
.LBB2_628:                              ;   in Loop: Header=BB2_142 Depth=2
	v_cmp_ne_u16_e32 vcc_lo, 0, v10
	v_mov_b32_e32 v97, 0
	s_and_not1_b32 s12, s12, exec_lo
	s_and_b32 s27, vcc_lo, exec_lo
	s_delay_alu instid0(SALU_CYCLE_1)
	s_or_b32 s12, s12, s27
	s_or_b32 exec_lo, exec_lo, s28
	s_and_saveexec_b32 s27, s12
	s_cbranch_execnz .LBB2_238
	s_branch .LBB2_239
.LBB2_629:                              ;   in Loop: Header=BB2_142 Depth=2
	s_mov_b32 s12, -1
	s_mov_b32 s29, exec_lo
                                        ; implicit-def: $sgpr27
	v_cmpx_eq_u16_e32 0x80, v11
; %bb.630:                              ;   in Loop: Header=BB2_142 Depth=2
	s_mov_b32 s27, 0x7f800001
	s_xor_b32 s12, exec_lo, -1
; %bb.631:                              ;   in Loop: Header=BB2_142 Depth=2
	s_or_b32 exec_lo, exec_lo, s29
	s_delay_alu instid0(SALU_CYCLE_1)
	s_and_b32 s12, s12, exec_lo
                                        ; implicit-def: $vgpr11
	s_or_saveexec_b32 s28, s28
	v_mov_b32_e32 v10, s27
	s_xor_b32 exec_lo, exec_lo, s28
	s_cbranch_execz .LBB2_249
.LBB2_632:                              ;   in Loop: Header=BB2_142 Depth=2
	v_cmp_ne_u16_e32 vcc_lo, 0, v11
	v_mov_b32_e32 v10, 0
	s_and_not1_b32 s12, s12, exec_lo
	s_and_b32 s27, vcc_lo, exec_lo
	s_delay_alu instid0(SALU_CYCLE_1)
	s_or_b32 s12, s12, s27
	s_or_b32 exec_lo, exec_lo, s28
	s_and_saveexec_b32 s27, s12
	s_cbranch_execnz .LBB2_250
	s_branch .LBB2_251
.LBB2_633:                              ;   in Loop: Header=BB2_142 Depth=2
	s_mov_b32 s12, -1
	s_mov_b32 s29, exec_lo
                                        ; implicit-def: $sgpr27
	v_cmpx_eq_u16_e32 0x80, v10
; %bb.634:                              ;   in Loop: Header=BB2_142 Depth=2
	s_mov_b32 s27, 0x7f800001
	s_xor_b32 s12, exec_lo, -1
; %bb.635:                              ;   in Loop: Header=BB2_142 Depth=2
	s_or_b32 exec_lo, exec_lo, s29
	s_delay_alu instid0(SALU_CYCLE_1)
	s_and_b32 s12, s12, exec_lo
	s_or_saveexec_b32 s28, s28
	v_mov_b32_e32 v11, s27
	s_xor_b32 exec_lo, exec_lo, s28
	s_cbranch_execz .LBB2_261
.LBB2_636:                              ;   in Loop: Header=BB2_142 Depth=2
	v_cmp_ne_u16_e32 vcc_lo, 0, v10
	v_mov_b32_e32 v11, 0
	s_and_not1_b32 s12, s12, exec_lo
	s_and_b32 s27, vcc_lo, exec_lo
	s_delay_alu instid0(SALU_CYCLE_1)
	s_or_b32 s12, s12, s27
	s_or_b32 exec_lo, exec_lo, s28
	s_and_saveexec_b32 s27, s12
	s_cbranch_execnz .LBB2_262
	s_branch .LBB2_263
.LBB2_637:                              ;   in Loop: Header=BB2_142 Depth=2
	s_mov_b32 s12, -1
	s_mov_b32 s29, exec_lo
                                        ; implicit-def: $sgpr27
	v_cmpx_eq_u16_e32 0x80, v97
; %bb.638:                              ;   in Loop: Header=BB2_142 Depth=2
	s_mov_b32 s27, 0x7f800001
	s_xor_b32 s12, exec_lo, -1
; %bb.639:                              ;   in Loop: Header=BB2_142 Depth=2
	s_or_b32 exec_lo, exec_lo, s29
	s_delay_alu instid0(SALU_CYCLE_1)
	s_and_b32 s12, s12, exec_lo
                                        ; implicit-def: $vgpr97
	s_or_saveexec_b32 s28, s28
	v_mov_b32_e32 v11, s27
	s_xor_b32 exec_lo, exec_lo, s28
	s_cbranch_execz .LBB2_273
.LBB2_640:                              ;   in Loop: Header=BB2_142 Depth=2
	v_cmp_ne_u16_e32 vcc_lo, 0, v97
	v_mov_b32_e32 v11, 0
	s_and_not1_b32 s12, s12, exec_lo
	s_and_b32 s27, vcc_lo, exec_lo
	s_delay_alu instid0(SALU_CYCLE_1)
	s_or_b32 s12, s12, s27
	s_or_b32 exec_lo, exec_lo, s28
	s_and_saveexec_b32 s27, s12
	s_cbranch_execnz .LBB2_274
	s_branch .LBB2_275
.LBB2_641:                              ;   in Loop: Header=BB2_142 Depth=2
	s_mov_b32 s12, -1
	s_mov_b32 s29, exec_lo
                                        ; implicit-def: $sgpr27
	v_cmpx_eq_u16_e32 0x80, v10
; %bb.642:                              ;   in Loop: Header=BB2_142 Depth=2
	s_mov_b32 s27, 0x7f800001
	s_xor_b32 s12, exec_lo, -1
; %bb.643:                              ;   in Loop: Header=BB2_142 Depth=2
	s_or_b32 exec_lo, exec_lo, s29
	s_delay_alu instid0(SALU_CYCLE_1)
	s_and_b32 s12, s12, exec_lo
	s_or_saveexec_b32 s28, s28
	v_mov_b32_e32 v11, s27
	s_xor_b32 exec_lo, exec_lo, s28
	s_cbranch_execz .LBB2_285
.LBB2_644:                              ;   in Loop: Header=BB2_142 Depth=2
	v_cmp_ne_u16_e32 vcc_lo, 0, v10
	v_mov_b32_e32 v11, 0
	s_and_not1_b32 s12, s12, exec_lo
	s_and_b32 s27, vcc_lo, exec_lo
	s_delay_alu instid0(SALU_CYCLE_1)
	s_or_b32 s12, s12, s27
	s_or_b32 exec_lo, exec_lo, s28
	s_and_saveexec_b32 s27, s12
	s_cbranch_execnz .LBB2_286
	s_branch .LBB2_287
.LBB2_645:                              ;   in Loop: Header=BB2_142 Depth=2
	s_mov_b32 s12, -1
	s_mov_b32 s29, exec_lo
                                        ; implicit-def: $sgpr27
	v_cmpx_eq_u16_e32 0x80, v11
; %bb.646:                              ;   in Loop: Header=BB2_142 Depth=2
	s_mov_b32 s27, 0x7f800001
	s_xor_b32 s12, exec_lo, -1
; %bb.647:                              ;   in Loop: Header=BB2_142 Depth=2
	s_or_b32 exec_lo, exec_lo, s29
	s_delay_alu instid0(SALU_CYCLE_1)
	s_and_b32 s12, s12, exec_lo
                                        ; implicit-def: $vgpr11
	s_or_saveexec_b32 s28, s28
	v_mov_b32_e32 v10, s27
	s_xor_b32 exec_lo, exec_lo, s28
	s_cbranch_execz .LBB2_297
.LBB2_648:                              ;   in Loop: Header=BB2_142 Depth=2
	v_cmp_ne_u16_e32 vcc_lo, 0, v11
	v_mov_b32_e32 v10, 0
	s_and_not1_b32 s12, s12, exec_lo
	s_and_b32 s27, vcc_lo, exec_lo
	s_delay_alu instid0(SALU_CYCLE_1)
	s_or_b32 s12, s12, s27
	s_or_b32 exec_lo, exec_lo, s28
	s_and_saveexec_b32 s27, s12
	s_cbranch_execnz .LBB2_298
	s_branch .LBB2_299
.LBB2_649:                              ;   in Loop: Header=BB2_142 Depth=2
	s_mov_b32 s12, -1
	s_mov_b32 s29, exec_lo
                                        ; implicit-def: $sgpr27
	v_cmpx_eq_u16_e32 0x80, v10
; %bb.650:                              ;   in Loop: Header=BB2_142 Depth=2
	s_mov_b32 s27, 0x7f800001
	s_xor_b32 s12, exec_lo, -1
; %bb.651:                              ;   in Loop: Header=BB2_142 Depth=2
	s_or_b32 exec_lo, exec_lo, s29
	s_delay_alu instid0(SALU_CYCLE_1)
	s_and_b32 s12, s12, exec_lo
	s_or_saveexec_b32 s28, s28
	v_mov_b32_e32 v11, s27
	s_xor_b32 exec_lo, exec_lo, s28
	s_cbranch_execz .LBB2_309
.LBB2_652:                              ;   in Loop: Header=BB2_142 Depth=2
	v_cmp_ne_u16_e32 vcc_lo, 0, v10
	v_mov_b32_e32 v11, 0
	s_and_not1_b32 s12, s12, exec_lo
	s_and_b32 s27, vcc_lo, exec_lo
	s_delay_alu instid0(SALU_CYCLE_1)
	s_or_b32 s12, s12, s27
	s_or_b32 exec_lo, exec_lo, s28
	s_and_saveexec_b32 s27, s12
	s_cbranch_execnz .LBB2_310
	s_branch .LBB2_311
.LBB2_653:                              ;   in Loop: Header=BB2_142 Depth=2
	s_mov_b32 s12, -1
	s_mov_b32 s29, exec_lo
                                        ; implicit-def: $sgpr27
	v_cmpx_eq_u16_e32 0x80, v12
; %bb.654:                              ;   in Loop: Header=BB2_142 Depth=2
	s_mov_b32 s27, 0x7f800001
	s_xor_b32 s12, exec_lo, -1
; %bb.655:                              ;   in Loop: Header=BB2_142 Depth=2
	s_or_b32 exec_lo, exec_lo, s29
	s_delay_alu instid0(SALU_CYCLE_1)
	s_and_b32 s12, s12, exec_lo
                                        ; implicit-def: $vgpr12
	s_or_saveexec_b32 s28, s28
	v_mov_b32_e32 v11, s27
	s_xor_b32 exec_lo, exec_lo, s28
	s_cbranch_execz .LBB2_321
.LBB2_656:                              ;   in Loop: Header=BB2_142 Depth=2
	v_cmp_ne_u16_e32 vcc_lo, 0, v12
	v_mov_b32_e32 v11, 0
	s_and_not1_b32 s12, s12, exec_lo
	s_and_b32 s27, vcc_lo, exec_lo
	s_delay_alu instid0(SALU_CYCLE_1)
	s_or_b32 s12, s12, s27
	s_or_b32 exec_lo, exec_lo, s28
	s_and_saveexec_b32 s27, s12
	s_cbranch_execnz .LBB2_322
	s_branch .LBB2_323
.LBB2_657:                              ;   in Loop: Header=BB2_142 Depth=2
	s_mov_b32 s12, -1
	s_mov_b32 s29, exec_lo
                                        ; implicit-def: $sgpr27
	v_cmpx_eq_u16_e32 0x80, v10
; %bb.658:                              ;   in Loop: Header=BB2_142 Depth=2
	s_mov_b32 s27, 0x7f800001
	s_xor_b32 s12, exec_lo, -1
; %bb.659:                              ;   in Loop: Header=BB2_142 Depth=2
	s_or_b32 exec_lo, exec_lo, s29
	s_delay_alu instid0(SALU_CYCLE_1)
	s_and_b32 s12, s12, exec_lo
	s_or_saveexec_b32 s28, s28
	v_mov_b32_e32 v11, s27
	s_xor_b32 exec_lo, exec_lo, s28
	s_cbranch_execz .LBB2_333
.LBB2_660:                              ;   in Loop: Header=BB2_142 Depth=2
	v_cmp_ne_u16_e32 vcc_lo, 0, v10
	v_mov_b32_e32 v11, 0
	s_and_not1_b32 s12, s12, exec_lo
	s_and_b32 s27, vcc_lo, exec_lo
	s_delay_alu instid0(SALU_CYCLE_1)
	s_or_b32 s12, s12, s27
	s_or_b32 exec_lo, exec_lo, s28
	s_and_saveexec_b32 s27, s12
	s_cbranch_execnz .LBB2_334
	s_branch .LBB2_335
.LBB2_661:                              ;   in Loop: Header=BB2_142 Depth=2
	s_mov_b32 s12, -1
	s_mov_b32 s28, exec_lo
                                        ; implicit-def: $sgpr26
	v_cmpx_eq_u16_e64 0x80, v129
; %bb.662:                              ;   in Loop: Header=BB2_142 Depth=2
	s_mov_b32 s26, 0x7f800001
	s_xor_b32 s12, exec_lo, -1
; %bb.663:                              ;   in Loop: Header=BB2_142 Depth=2
	s_or_b32 exec_lo, exec_lo, s28
	s_delay_alu instid0(SALU_CYCLE_1)
	s_and_b32 s12, s12, exec_lo
                                        ; implicit-def: $vgpr129
	s_or_saveexec_b32 s27, s27
	v_mov_b32_e32 v128, s26
	s_xor_b32 exec_lo, exec_lo, s27
	s_cbranch_execz .LBB2_345
.LBB2_664:                              ;   in Loop: Header=BB2_142 Depth=2
	v_cmp_ne_u16_e64 vcc_lo, 0, v129
	v_mov_b32_e32 v128, 0
	s_and_not1_b32 s12, s12, exec_lo
	s_delay_alu instid0(VALU_DEP_2) | instskip(NEXT) | instid1(SALU_CYCLE_1)
	s_and_b32 s26, vcc_lo, exec_lo
	s_or_b32 s12, s12, s26
	s_or_b32 exec_lo, exec_lo, s27
	s_and_saveexec_b32 s26, s12
	s_cbranch_execnz .LBB2_346
	s_branch .LBB2_347
.LBB2_665:                              ;   in Loop: Header=BB2_142 Depth=2
	s_mov_b32 s12, -1
	s_mov_b32 s28, exec_lo
                                        ; implicit-def: $sgpr26
	v_cmpx_eq_u16_e64 0x80, v129
; %bb.666:                              ;   in Loop: Header=BB2_142 Depth=2
	s_mov_b32 s26, 0x7f800001
	s_xor_b32 s12, exec_lo, -1
; %bb.667:                              ;   in Loop: Header=BB2_142 Depth=2
	s_or_b32 exec_lo, exec_lo, s28
	s_delay_alu instid0(SALU_CYCLE_1)
	s_and_b32 s12, s12, exec_lo
                                        ; implicit-def: $vgpr129
	s_or_saveexec_b32 s27, s27
	v_mov_b32_e32 v96, s26
	s_xor_b32 exec_lo, exec_lo, s27
	s_cbranch_execz .LBB2_349
.LBB2_668:                              ;   in Loop: Header=BB2_142 Depth=2
	v_cmp_ne_u16_e64 vcc_lo, 0, v129
	v_mov_b32_e32 v96, 0
	s_and_not1_b32 s12, s12, exec_lo
	s_delay_alu instid0(VALU_DEP_2) | instskip(NEXT) | instid1(SALU_CYCLE_1)
	s_and_b32 s26, vcc_lo, exec_lo
	s_or_b32 s12, s12, s26
	s_or_b32 exec_lo, exec_lo, s27
	s_and_saveexec_b32 s26, s12
	s_cbranch_execnz .LBB2_350
	s_branch .LBB2_351
.LBB2_669:                              ;   in Loop: Header=BB2_142 Depth=2
	s_mov_b32 s12, -1
	s_mov_b32 s28, exec_lo
                                        ; implicit-def: $sgpr26
	v_cmpx_eq_u16_e64 0x80, v129
; %bb.670:                              ;   in Loop: Header=BB2_142 Depth=2
	s_mov_b32 s26, 0x7f800001
	s_xor_b32 s12, exec_lo, -1
; %bb.671:                              ;   in Loop: Header=BB2_142 Depth=2
	s_or_b32 exec_lo, exec_lo, s28
	s_delay_alu instid0(SALU_CYCLE_1)
	s_and_b32 s12, s12, exec_lo
                                        ; implicit-def: $vgpr129
	s_or_saveexec_b32 s27, s27
	v_mov_b32_e32 v128, s26
	s_xor_b32 exec_lo, exec_lo, s27
	s_cbranch_execz .LBB2_361
.LBB2_672:                              ;   in Loop: Header=BB2_142 Depth=2
	v_cmp_ne_u16_e64 vcc_lo, 0, v129
	v_mov_b32_e32 v128, 0
	s_and_not1_b32 s12, s12, exec_lo
	s_delay_alu instid0(VALU_DEP_2) | instskip(NEXT) | instid1(SALU_CYCLE_1)
	s_and_b32 s26, vcc_lo, exec_lo
	s_or_b32 s12, s12, s26
	s_or_b32 exec_lo, exec_lo, s27
	s_and_saveexec_b32 s26, s12
	s_cbranch_execnz .LBB2_362
	s_branch .LBB2_363
.LBB2_673:                              ;   in Loop: Header=BB2_142 Depth=2
	s_mov_b32 s12, -1
	s_mov_b32 s28, exec_lo
                                        ; implicit-def: $sgpr26
	v_cmpx_eq_u16_e32 0x80, v100
; %bb.674:                              ;   in Loop: Header=BB2_142 Depth=2
	s_mov_b32 s26, 0x7f800001
	s_xor_b32 s12, exec_lo, -1
; %bb.675:                              ;   in Loop: Header=BB2_142 Depth=2
	s_or_b32 exec_lo, exec_lo, s28
	s_delay_alu instid0(SALU_CYCLE_1)
	s_and_b32 s12, s12, exec_lo
	s_or_saveexec_b32 s27, s27
	v_mov_b32_e32 v129, s26
	s_xor_b32 exec_lo, exec_lo, s27
	s_cbranch_execz .LBB2_365
.LBB2_676:                              ;   in Loop: Header=BB2_142 Depth=2
	v_cmp_ne_u16_e32 vcc_lo, 0, v100
	v_mov_b32_e32 v129, 0
	s_and_not1_b32 s12, s12, exec_lo
	s_and_b32 s26, vcc_lo, exec_lo
	s_delay_alu instid0(SALU_CYCLE_1)
	s_or_b32 s12, s12, s26
	s_or_b32 exec_lo, exec_lo, s27
	s_and_saveexec_b32 s26, s12
	s_cbranch_execnz .LBB2_366
	s_branch .LBB2_367
.LBB2_677:                              ;   in Loop: Header=BB2_142 Depth=2
	s_mov_b32 s12, -1
	s_mov_b32 s28, exec_lo
                                        ; implicit-def: $sgpr26
	v_cmpx_eq_u16_e64 0x80, v129
; %bb.678:                              ;   in Loop: Header=BB2_142 Depth=2
	s_mov_b32 s26, 0x7f800001
	s_xor_b32 s12, exec_lo, -1
; %bb.679:                              ;   in Loop: Header=BB2_142 Depth=2
	s_or_b32 exec_lo, exec_lo, s28
	s_delay_alu instid0(SALU_CYCLE_1)
	s_and_b32 s12, s12, exec_lo
                                        ; implicit-def: $vgpr129
	s_or_saveexec_b32 s27, s27
	v_mov_b32_e32 v128, s26
	s_xor_b32 exec_lo, exec_lo, s27
	s_cbranch_execz .LBB2_377
.LBB2_680:                              ;   in Loop: Header=BB2_142 Depth=2
	v_cmp_ne_u16_e64 vcc_lo, 0, v129
	v_mov_b32_e32 v128, 0
	s_and_not1_b32 s12, s12, exec_lo
	s_delay_alu instid0(VALU_DEP_2) | instskip(NEXT) | instid1(SALU_CYCLE_1)
	s_and_b32 s26, vcc_lo, exec_lo
	s_or_b32 s12, s12, s26
	s_or_b32 exec_lo, exec_lo, s27
	s_and_saveexec_b32 s26, s12
	s_cbranch_execnz .LBB2_378
	s_branch .LBB2_379
.LBB2_681:                              ;   in Loop: Header=BB2_142 Depth=2
	s_mov_b32 s12, -1
	s_mov_b32 s28, exec_lo
                                        ; implicit-def: $sgpr26
	v_cmpx_eq_u16_e64 0x80, v130
; %bb.682:                              ;   in Loop: Header=BB2_142 Depth=2
	s_mov_b32 s26, 0x7f800001
	s_xor_b32 s12, exec_lo, -1
; %bb.683:                              ;   in Loop: Header=BB2_142 Depth=2
	s_or_b32 exec_lo, exec_lo, s28
	s_delay_alu instid0(SALU_CYCLE_1)
	s_and_b32 s12, s12, exec_lo
                                        ; implicit-def: $vgpr130
	s_or_saveexec_b32 s27, s27
	v_mov_b32_e32 v129, s26
	s_xor_b32 exec_lo, exec_lo, s27
	s_cbranch_execz .LBB2_381
.LBB2_684:                              ;   in Loop: Header=BB2_142 Depth=2
	v_cmp_ne_u16_e64 vcc_lo, 0, v130
	v_mov_b32_e32 v129, 0
	s_and_not1_b32 s12, s12, exec_lo
	s_delay_alu instid0(VALU_DEP_2) | instskip(NEXT) | instid1(SALU_CYCLE_1)
	s_and_b32 s26, vcc_lo, exec_lo
	s_or_b32 s12, s12, s26
	s_or_b32 exec_lo, exec_lo, s27
	s_and_saveexec_b32 s26, s12
	s_cbranch_execnz .LBB2_382
	s_branch .LBB2_383
.LBB2_685:                              ;   in Loop: Header=BB2_142 Depth=2
	s_mov_b32 s12, -1
	s_mov_b32 s28, exec_lo
                                        ; implicit-def: $sgpr26
	v_cmpx_eq_u16_e64 0x80, v129
; %bb.686:                              ;   in Loop: Header=BB2_142 Depth=2
	s_mov_b32 s26, 0x7f800001
	s_xor_b32 s12, exec_lo, -1
; %bb.687:                              ;   in Loop: Header=BB2_142 Depth=2
	s_or_b32 exec_lo, exec_lo, s28
	s_delay_alu instid0(SALU_CYCLE_1)
	s_and_b32 s12, s12, exec_lo
	s_or_saveexec_b32 s27, s27
	v_mov_b32_e32 v128, s26
	s_xor_b32 exec_lo, exec_lo, s27
	s_cbranch_execz .LBB2_393
.LBB2_688:                              ;   in Loop: Header=BB2_142 Depth=2
	v_cmp_ne_u16_e64 vcc_lo, 0, v129
	v_mov_b32_e32 v128, 0
	s_and_not1_b32 s12, s12, exec_lo
	s_delay_alu instid0(VALU_DEP_2) | instskip(NEXT) | instid1(SALU_CYCLE_1)
	s_and_b32 s26, vcc_lo, exec_lo
	s_or_b32 s12, s12, s26
	s_or_b32 exec_lo, exec_lo, s27
	s_and_saveexec_b32 s26, s12
	s_cbranch_execnz .LBB2_394
	s_branch .LBB2_395
.LBB2_689:                              ;   in Loop: Header=BB2_142 Depth=2
	s_mov_b32 s12, -1
	s_mov_b32 s28, exec_lo
                                        ; implicit-def: $sgpr26
	v_cmpx_eq_u16_e32 0x80, v117
; %bb.690:                              ;   in Loop: Header=BB2_142 Depth=2
	s_mov_b32 s26, 0x7f800001
	s_xor_b32 s12, exec_lo, -1
; %bb.691:                              ;   in Loop: Header=BB2_142 Depth=2
	s_or_b32 exec_lo, exec_lo, s28
	s_delay_alu instid0(SALU_CYCLE_1)
	s_and_b32 s12, s12, exec_lo
	s_or_saveexec_b32 s27, s27
	v_mov_b32_e32 v129, s26
	s_xor_b32 exec_lo, exec_lo, s27
	s_cbranch_execz .LBB2_397
.LBB2_692:                              ;   in Loop: Header=BB2_142 Depth=2
	v_cmp_ne_u16_e32 vcc_lo, 0, v117
	v_mov_b32_e32 v129, 0
	s_and_not1_b32 s12, s12, exec_lo
	s_and_b32 s26, vcc_lo, exec_lo
	s_delay_alu instid0(SALU_CYCLE_1)
	s_or_b32 s12, s12, s26
	s_or_b32 exec_lo, exec_lo, s27
	s_and_saveexec_b32 s26, s12
	s_cbranch_execnz .LBB2_398
	s_branch .LBB2_399
.LBB2_693:                              ;   in Loop: Header=BB2_142 Depth=2
	s_mov_b32 s12, -1
	s_mov_b32 s28, exec_lo
                                        ; implicit-def: $sgpr26
	v_cmpx_eq_u16_e32 0x80, v117
; %bb.694:                              ;   in Loop: Header=BB2_142 Depth=2
	s_mov_b32 s26, 0x7f800001
	s_xor_b32 s12, exec_lo, -1
; %bb.695:                              ;   in Loop: Header=BB2_142 Depth=2
	s_or_b32 exec_lo, exec_lo, s28
	s_delay_alu instid0(SALU_CYCLE_1)
	s_and_b32 s12, s12, exec_lo
                                        ; implicit-def: $vgpr117
	s_or_saveexec_b32 s27, s27
	v_mov_b32_e32 v116, s26
	s_xor_b32 exec_lo, exec_lo, s27
	s_cbranch_execz .LBB2_409
.LBB2_696:                              ;   in Loop: Header=BB2_142 Depth=2
	v_cmp_ne_u16_e32 vcc_lo, 0, v117
	v_mov_b32_e32 v116, 0
	s_and_not1_b32 s12, s12, exec_lo
	s_and_b32 s26, vcc_lo, exec_lo
	s_delay_alu instid0(SALU_CYCLE_1)
	s_or_b32 s12, s12, s26
	s_or_b32 exec_lo, exec_lo, s27
	s_and_saveexec_b32 s26, s12
	s_cbranch_execnz .LBB2_410
	s_branch .LBB2_411
.LBB2_697:                              ;   in Loop: Header=BB2_142 Depth=2
	s_mov_b32 s12, -1
	s_mov_b32 s28, exec_lo
                                        ; implicit-def: $sgpr26
	v_cmpx_eq_u16_e64 0x80, v128
; %bb.698:                              ;   in Loop: Header=BB2_142 Depth=2
	s_mov_b32 s26, 0x7f800001
	s_xor_b32 s12, exec_lo, -1
; %bb.699:                              ;   in Loop: Header=BB2_142 Depth=2
	s_or_b32 exec_lo, exec_lo, s28
	s_delay_alu instid0(SALU_CYCLE_1)
	s_and_b32 s12, s12, exec_lo
                                        ; implicit-def: $vgpr128
	s_or_saveexec_b32 s27, s27
	v_mov_b32_e32 v117, s26
	s_xor_b32 exec_lo, exec_lo, s27
	s_cbranch_execz .LBB2_413
.LBB2_700:                              ;   in Loop: Header=BB2_142 Depth=2
	v_cmp_ne_u16_e64 vcc_lo, 0, v128
	v_mov_b32_e32 v117, 0
	s_and_not1_b32 s12, s12, exec_lo
	s_delay_alu instid0(VALU_DEP_2) | instskip(NEXT) | instid1(SALU_CYCLE_1)
	s_and_b32 s26, vcc_lo, exec_lo
	s_or_b32 s12, s12, s26
	s_or_b32 exec_lo, exec_lo, s27
	s_and_saveexec_b32 s26, s12
	s_cbranch_execnz .LBB2_414
	s_branch .LBB2_415
.LBB2_701:                              ;   in Loop: Header=BB2_142 Depth=2
	s_mov_b32 s12, -1
	s_mov_b32 s28, exec_lo
                                        ; implicit-def: $sgpr26
	v_cmpx_eq_u16_e64 0x80, v128
; %bb.702:                              ;   in Loop: Header=BB2_142 Depth=2
	s_mov_b32 s26, 0x7f800001
	s_xor_b32 s12, exec_lo, -1
; %bb.703:                              ;   in Loop: Header=BB2_142 Depth=2
	s_or_b32 exec_lo, exec_lo, s28
	s_delay_alu instid0(SALU_CYCLE_1)
	s_and_b32 s12, s12, exec_lo
	s_or_saveexec_b32 s27, s27
	v_mov_b32_e32 v117, s26
	s_xor_b32 exec_lo, exec_lo, s27
	s_cbranch_execz .LBB2_425
.LBB2_704:                              ;   in Loop: Header=BB2_142 Depth=2
	v_cmp_ne_u16_e64 vcc_lo, 0, v128
	v_mov_b32_e32 v117, 0
	s_and_not1_b32 s12, s12, exec_lo
	s_delay_alu instid0(VALU_DEP_2) | instskip(NEXT) | instid1(SALU_CYCLE_1)
	s_and_b32 s26, vcc_lo, exec_lo
	s_or_b32 s12, s12, s26
	s_or_b32 exec_lo, exec_lo, s27
	s_and_saveexec_b32 s26, s12
	s_cbranch_execnz .LBB2_426
	s_branch .LBB2_427
.LBB2_705:                              ;   in Loop: Header=BB2_142 Depth=2
	s_mov_b32 s12, -1
	s_mov_b32 s28, exec_lo
                                        ; implicit-def: $sgpr26
	v_cmpx_eq_u16_e64 0x80, v128
; %bb.706:                              ;   in Loop: Header=BB2_142 Depth=2
	s_mov_b32 s26, 0x7f800001
	s_xor_b32 s12, exec_lo, -1
; %bb.707:                              ;   in Loop: Header=BB2_142 Depth=2
	s_or_b32 exec_lo, exec_lo, s28
	s_delay_alu instid0(SALU_CYCLE_1)
	s_and_b32 s12, s12, exec_lo
	s_or_saveexec_b32 s27, s27
	v_mov_b32_e32 v129, s26
	s_xor_b32 exec_lo, exec_lo, s27
	s_cbranch_execz .LBB2_429
.LBB2_708:                              ;   in Loop: Header=BB2_142 Depth=2
	v_cmp_ne_u16_e64 vcc_lo, 0, v128
	v_mov_b32_e32 v129, 0
	s_and_not1_b32 s12, s12, exec_lo
	s_delay_alu instid0(VALU_DEP_2) | instskip(NEXT) | instid1(SALU_CYCLE_1)
	s_and_b32 s26, vcc_lo, exec_lo
	s_or_b32 s12, s12, s26
	s_or_b32 exec_lo, exec_lo, s27
	s_and_saveexec_b32 s26, s12
	s_cbranch_execnz .LBB2_430
	s_branch .LBB2_431
.LBB2_709:                              ;   in Loop: Header=BB2_142 Depth=2
	s_mov_b32 s12, -1
	s_mov_b32 s28, exec_lo
                                        ; implicit-def: $sgpr26
	v_cmpx_eq_u16_e64 0x80, v128
; %bb.710:                              ;   in Loop: Header=BB2_142 Depth=2
	s_mov_b32 s26, 0x7f800001
	s_xor_b32 s12, exec_lo, -1
; %bb.711:                              ;   in Loop: Header=BB2_142 Depth=2
	s_or_b32 exec_lo, exec_lo, s28
	s_delay_alu instid0(SALU_CYCLE_1)
	s_and_b32 s12, s12, exec_lo
                                        ; implicit-def: $vgpr128
	s_or_saveexec_b32 s27, s27
	v_mov_b32_e32 v115, s26
	s_xor_b32 exec_lo, exec_lo, s27
	s_cbranch_execz .LBB2_441
.LBB2_712:                              ;   in Loop: Header=BB2_142 Depth=2
	v_cmp_ne_u16_e64 vcc_lo, 0, v128
	v_mov_b32_e32 v115, 0
	s_and_not1_b32 s12, s12, exec_lo
	s_delay_alu instid0(VALU_DEP_2) | instskip(NEXT) | instid1(SALU_CYCLE_1)
	s_and_b32 s26, vcc_lo, exec_lo
	s_or_b32 s12, s12, s26
	s_or_b32 exec_lo, exec_lo, s27
	v_lshl_or_b32 v118, v118, 16, v119
	s_and_saveexec_b32 s26, s12
	s_cbranch_execnz .LBB2_442
	s_branch .LBB2_443
.LBB2_713:                              ;   in Loop: Header=BB2_142 Depth=2
	s_mov_b32 s12, -1
	s_mov_b32 s28, exec_lo
                                        ; implicit-def: $sgpr26
	v_cmpx_eq_u16_e64 0x80, v129
; %bb.714:                              ;   in Loop: Header=BB2_142 Depth=2
	s_mov_b32 s26, 0x7f800001
	s_xor_b32 s12, exec_lo, -1
; %bb.715:                              ;   in Loop: Header=BB2_142 Depth=2
	s_or_b32 exec_lo, exec_lo, s28
	s_delay_alu instid0(SALU_CYCLE_1)
	s_and_b32 s12, s12, exec_lo
                                        ; implicit-def: $vgpr129
	s_or_saveexec_b32 s27, s27
	v_mov_b32_e32 v128, s26
	s_xor_b32 exec_lo, exec_lo, s27
	s_cbranch_execz .LBB2_445
.LBB2_716:                              ;   in Loop: Header=BB2_142 Depth=2
	v_cmp_ne_u16_e64 vcc_lo, 0, v129
	v_mov_b32_e32 v128, 0
	s_and_not1_b32 s12, s12, exec_lo
	s_delay_alu instid0(VALU_DEP_2) | instskip(NEXT) | instid1(SALU_CYCLE_1)
	s_and_b32 s26, vcc_lo, exec_lo
	s_or_b32 s12, s12, s26
	s_or_b32 exec_lo, exec_lo, s27
	s_and_saveexec_b32 s26, s12
	s_cbranch_execnz .LBB2_446
	s_branch .LBB2_447
.LBB2_717:                              ;   in Loop: Header=BB2_142 Depth=2
	s_mov_b32 s12, -1
	s_mov_b32 s28, exec_lo
                                        ; implicit-def: $sgpr26
	v_cmpx_eq_u16_e64 0x80, v128
; %bb.718:                              ;   in Loop: Header=BB2_142 Depth=2
	s_mov_b32 s26, 0x7f800001
	s_xor_b32 s12, exec_lo, -1
; %bb.719:                              ;   in Loop: Header=BB2_142 Depth=2
	s_or_b32 exec_lo, exec_lo, s28
	s_delay_alu instid0(SALU_CYCLE_1)
	s_and_b32 s12, s12, exec_lo
	s_or_saveexec_b32 s27, s27
	v_mov_b32_e32 v119, s26
	s_xor_b32 exec_lo, exec_lo, s27
	s_cbranch_execz .LBB2_457
.LBB2_720:                              ;   in Loop: Header=BB2_142 Depth=2
	v_cmp_ne_u16_e64 vcc_lo, 0, v128
	v_mov_b32_e32 v119, 0
	s_and_not1_b32 s12, s12, exec_lo
	s_delay_alu instid0(VALU_DEP_2) | instskip(NEXT) | instid1(SALU_CYCLE_1)
	s_and_b32 s26, vcc_lo, exec_lo
	s_or_b32 s12, s12, s26
	s_or_b32 exec_lo, exec_lo, s27
	s_and_saveexec_b32 s26, s12
	s_cbranch_execnz .LBB2_458
	s_branch .LBB2_459
.LBB2_721:                              ;   in Loop: Header=BB2_142 Depth=2
	s_mov_b32 s12, -1
	s_mov_b32 s28, exec_lo
                                        ; implicit-def: $sgpr26
	v_cmpx_eq_u16_e32 0x80, v118
; %bb.722:                              ;   in Loop: Header=BB2_142 Depth=2
	s_mov_b32 s26, 0x7f800001
	s_xor_b32 s12, exec_lo, -1
; %bb.723:                              ;   in Loop: Header=BB2_142 Depth=2
	s_or_b32 exec_lo, exec_lo, s28
	s_delay_alu instid0(SALU_CYCLE_1)
	s_and_b32 s12, s12, exec_lo
	s_or_saveexec_b32 s27, s27
	v_mov_b32_e32 v128, s26
	s_xor_b32 exec_lo, exec_lo, s27
	s_cbranch_execz .LBB2_461
.LBB2_724:                              ;   in Loop: Header=BB2_142 Depth=2
	v_cmp_ne_u16_e32 vcc_lo, 0, v118
	v_mov_b32_e32 v128, 0
	s_and_not1_b32 s12, s12, exec_lo
	s_and_b32 s26, vcc_lo, exec_lo
	s_delay_alu instid0(SALU_CYCLE_1)
	s_or_b32 s12, s12, s26
	s_or_b32 exec_lo, exec_lo, s27
	s_and_saveexec_b32 s26, s12
	s_cbranch_execnz .LBB2_462
	s_branch .LBB2_463
.LBB2_725:                              ;   in Loop: Header=BB2_142 Depth=2
	s_mov_b32 s12, -1
	s_mov_b32 s28, exec_lo
                                        ; implicit-def: $sgpr26
	v_cmpx_eq_u16_e32 0x80, v119
; %bb.726:                              ;   in Loop: Header=BB2_142 Depth=2
	s_mov_b32 s26, 0x7f800001
	s_xor_b32 s12, exec_lo, -1
; %bb.727:                              ;   in Loop: Header=BB2_142 Depth=2
	s_or_b32 exec_lo, exec_lo, s28
	s_delay_alu instid0(SALU_CYCLE_1)
	s_and_b32 s12, s12, exec_lo
                                        ; implicit-def: $vgpr119
	s_or_saveexec_b32 s27, s27
	v_mov_b32_e32 v118, s26
	s_xor_b32 exec_lo, exec_lo, s27
	s_cbranch_execz .LBB2_473
.LBB2_728:                              ;   in Loop: Header=BB2_142 Depth=2
	v_cmp_ne_u16_e32 vcc_lo, 0, v119
	v_mov_b32_e32 v118, 0
	s_and_not1_b32 s12, s12, exec_lo
	s_and_b32 s26, vcc_lo, exec_lo
	s_delay_alu instid0(SALU_CYCLE_1)
	s_or_b32 s12, s12, s26
	s_or_b32 exec_lo, exec_lo, s27
	s_and_saveexec_b32 s26, s12
	s_cbranch_execnz .LBB2_474
	s_branch .LBB2_475
.LBB2_729:                              ;   in Loop: Header=BB2_142 Depth=2
	s_mov_b32 s12, -1
	s_mov_b32 s28, exec_lo
                                        ; implicit-def: $sgpr26
	v_cmpx_eq_u16_e32 0x80, v119
; %bb.730:                              ;   in Loop: Header=BB2_142 Depth=2
	s_mov_b32 s26, 0x7f800001
	s_xor_b32 s12, exec_lo, -1
; %bb.731:                              ;   in Loop: Header=BB2_142 Depth=2
	s_or_b32 exec_lo, exec_lo, s28
	s_delay_alu instid0(SALU_CYCLE_1)
	s_and_b32 s12, s12, exec_lo
                                        ; implicit-def: $vgpr119
	s_or_saveexec_b32 s27, s27
	v_mov_b32_e32 v113, s26
	s_xor_b32 exec_lo, exec_lo, s27
	s_cbranch_execz .LBB2_477
.LBB2_732:                              ;   in Loop: Header=BB2_142 Depth=2
	v_cmp_ne_u16_e32 vcc_lo, 0, v119
	v_mov_b32_e32 v113, 0
	s_and_not1_b32 s12, s12, exec_lo
	s_and_b32 s26, vcc_lo, exec_lo
	s_delay_alu instid0(SALU_CYCLE_1)
	s_or_b32 s12, s12, s26
	s_or_b32 exec_lo, exec_lo, s27
	s_and_saveexec_b32 s26, s12
	s_cbranch_execnz .LBB2_478
	s_branch .LBB2_479
.LBB2_733:                              ;   in Loop: Header=BB2_142 Depth=2
	s_mov_b32 s12, -1
	s_mov_b32 s28, exec_lo
                                        ; implicit-def: $sgpr26
	v_cmpx_eq_u16_e32 0x80, v119
; %bb.734:                              ;   in Loop: Header=BB2_142 Depth=2
	s_mov_b32 s26, 0x7f800001
	s_xor_b32 s12, exec_lo, -1
; %bb.735:                              ;   in Loop: Header=BB2_142 Depth=2
	s_or_b32 exec_lo, exec_lo, s28
	s_delay_alu instid0(SALU_CYCLE_1)
	s_and_b32 s12, s12, exec_lo
                                        ; implicit-def: $vgpr119
	s_or_saveexec_b32 s27, s27
	v_mov_b32_e32 v118, s26
	s_xor_b32 exec_lo, exec_lo, s27
	s_cbranch_execz .LBB2_489
.LBB2_736:                              ;   in Loop: Header=BB2_142 Depth=2
	v_cmp_ne_u16_e32 vcc_lo, 0, v119
	v_mov_b32_e32 v118, 0
	s_and_not1_b32 s12, s12, exec_lo
	s_and_b32 s26, vcc_lo, exec_lo
	s_delay_alu instid0(SALU_CYCLE_1)
	s_or_b32 s12, s12, s26
	s_or_b32 exec_lo, exec_lo, s27
	s_and_saveexec_b32 s26, s12
	s_cbranch_execnz .LBB2_490
	s_branch .LBB2_491
.LBB2_737:                              ;   in Loop: Header=BB2_142 Depth=2
	s_mov_b32 s12, -1
	s_mov_b32 s28, exec_lo
                                        ; implicit-def: $sgpr26
	v_cmpx_eq_u16_e32 0x80, v103
; %bb.738:                              ;   in Loop: Header=BB2_142 Depth=2
	s_mov_b32 s26, 0x7f800001
	s_xor_b32 s12, exec_lo, -1
; %bb.739:                              ;   in Loop: Header=BB2_142 Depth=2
	s_or_b32 exec_lo, exec_lo, s28
	s_delay_alu instid0(SALU_CYCLE_1)
	s_and_b32 s12, s12, exec_lo
	s_or_saveexec_b32 s27, s27
	v_mov_b32_e32 v119, s26
	s_xor_b32 exec_lo, exec_lo, s27
	s_cbranch_execz .LBB2_493
.LBB2_740:                              ;   in Loop: Header=BB2_142 Depth=2
	v_cmp_ne_u16_e32 vcc_lo, 0, v103
	v_mov_b32_e32 v119, 0
	s_and_not1_b32 s12, s12, exec_lo
	s_and_b32 s26, vcc_lo, exec_lo
	s_delay_alu instid0(SALU_CYCLE_1)
	s_or_b32 s12, s12, s26
	s_or_b32 exec_lo, exec_lo, s27
	s_and_saveexec_b32 s26, s12
	s_cbranch_execnz .LBB2_494
	s_branch .LBB2_495
.LBB2_741:                              ;   in Loop: Header=BB2_142 Depth=2
	s_mov_b32 s12, -1
	s_mov_b32 s28, exec_lo
                                        ; implicit-def: $sgpr26
	v_cmpx_eq_u16_e32 0x80, v119
; %bb.742:                              ;   in Loop: Header=BB2_142 Depth=2
	s_mov_b32 s26, 0x7f800001
	s_xor_b32 s12, exec_lo, -1
; %bb.743:                              ;   in Loop: Header=BB2_142 Depth=2
	s_or_b32 exec_lo, exec_lo, s28
	s_delay_alu instid0(SALU_CYCLE_1)
	s_and_b32 s12, s12, exec_lo
                                        ; implicit-def: $vgpr119
	s_or_saveexec_b32 s27, s27
	v_mov_b32_e32 v118, s26
	s_xor_b32 exec_lo, exec_lo, s27
	s_cbranch_execz .LBB2_505
.LBB2_744:                              ;   in Loop: Header=BB2_142 Depth=2
	v_cmp_ne_u16_e32 vcc_lo, 0, v119
	v_mov_b32_e32 v118, 0
	s_and_not1_b32 s12, s12, exec_lo
	s_and_b32 s26, vcc_lo, exec_lo
	s_delay_alu instid0(SALU_CYCLE_1)
	s_or_b32 s12, s12, s26
	s_or_b32 exec_lo, exec_lo, s27
	s_and_saveexec_b32 s26, s12
	s_cbranch_execnz .LBB2_506
	s_branch .LBB2_507
.LBB2_745:                              ;   in Loop: Header=BB2_142 Depth=2
	s_mov_b32 s12, -1
	s_mov_b32 s28, exec_lo
                                        ; implicit-def: $sgpr26
	v_cmpx_eq_u16_e64 0x80, v128
; %bb.746:                              ;   in Loop: Header=BB2_142 Depth=2
	s_mov_b32 s26, 0x7f800001
	s_xor_b32 s12, exec_lo, -1
; %bb.747:                              ;   in Loop: Header=BB2_142 Depth=2
	s_or_b32 exec_lo, exec_lo, s28
	s_delay_alu instid0(SALU_CYCLE_1)
	s_and_b32 s12, s12, exec_lo
                                        ; implicit-def: $vgpr128
	s_or_saveexec_b32 s27, s27
	v_mov_b32_e32 v119, s26
	s_xor_b32 exec_lo, exec_lo, s27
	s_cbranch_execz .LBB2_509
.LBB2_748:                              ;   in Loop: Header=BB2_142 Depth=2
	v_cmp_ne_u16_e64 vcc_lo, 0, v128
	v_mov_b32_e32 v119, 0
	s_and_not1_b32 s12, s12, exec_lo
	s_delay_alu instid0(VALU_DEP_2) | instskip(NEXT) | instid1(SALU_CYCLE_1)
	s_and_b32 s26, vcc_lo, exec_lo
	s_or_b32 s12, s12, s26
	s_or_b32 exec_lo, exec_lo, s27
	s_and_saveexec_b32 s26, s12
	s_cbranch_execnz .LBB2_510
	s_branch .LBB2_511
.LBB2_749:                              ;   in Loop: Header=BB2_142 Depth=2
	s_mov_b32 s12, -1
	s_mov_b32 s28, exec_lo
                                        ; implicit-def: $sgpr26
	v_cmpx_eq_u16_e32 0x80, v119
; %bb.750:                              ;   in Loop: Header=BB2_142 Depth=2
	s_mov_b32 s26, 0x7f800001
	s_xor_b32 s12, exec_lo, -1
; %bb.751:                              ;   in Loop: Header=BB2_142 Depth=2
	s_or_b32 exec_lo, exec_lo, s28
	s_delay_alu instid0(SALU_CYCLE_1)
	s_and_b32 s12, s12, exec_lo
	s_or_saveexec_b32 s27, s27
	v_mov_b32_e32 v118, s26
	s_xor_b32 exec_lo, exec_lo, s27
	s_cbranch_execz .LBB2_521
.LBB2_752:                              ;   in Loop: Header=BB2_142 Depth=2
	v_cmp_ne_u16_e32 vcc_lo, 0, v119
	v_mov_b32_e32 v118, 0
	s_and_not1_b32 s12, s12, exec_lo
	s_and_b32 s26, vcc_lo, exec_lo
	s_delay_alu instid0(SALU_CYCLE_1)
	s_or_b32 s12, s12, s26
	s_or_b32 exec_lo, exec_lo, s27
	s_and_saveexec_b32 s26, s12
	s_cbranch_execnz .LBB2_522
	s_branch .LBB2_523
.LBB2_753:                              ;   in Loop: Header=BB2_142 Depth=2
	s_mov_b32 s12, -1
	s_mov_b32 s28, exec_lo
                                        ; implicit-def: $sgpr26
	v_cmpx_eq_u16_e32 0x80, v99
; %bb.754:                              ;   in Loop: Header=BB2_142 Depth=2
	s_mov_b32 s26, 0x7f800001
	s_xor_b32 s12, exec_lo, -1
; %bb.755:                              ;   in Loop: Header=BB2_142 Depth=2
	s_or_b32 exec_lo, exec_lo, s28
	s_delay_alu instid0(SALU_CYCLE_1)
	s_and_b32 s12, s12, exec_lo
	s_or_saveexec_b32 s27, s27
	v_mov_b32_e32 v119, s26
	s_xor_b32 exec_lo, exec_lo, s27
	s_cbranch_execz .LBB2_525
.LBB2_756:                              ;   in Loop: Header=BB2_142 Depth=2
	v_cmp_ne_u16_e32 vcc_lo, 0, v99
	v_mov_b32_e32 v119, 0
	s_and_not1_b32 s12, s12, exec_lo
	s_and_b32 s26, vcc_lo, exec_lo
	s_delay_alu instid0(SALU_CYCLE_1)
	s_or_b32 s12, s12, s26
	s_or_b32 exec_lo, exec_lo, s27
	s_and_saveexec_b32 s26, s12
	s_cbranch_execnz .LBB2_526
	s_branch .LBB2_527
.LBB2_757:                              ;   in Loop: Header=BB2_142 Depth=2
	s_mov_b32 s12, -1
	s_mov_b32 s28, exec_lo
                                        ; implicit-def: $sgpr26
	v_cmpx_eq_u16_e32 0x80, v112
; %bb.758:                              ;   in Loop: Header=BB2_142 Depth=2
	s_mov_b32 s26, 0x7f800001
	s_xor_b32 s12, exec_lo, -1
; %bb.759:                              ;   in Loop: Header=BB2_142 Depth=2
	s_or_b32 exec_lo, exec_lo, s28
	s_delay_alu instid0(SALU_CYCLE_1)
	s_and_b32 s12, s12, exec_lo
                                        ; implicit-def: $vgpr112
	s_or_saveexec_b32 s27, s27
	v_mov_b32_e32 v98, s26
	s_xor_b32 exec_lo, exec_lo, s27
	s_cbranch_execz .LBB2_537
.LBB2_760:                              ;   in Loop: Header=BB2_142 Depth=2
	v_cmp_ne_u16_e32 vcc_lo, 0, v112
	v_mov_b32_e32 v98, 0
	s_and_not1_b32 s12, s12, exec_lo
	s_and_b32 s26, vcc_lo, exec_lo
	s_delay_alu instid0(SALU_CYCLE_1)
	s_or_b32 s12, s12, s26
	s_or_b32 exec_lo, exec_lo, s27
	s_and_saveexec_b32 s26, s12
	s_cbranch_execnz .LBB2_538
	s_branch .LBB2_539
.LBB2_761:                              ;   in Loop: Header=BB2_142 Depth=2
	s_mov_b32 s12, -1
	s_mov_b32 s28, exec_lo
                                        ; implicit-def: $sgpr26
	v_cmpx_eq_u16_e32 0x80, v118
; %bb.762:                              ;   in Loop: Header=BB2_142 Depth=2
	s_mov_b32 s26, 0x7f800001
	s_xor_b32 s12, exec_lo, -1
; %bb.763:                              ;   in Loop: Header=BB2_142 Depth=2
	s_or_b32 exec_lo, exec_lo, s28
	s_delay_alu instid0(SALU_CYCLE_1)
	s_and_b32 s12, s12, exec_lo
                                        ; implicit-def: $vgpr118
	s_or_saveexec_b32 s27, s27
	v_mov_b32_e32 v112, s26
	s_xor_b32 exec_lo, exec_lo, s27
	s_cbranch_execz .LBB2_541
.LBB2_764:                              ;   in Loop: Header=BB2_142 Depth=2
	v_cmp_ne_u16_e32 vcc_lo, 0, v118
	v_mov_b32_e32 v112, 0
	s_and_not1_b32 s12, s12, exec_lo
	s_and_b32 s26, vcc_lo, exec_lo
	s_delay_alu instid0(SALU_CYCLE_1)
	s_or_b32 s12, s12, s26
	s_or_b32 exec_lo, exec_lo, s27
	s_and_saveexec_b32 s26, s12
	s_cbranch_execnz .LBB2_542
	s_branch .LBB2_543
.LBB2_765:                              ;   in Loop: Header=BB2_142 Depth=2
	s_mov_b32 s12, -1
	s_mov_b32 s28, exec_lo
                                        ; implicit-def: $sgpr26
	v_cmpx_eq_u16_e32 0x80, v118
; %bb.766:                              ;   in Loop: Header=BB2_142 Depth=2
	s_mov_b32 s26, 0x7f800001
	s_xor_b32 s12, exec_lo, -1
; %bb.767:                              ;   in Loop: Header=BB2_142 Depth=2
	s_or_b32 exec_lo, exec_lo, s28
	s_delay_alu instid0(SALU_CYCLE_1)
	s_and_b32 s12, s12, exec_lo
	s_or_saveexec_b32 s27, s27
	v_mov_b32_e32 v112, s26
	s_xor_b32 exec_lo, exec_lo, s27
	s_cbranch_execz .LBB2_553
.LBB2_768:                              ;   in Loop: Header=BB2_142 Depth=2
	v_cmp_ne_u16_e32 vcc_lo, 0, v118
	v_mov_b32_e32 v112, 0
	s_and_not1_b32 s12, s12, exec_lo
	s_and_b32 s26, vcc_lo, exec_lo
	s_delay_alu instid0(SALU_CYCLE_1)
	s_or_b32 s12, s12, s26
	s_or_b32 exec_lo, exec_lo, s27
	s_and_saveexec_b32 s26, s12
	s_cbranch_execnz .LBB2_554
	s_branch .LBB2_555
.LBB2_769:                              ;   in Loop: Header=BB2_142 Depth=2
	s_mov_b32 s12, -1
	s_mov_b32 s28, exec_lo
                                        ; implicit-def: $sgpr26
	v_cmpx_eq_u16_e32 0x80, v118
; %bb.770:                              ;   in Loop: Header=BB2_142 Depth=2
	s_mov_b32 s26, 0x7f800001
	s_xor_b32 s12, exec_lo, -1
; %bb.771:                              ;   in Loop: Header=BB2_142 Depth=2
	s_or_b32 exec_lo, exec_lo, s28
	s_delay_alu instid0(SALU_CYCLE_1)
	s_and_b32 s12, s12, exec_lo
	s_or_saveexec_b32 s27, s27
	v_mov_b32_e32 v119, s26
	s_xor_b32 exec_lo, exec_lo, s27
	s_cbranch_execz .LBB2_557
.LBB2_772:                              ;   in Loop: Header=BB2_142 Depth=2
	v_cmp_ne_u16_e32 vcc_lo, 0, v118
	v_mov_b32_e32 v119, 0
	s_and_not1_b32 s12, s12, exec_lo
	s_and_b32 s26, vcc_lo, exec_lo
	s_delay_alu instid0(SALU_CYCLE_1)
	s_or_b32 s12, s12, s26
	s_or_b32 exec_lo, exec_lo, s27
	s_and_saveexec_b32 s26, s12
	s_cbranch_execnz .LBB2_558
	s_branch .LBB2_559
.LBB2_773:                              ;   in Loop: Header=BB2_142 Depth=2
	s_mov_b32 s12, -1
	s_mov_b32 s28, exec_lo
                                        ; implicit-def: $sgpr26
	v_cmpx_eq_u16_e32 0x80, v118
; %bb.774:                              ;   in Loop: Header=BB2_142 Depth=2
	s_mov_b32 s26, 0x7f800001
	s_xor_b32 s12, exec_lo, -1
; %bb.775:                              ;   in Loop: Header=BB2_142 Depth=2
	s_or_b32 exec_lo, exec_lo, s28
	s_delay_alu instid0(SALU_CYCLE_1)
	s_and_b32 s12, s12, exec_lo
                                        ; implicit-def: $vgpr118
	s_or_saveexec_b32 s27, s27
	v_mov_b32_e32 v97, s26
	s_xor_b32 exec_lo, exec_lo, s27
	s_cbranch_execz .LBB2_569
.LBB2_776:                              ;   in Loop: Header=BB2_142 Depth=2
	v_cmp_ne_u16_e32 vcc_lo, 0, v118
	v_mov_b32_e32 v97, 0
	s_and_not1_b32 s12, s12, exec_lo
	s_and_b32 s26, vcc_lo, exec_lo
	s_delay_alu instid0(SALU_CYCLE_1)
	s_or_b32 s12, s12, s26
	s_or_b32 exec_lo, exec_lo, s27
	v_lshl_or_b32 v99, v101, 16, v99
	s_and_saveexec_b32 s26, s12
	s_cbranch_execnz .LBB2_570
	s_branch .LBB2_571
.LBB2_777:                              ;   in Loop: Header=BB2_142 Depth=2
	s_mov_b32 s12, -1
	s_mov_b32 s28, exec_lo
                                        ; implicit-def: $sgpr26
	v_cmpx_eq_u16_e32 0x80, v119
; %bb.778:                              ;   in Loop: Header=BB2_142 Depth=2
	s_mov_b32 s26, 0x7f800001
	s_xor_b32 s12, exec_lo, -1
; %bb.779:                              ;   in Loop: Header=BB2_142 Depth=2
	s_or_b32 exec_lo, exec_lo, s28
	s_delay_alu instid0(SALU_CYCLE_1)
	s_and_b32 s12, s12, exec_lo
                                        ; implicit-def: $vgpr119
	s_or_saveexec_b32 s27, s27
	v_mov_b32_e32 v118, s26
	s_xor_b32 exec_lo, exec_lo, s27
	s_cbranch_execz .LBB2_573
.LBB2_780:                              ;   in Loop: Header=BB2_142 Depth=2
	v_cmp_ne_u16_e32 vcc_lo, 0, v119
	v_mov_b32_e32 v118, 0
	s_and_not1_b32 s12, s12, exec_lo
	s_and_b32 s26, vcc_lo, exec_lo
	s_delay_alu instid0(SALU_CYCLE_1)
	s_or_b32 s12, s12, s26
	s_or_b32 exec_lo, exec_lo, s27
	s_and_saveexec_b32 s26, s12
	s_cbranch_execnz .LBB2_574
	s_branch .LBB2_575
.LBB2_781:                              ;   in Loop: Header=BB2_142 Depth=2
	s_mov_b32 s12, -1
	s_mov_b32 s28, exec_lo
                                        ; implicit-def: $sgpr26
	v_cmpx_eq_u16_e32 0x80, v118
; %bb.782:                              ;   in Loop: Header=BB2_142 Depth=2
	s_mov_b32 s26, 0x7f800001
	s_xor_b32 s12, exec_lo, -1
; %bb.783:                              ;   in Loop: Header=BB2_142 Depth=2
	s_or_b32 exec_lo, exec_lo, s28
	s_delay_alu instid0(SALU_CYCLE_1)
	s_and_b32 s12, s12, exec_lo
	s_or_saveexec_b32 s27, s27
	v_mov_b32_e32 v101, s26
	s_xor_b32 exec_lo, exec_lo, s27
	s_cbranch_execz .LBB2_585
.LBB2_784:                              ;   in Loop: Header=BB2_142 Depth=2
	v_cmp_ne_u16_e32 vcc_lo, 0, v118
	v_mov_b32_e32 v101, 0
	s_and_not1_b32 s12, s12, exec_lo
	s_and_b32 s26, vcc_lo, exec_lo
	s_delay_alu instid0(SALU_CYCLE_1)
	s_or_b32 s12, s12, s26
	s_or_b32 exec_lo, exec_lo, s27
	s_and_saveexec_b32 s26, s12
	s_cbranch_execnz .LBB2_586
	s_branch .LBB2_587
.LBB2_785:                              ;   in Loop: Header=BB2_142 Depth=2
	s_mov_b32 s12, -1
	s_mov_b32 s28, exec_lo
                                        ; implicit-def: $sgpr26
	v_cmpx_eq_u16_e32 0x80, v99
; %bb.786:                              ;   in Loop: Header=BB2_142 Depth=2
	s_mov_b32 s26, 0x7f800001
	s_xor_b32 s12, exec_lo, -1
; %bb.787:                              ;   in Loop: Header=BB2_142 Depth=2
	s_or_b32 exec_lo, exec_lo, s28
	s_delay_alu instid0(SALU_CYCLE_1)
	s_and_b32 s12, s12, exec_lo
	s_or_saveexec_b32 s27, s27
	v_mov_b32_e32 v118, s26
	s_xor_b32 exec_lo, exec_lo, s27
	s_cbranch_execz .LBB2_589
.LBB2_788:                              ;   in Loop: Header=BB2_142 Depth=2
	v_cmp_ne_u16_e32 vcc_lo, 0, v99
	v_mov_b32_e32 v118, 0
	s_and_not1_b32 s12, s12, exec_lo
	s_and_b32 s26, vcc_lo, exec_lo
	s_delay_alu instid0(SALU_CYCLE_1)
	s_or_b32 s12, s12, s26
	s_or_b32 exec_lo, exec_lo, s27
	s_and_saveexec_b32 s26, s12
	s_cbranch_execnz .LBB2_590
	s_branch .LBB2_591
.LBB2_789:                              ;   in Loop: Header=BB2_53 Depth=1
	s_or_b32 exec_lo, exec_lo, s24
.LBB2_790:                              ;   in Loop: Header=BB2_53 Depth=1
	s_delay_alu instid0(SALU_CYCLE_1) | instskip(SKIP_4) | instid1(VALU_DEP_2)
	s_or_b32 exec_lo, exec_lo, s23
	v_and_b32_e32 v10, 15, v32
	v_mov_b32_e32 v84, 0
	s_mov_b32 s23, 0
	s_mov_b32 s12, exec_lo
                                        ; implicit-def: $vgpr50
	v_cndmask_b32_e64 v85, v86, v10, s11
	s_delay_alu instid0(VALU_DEP_1)
	v_cmpx_ne_u32_e32 0, v85
	s_cbranch_execz .LBB2_1446
; %bb.791:                              ;   in Loop: Header=BB2_53 Depth=1
	v_cmp_lt_i32_e32 vcc_lo, 0, v87
	s_mov_b32 s23, exec_lo
	v_cndmask_b32_e32 v11, 0, v53, vcc_lo
	s_delay_alu instid0(VALU_DEP_1) | instskip(NEXT) | instid1(VALU_DEP_1)
	v_sub_nc_u32_e32 v11, v11, v87
	v_lshl_add_u32 v11, v11, 5, v66
	s_delay_alu instid0(VALU_DEP_1) | instskip(NEXT) | instid1(VALU_DEP_1)
	v_ashrrev_i32_e32 v12, 31, v11
	v_lshrrev_b32_e32 v12, 27, v12
	s_delay_alu instid0(VALU_DEP_1) | instskip(NEXT) | instid1(VALU_DEP_1)
	v_add_nc_u32_e32 v12, v11, v12
	v_and_b32_e32 v13, 0xffffffe0, v12
	s_delay_alu instid0(VALU_DEP_1) | instskip(SKIP_2) | instid1(VALU_DEP_3)
	v_sub_nc_u32_e32 v87, v11, v13
	v_ashrrev_i32_e32 v11, 5, v12
	v_sub_nc_u32_e32 v13, v86, v10
	v_lshlrev_b32_e32 v12, 4, v87
	s_delay_alu instid0(VALU_DEP_3) | instskip(NEXT) | instid1(VALU_DEP_2)
	v_sub_nc_u32_e32 v86, 0, v11
	v_lshl_add_u32 v10, v11, 9, v12
	s_delay_alu instid0(VALU_DEP_4) | instskip(NEXT) | instid1(VALU_DEP_2)
	v_cndmask_b32_e64 v12, 0, v13, s11
	v_sub_nc_u32_e32 v96, v85, v10
	s_delay_alu instid0(VALU_DEP_2) | instskip(NEXT) | instid1(VALU_DEP_2)
	v_and_or_b32 v84, 0x3ffffe00, v32, v12
	v_cmpx_lt_i32_e32 15, v96
	s_cbranch_execz .LBB2_1445
; %bb.792:                              ;   in Loop: Header=BB2_53 Depth=1
	s_cbranch_execz .LBB2_793
; %bb.5321:
	s_getpc_b64 s[34:35]
.Lpost_getpc34:
	s_add_u32 s34, s34, (.LBB2_5207-.Lpost_getpc34)&4294967295
	s_addc_u32 s35, s35, (.LBB2_5207-.Lpost_getpc34)>>32
	s_setpc_b64 s[34:35]
.LBB2_793:                              ;   in Loop: Header=BB2_53 Depth=1
	ds_load_b64 v[11:12], v0
	ds_load_b128 v[48:51], v0
	v_add_nc_u32_e32 v10, v10, v84
	s_delay_alu instid0(VALU_DEP_1)
	v_ashrrev_i32_e32 v13, 31, v10
	s_waitcnt lgkmcnt(1)
	v_readfirstlane_b32 s11, v11
	s_waitcnt lgkmcnt(0)
	v_add_co_u32 v38, vcc_lo, v48, v10
	v_add_co_ci_u32_e32 v39, vcc_lo, v49, v13, vcc_lo
	s_delay_alu instid0(VALU_DEP_3)
	s_and_b32 s24, s11, 7
	s_bfe_u32 s27, s11, 0x40003
	s_clz_i32_u32 s25, s24
	v_add_co_u32 v48, vcc_lo, v50, v10
	s_min_u32 s25, s25, 32
	v_add_co_ci_u32_e32 v49, vcc_lo, v51, v13, vcc_lo
	s_sub_i32 s26, s25, 28
	s_sub_i32 s25, 29, s25
	s_lshl_b32 s26, s11, s26
	v_add_co_u32 v50, vcc_lo, v11, v10
	s_and_b32 s26, s26, 7
	s_cmp_eq_u32 s27, 0
	v_add_co_ci_u32_e32 v51, vcc_lo, v12, v13, vcc_lo
	s_cselect_b32 s25, s25, s27
	s_cselect_b32 s24, s26, s24
	s_lshl_b32 s11, s11, 24
	s_lshl_b32 s26, s24, 20
	;; [unrolled: 1-line block ×3, first 2 shown]
	s_and_b32 s11, s11, 0x80000000
	s_add_i32 s24, s24, 0x3b800000
	v_and_b32_e32 v97, 0xff, v11
	s_or_b32 s11, s11, s24
	s_mov_b32 s24, 0
	s_or_b32 s25, s11, s26
	s_branch .LBB2_797
.LBB2_794:                              ;   in Loop: Header=BB2_797 Depth=2
	s_or_b32 exec_lo, exec_lo, s11
	s_delay_alu instid0(VALU_DEP_1) | instskip(NEXT) | instid1(VALU_DEP_2)
	v_lshrrev_b32_e32 v103, 20, v103
	v_cmp_gt_i32_e32 vcc_lo, 16, v101
	v_min_i32_e32 v128, 15, v101
	v_lshrrev_b32_e32 v13, 24, v13
	s_delay_alu instid0(VALU_DEP_2) | instskip(NEXT) | instid1(VALU_DEP_2)
	v_dual_cndmask_b32 v103, 7, v103 :: v_dual_lshlrev_b32 v128, 3, v128
	v_and_b32_e32 v13, 0x80, v13
	s_delay_alu instid0(VALU_DEP_2) | instskip(SKIP_1) | instid1(VALU_DEP_2)
	v_or_b32_e32 v101, v101, v103
	v_and_b32_e32 v129, 7, v103
	v_cmp_ne_u32_e32 vcc_lo, 0, v101
	v_and_b32_e32 v128, 0xf8, v128
	s_delay_alu instid0(VALU_DEP_1) | instskip(NEXT) | instid1(VALU_DEP_1)
	v_or3_b32 v13, v13, v128, v129
	v_lshlrev_b32_e32 v13, 8, v13
	s_delay_alu instid0(VALU_DEP_1)
	v_cndmask_b32_e32 v101, 0, v13, vcc_lo
.LBB2_795:                              ;   in Loop: Header=BB2_797 Depth=2
	s_or_b32 exec_lo, exec_lo, s27
.LBB2_796:                              ;   in Loop: Header=BB2_797 Depth=2
	s_delay_alu instid0(SALU_CYCLE_1)
	s_or_b32 exec_lo, exec_lo, s26
	v_or_b32_e32 v11, v11, v117
	v_and_b32_e32 v13, 0xff, v116
	v_lshlrev_b32_e32 v102, 8, v102
	v_and_b32_e32 v112, 0xff, v112
	v_lshlrev_b32_e32 v113, 8, v113
	v_or_b32_e32 v99, v101, v99
	v_and_b32_e32 v103, 0xff, v118
	v_lshlrev_b32_e32 v10, 24, v10
	v_lshlrev_b32_e32 v11, 16, v11
	;; [unrolled: 1-line block ×3, first 2 shown]
	v_perm_b32 v98, v102, v98, 0xc0c0500
	v_lshlrev_b32_e32 v12, 24, v12
	v_lshlrev_b32_e32 v101, 16, v112
	v_perm_b32 v102, v113, v115, 0xc0c0500
	v_and_b32_e32 v100, 0xff, v100
	v_lshlrev_b32_e32 v99, 16, v99
	v_add_co_u32 v38, vcc_lo, v38, v69
	v_or3_b32 v11, v119, v103, v11
	v_or3_b32 v10, v10, v13, v98
	;; [unrolled: 1-line block ×4, first 2 shown]
	v_sub_nc_u32_e32 v96, v96, v65
	v_add_co_ci_u32_e32 v39, vcc_lo, v39, v70, vcc_lo
	v_add_co_u32 v48, vcc_lo, v48, v69
	v_add_co_ci_u32_e32 v49, vcc_lo, v49, v70, vcc_lo
	global_store_b128 v[50:51], v[10:13], off glc slc dlc
	v_cmp_gt_i32_e32 vcc_lo, 16, v96
	v_add_co_u32 v50, s11, v50, v69
	s_delay_alu instid0(VALU_DEP_1) | instskip(SKIP_2) | instid1(SALU_CYCLE_1)
	v_add_co_ci_u32_e64 v51, s11, v51, v70, s11
	v_sub_nc_u32_e32 v86, v86, v53
	s_or_b32 s24, vcc_lo, s24
	s_and_not1_b32 exec_lo, exec_lo, s24
	s_cbranch_execz .LBB2_1444
.LBB2_797:                              ;   Parent Loop BB2_53 Depth=1
                                        ; =>  This Inner Loop Header: Depth=2
	v_cmp_gt_i16_e32 vcc_lo, 0x80, v97
	s_cbranch_vccnz .LBB2_801
; %bb.798:                              ;   in Loop: Header=BB2_797 Depth=2
	v_cmp_eq_u16_e32 vcc_lo, 0x80, v97
	s_mov_b32 s11, -1
                                        ; implicit-def: $sgpr26
	s_cbranch_vccz .LBB2_800
; %bb.799:                              ;   in Loop: Header=BB2_797 Depth=2
	s_mov_b32 s11, 0
	s_mov_b32 s26, 0x7f800001
.LBB2_800:                              ;   in Loop: Header=BB2_797 Depth=2
	s_mov_b32 s27, 0
	s_branch .LBB2_802
.LBB2_801:                              ;   in Loop: Header=BB2_797 Depth=2
	s_mov_b32 s27, -1
	s_mov_b32 s11, 0
                                        ; implicit-def: $sgpr26
.LBB2_802:                              ;   in Loop: Header=BB2_797 Depth=2
	s_and_b32 vcc_lo, exec_lo, s27
	s_cbranch_vccz .LBB2_804
; %bb.803:                              ;   in Loop: Header=BB2_797 Depth=2
	v_cmp_ne_u16_e64 s11, 0, v97
	s_mov_b32 s26, 0
.LBB2_804:                              ;   in Loop: Header=BB2_797 Depth=2
	s_delay_alu instid0(VALU_DEP_1)
	s_and_not1_b32 vcc_lo, exec_lo, s11
	s_cbranch_vccnz .LBB2_806
; %bb.805:                              ;   in Loop: Header=BB2_797 Depth=2
	s_mov_b32 s26, s25
.LBB2_806:                              ;   in Loop: Header=BB2_797 Depth=2
	global_load_b128 v[10:13], v[38:39], off slc dlc
	s_mov_b32 s11, 0
	s_mov_b32 s28, exec_lo
                                        ; implicit-def: $sgpr27
	s_waitcnt vmcnt(0)
	v_and_b32_e32 v99, 0xff, v10
	s_delay_alu instid0(VALU_DEP_1)
	v_cmpx_lt_i16_e32 0x7f, v99
	s_xor_b32 s28, exec_lo, s28
	s_cbranch_execnz .LBB2_1252
; %bb.807:                              ;   in Loop: Header=BB2_797 Depth=2
	s_or_saveexec_b32 s28, s28
	v_mov_b32_e32 v98, s27
	s_xor_b32 exec_lo, exec_lo, s28
	s_cbranch_execnz .LBB2_1255
.LBB2_808:                              ;   in Loop: Header=BB2_797 Depth=2
	s_or_b32 exec_lo, exec_lo, s28
	s_and_saveexec_b32 s27, s11
	s_cbranch_execz .LBB2_810
.LBB2_809:                              ;   in Loop: Header=BB2_797 Depth=2
	v_bfe_u32 v101, v10, 3, 4
	v_lshlrev_b32_e32 v102, 24, v10
	s_delay_alu instid0(VALU_DEP_2) | instskip(SKIP_1) | instid1(VALU_DEP_1)
	v_cmp_eq_u32_e32 vcc_lo, 0, v101
	v_and_b32_e32 v98, 7, v10
	v_clz_i32_u32_e32 v99, v98
	s_delay_alu instid0(VALU_DEP_1) | instskip(NEXT) | instid1(VALU_DEP_1)
	v_min_u32_e32 v99, 32, v99
	v_subrev_nc_u32_e32 v100, 28, v99
	v_sub_nc_u32_e32 v99, 29, v99
	s_delay_alu instid0(VALU_DEP_1) | instskip(NEXT) | instid1(VALU_DEP_1)
	v_dual_cndmask_b32 v99, v101, v99 :: v_dual_lshlrev_b32 v100, v100, v10
	v_and_b32_e32 v100, 7, v100
	s_delay_alu instid0(VALU_DEP_2) | instskip(NEXT) | instid1(VALU_DEP_2)
	v_lshl_add_u32 v99, v99, 23, 0x3b800000
	v_cndmask_b32_e32 v98, v98, v100, vcc_lo
	v_and_b32_e32 v100, 0x80000000, v102
	s_delay_alu instid0(VALU_DEP_2) | instskip(NEXT) | instid1(VALU_DEP_1)
	v_lshlrev_b32_e32 v98, 20, v98
	v_or3_b32 v98, v100, v99, v98
.LBB2_810:                              ;   in Loop: Header=BB2_797 Depth=2
	s_or_b32 exec_lo, exec_lo, s27
	s_delay_alu instid0(VALU_DEP_1) | instskip(NEXT) | instid1(VALU_DEP_1)
	v_mul_f32_e32 v99, s26, v98
	v_and_b32_e32 v98, 0x7f800000, v99
	s_delay_alu instid0(VALU_DEP_1)
	v_cmp_ne_u32_e32 vcc_lo, 0x7f800000, v98
	v_mov_b32_e32 v98, 0x80
	s_and_saveexec_b32 s27, vcc_lo
	s_cbranch_execz .LBB2_818
; %bb.811:                              ;   in Loop: Header=BB2_797 Depth=2
	v_mov_b32_e32 v98, 0
	s_mov_b32 s28, exec_lo
	v_cmpx_ne_u32_e32 0, v99
	s_cbranch_execz .LBB2_817
; %bb.812:                              ;   in Loop: Header=BB2_797 Depth=2
	v_bfe_u32 v98, v99, 23, 8
	s_delay_alu instid0(VALU_DEP_1) | instskip(SKIP_1) | instid1(VALU_DEP_2)
	v_sub_nc_u32_e32 v101, 0x78, v98
	v_cmp_gt_u32_e32 vcc_lo, 0x79, v98
	v_dual_cndmask_b32 v101, 0, v101 :: v_dual_and_b32 v100, 0x7fffff, v99
	s_delay_alu instid0(VALU_DEP_1) | instskip(SKIP_2) | instid1(VALU_DEP_4)
	v_or_b32_e32 v102, 0x800000, v100
	v_cmp_eq_u32_e32 vcc_lo, 0, v98
	v_add_nc_u32_e32 v98, 0xffffff89, v98
	v_cndmask_b32_e64 v101, v101, 0x77, vcc_lo
	s_delay_alu instid0(VALU_DEP_2) | instskip(SKIP_1) | instid1(VALU_DEP_3)
	v_cndmask_b32_e64 v98, v98, 0xffffff8a, vcc_lo
	v_cndmask_b32_e32 v100, v102, v100, vcc_lo
	v_lshl_add_u32 v102, 0x100000, v101, -1
	v_lshlrev_b32_e64 v113, v101, 0x80000
	s_delay_alu instid0(VALU_DEP_3) | instskip(SKIP_1) | instid1(VALU_DEP_4)
	v_lshrrev_b32_e32 v103, v101, v100
	v_add_nc_u32_e32 v101, v101, v98
	v_and_b32_e32 v100, v102, v100
	s_delay_alu instid0(VALU_DEP_3) | instskip(NEXT) | instid1(VALU_DEP_2)
	v_bfe_u32 v112, v103, 20, 1
	v_cmp_eq_u32_e64 s11, v100, v113
	s_delay_alu instid0(VALU_DEP_2) | instskip(NEXT) | instid1(VALU_DEP_1)
	v_add_nc_u32_e32 v102, -1, v112
	v_cndmask_b32_e64 v100, 0, v102, s11
	v_lshrrev_b32_e32 v102, 23, v103
	s_mov_b32 s11, exec_lo
	s_delay_alu instid0(VALU_DEP_2) | instskip(NEXT) | instid1(VALU_DEP_2)
	v_add_nc_u32_e32 v100, v100, v103
	v_xor_b32_e32 v102, 1, v102
	s_delay_alu instid0(VALU_DEP_2) | instskip(NEXT) | instid1(VALU_DEP_1)
	v_and_b32_e32 v98, 0xfffff, v100
	v_add_nc_u32_e32 v100, v98, v103
                                        ; implicit-def: $vgpr98
	s_delay_alu instid0(VALU_DEP_3)
	v_cmpx_ne_u32_e64 v101, v102
	s_xor_b32 s11, exec_lo, s11
; %bb.813:                              ;   in Loop: Header=BB2_797 Depth=2
	s_delay_alu instid0(VALU_DEP_2) | instskip(SKIP_2) | instid1(VALU_DEP_2)
	v_cmp_lt_u32_e32 vcc_lo, 0xffffff, v100
	v_sub_nc_u32_e32 v98, v101, v102
	v_cndmask_b32_e64 v101, 0, 1, vcc_lo
	v_add_co_ci_u32_e32 v98, vcc_lo, 0, v98, vcc_lo
	s_delay_alu instid0(VALU_DEP_2)
	v_lshrrev_b32_e32 v100, v101, v100
; %bb.814:                              ;   in Loop: Header=BB2_797 Depth=2
	s_and_not1_saveexec_b32 s11, s11
; %bb.815:                              ;   in Loop: Header=BB2_797 Depth=2
	s_delay_alu instid0(VALU_DEP_1)
	v_bfe_u32 v98, v100, 23, 1
; %bb.816:                              ;   in Loop: Header=BB2_797 Depth=2
	s_or_b32 exec_lo, exec_lo, s11
	v_lshrrev_b32_e32 v100, 20, v100
	s_delay_alu instid0(VALU_DEP_2) | instskip(SKIP_2) | instid1(VALU_DEP_2)
	v_cmp_gt_i32_e32 vcc_lo, 16, v98
	v_lshrrev_b32_e32 v99, 24, v99
	v_min_i32_e32 v101, 15, v98
	v_dual_cndmask_b32 v100, 7, v100 :: v_dual_and_b32 v99, 0x80, v99
	s_delay_alu instid0(VALU_DEP_1) | instskip(SKIP_1) | instid1(VALU_DEP_2)
	v_or_b32_e32 v98, v98, v100
	v_and_b32_e32 v102, 7, v100
	v_cmp_ne_u32_e32 vcc_lo, 0, v98
	v_lshlrev_b32_e32 v101, 3, v101
	s_delay_alu instid0(VALU_DEP_1) | instskip(NEXT) | instid1(VALU_DEP_1)
	v_or3_b32 v99, v101, v99, v102
	v_cndmask_b32_e32 v98, 0, v99, vcc_lo
.LBB2_817:                              ;   in Loop: Header=BB2_797 Depth=2
	s_or_b32 exec_lo, exec_lo, s28
.LBB2_818:                              ;   in Loop: Header=BB2_797 Depth=2
	s_delay_alu instid0(SALU_CYCLE_1) | instskip(SKIP_3) | instid1(VALU_DEP_1)
	s_or_b32 exec_lo, exec_lo, s27
	v_lshrrev_b16 v99, 8, v10
	s_mov_b32 s11, 0
	s_mov_b32 s28, exec_lo
                                        ; implicit-def: $sgpr27
	v_cmpx_lt_i16_e32 0x7f, v99
	s_xor_b32 s28, exec_lo, s28
	s_cbranch_execnz .LBB2_1256
; %bb.819:                              ;   in Loop: Header=BB2_797 Depth=2
	s_or_saveexec_b32 s28, s28
	v_mov_b32_e32 v100, s27
	s_xor_b32 exec_lo, exec_lo, s28
	s_cbranch_execnz .LBB2_1259
.LBB2_820:                              ;   in Loop: Header=BB2_797 Depth=2
	s_or_b32 exec_lo, exec_lo, s28
	s_and_saveexec_b32 s27, s11
	s_cbranch_execz .LBB2_822
.LBB2_821:                              ;   in Loop: Header=BB2_797 Depth=2
	v_and_b32_e32 v100, 0xffff, v99
	v_lshlrev_b32_e32 v99, 24, v99
	s_delay_alu instid0(VALU_DEP_2) | instskip(NEXT) | instid1(VALU_DEP_2)
	v_and_b32_e32 v101, 7, v100
	v_and_b32_e32 v99, 0x80000000, v99
	s_delay_alu instid0(VALU_DEP_2) | instskip(NEXT) | instid1(VALU_DEP_1)
	v_clz_i32_u32_e32 v102, v101
	v_min_u32_e32 v102, 32, v102
	s_delay_alu instid0(VALU_DEP_1) | instskip(SKIP_1) | instid1(VALU_DEP_2)
	v_subrev_nc_u32_e32 v103, 28, v102
	v_sub_nc_u32_e32 v102, 29, v102
	v_lshlrev_b32_e32 v103, v103, v100
	v_bfe_u32 v100, v100, 3, 4
	s_delay_alu instid0(VALU_DEP_2) | instskip(NEXT) | instid1(VALU_DEP_2)
	v_and_b32_e32 v103, 7, v103
	v_cmp_eq_u32_e32 vcc_lo, 0, v100
	s_delay_alu instid0(VALU_DEP_2) | instskip(NEXT) | instid1(VALU_DEP_1)
	v_dual_cndmask_b32 v100, v100, v102 :: v_dual_cndmask_b32 v101, v101, v103
	v_lshl_add_u32 v100, v100, 23, 0x3b800000
	s_delay_alu instid0(VALU_DEP_2) | instskip(NEXT) | instid1(VALU_DEP_1)
	v_lshlrev_b32_e32 v101, 20, v101
	v_or3_b32 v100, v99, v100, v101
.LBB2_822:                              ;   in Loop: Header=BB2_797 Depth=2
	s_or_b32 exec_lo, exec_lo, s27
	s_delay_alu instid0(VALU_DEP_1) | instskip(SKIP_1) | instid1(VALU_DEP_1)
	v_dual_mul_f32 v99, s26, v100 :: v_dual_mov_b32 v102, 0x80
	s_mov_b32 s27, exec_lo
	v_and_b32_e32 v100, 0x7f800000, v99
	s_delay_alu instid0(VALU_DEP_1)
	v_cmpx_ne_u32_e32 0x7f800000, v100
	s_cbranch_execz .LBB2_830
; %bb.823:                              ;   in Loop: Header=BB2_797 Depth=2
	v_mov_b32_e32 v102, 0
	s_mov_b32 s28, exec_lo
	v_cmpx_ne_u32_e32 0, v99
	s_cbranch_execz .LBB2_829
; %bb.824:                              ;   in Loop: Header=BB2_797 Depth=2
	v_bfe_u32 v100, v99, 23, 8
	s_delay_alu instid0(VALU_DEP_1) | instskip(SKIP_1) | instid1(VALU_DEP_2)
	v_sub_nc_u32_e32 v102, 0x78, v100
	v_cmp_gt_u32_e32 vcc_lo, 0x79, v100
	v_dual_cndmask_b32 v102, 0, v102 :: v_dual_and_b32 v101, 0x7fffff, v99
	s_delay_alu instid0(VALU_DEP_1) | instskip(SKIP_2) | instid1(VALU_DEP_4)
	v_or_b32_e32 v103, 0x800000, v101
	v_cmp_eq_u32_e32 vcc_lo, 0, v100
	v_add_nc_u32_e32 v100, 0xffffff89, v100
	v_cndmask_b32_e64 v102, v102, 0x77, vcc_lo
	s_delay_alu instid0(VALU_DEP_4) | instskip(NEXT) | instid1(VALU_DEP_3)
	v_cndmask_b32_e32 v101, v103, v101, vcc_lo
	v_cndmask_b32_e64 v100, v100, 0xffffff8a, vcc_lo
	s_delay_alu instid0(VALU_DEP_3) | instskip(NEXT) | instid1(VALU_DEP_3)
	v_lshl_add_u32 v103, 0x100000, v102, -1
	v_lshrrev_b32_e32 v112, v102, v101
	v_lshlrev_b32_e64 v114, v102, 0x80000
	s_delay_alu instid0(VALU_DEP_4) | instskip(NEXT) | instid1(VALU_DEP_4)
	v_add_nc_u32_e32 v102, v102, v100
	v_and_b32_e32 v101, v103, v101
	s_delay_alu instid0(VALU_DEP_4) | instskip(NEXT) | instid1(VALU_DEP_2)
	v_bfe_u32 v113, v112, 20, 1
	v_cmp_eq_u32_e64 s11, v101, v114
	s_delay_alu instid0(VALU_DEP_2) | instskip(NEXT) | instid1(VALU_DEP_1)
	v_add_nc_u32_e32 v103, -1, v113
	v_cndmask_b32_e64 v101, 0, v103, s11
	v_lshrrev_b32_e32 v103, 23, v112
	s_mov_b32 s11, exec_lo
	s_delay_alu instid0(VALU_DEP_2) | instskip(NEXT) | instid1(VALU_DEP_2)
	v_add_nc_u32_e32 v101, v101, v112
	v_xor_b32_e32 v103, 1, v103
	s_delay_alu instid0(VALU_DEP_2) | instskip(NEXT) | instid1(VALU_DEP_1)
	v_and_b32_e32 v100, 0xfffff, v101
	v_add_nc_u32_e32 v101, v100, v112
                                        ; implicit-def: $vgpr100
	s_delay_alu instid0(VALU_DEP_3)
	v_cmpx_ne_u32_e64 v102, v103
	s_xor_b32 s11, exec_lo, s11
; %bb.825:                              ;   in Loop: Header=BB2_797 Depth=2
	s_delay_alu instid0(VALU_DEP_2) | instskip(SKIP_2) | instid1(VALU_DEP_2)
	v_cmp_lt_u32_e32 vcc_lo, 0xffffff, v101
	v_sub_nc_u32_e32 v100, v102, v103
	v_cndmask_b32_e64 v102, 0, 1, vcc_lo
	v_add_co_ci_u32_e32 v100, vcc_lo, 0, v100, vcc_lo
	s_delay_alu instid0(VALU_DEP_2)
	v_lshrrev_b32_e32 v101, v102, v101
; %bb.826:                              ;   in Loop: Header=BB2_797 Depth=2
	s_and_not1_saveexec_b32 s11, s11
; %bb.827:                              ;   in Loop: Header=BB2_797 Depth=2
	s_delay_alu instid0(VALU_DEP_1)
	v_bfe_u32 v100, v101, 23, 1
; %bb.828:                              ;   in Loop: Header=BB2_797 Depth=2
	s_or_b32 exec_lo, exec_lo, s11
	v_lshrrev_b32_e32 v101, 20, v101
	s_delay_alu instid0(VALU_DEP_2) | instskip(SKIP_2) | instid1(VALU_DEP_2)
	v_cmp_gt_i32_e32 vcc_lo, 16, v100
	v_min_i32_e32 v102, 15, v100
	v_lshrrev_b32_e32 v99, 24, v99
	v_dual_cndmask_b32 v101, 7, v101 :: v_dual_lshlrev_b32 v102, 3, v102
	s_delay_alu instid0(VALU_DEP_2) | instskip(NEXT) | instid1(VALU_DEP_2)
	v_and_b32_e32 v99, 0x80, v99
	v_or_b32_e32 v100, v100, v101
	s_delay_alu instid0(VALU_DEP_1) | instskip(SKIP_1) | instid1(VALU_DEP_1)
	v_cmp_ne_u32_e32 vcc_lo, 0, v100
	v_and_b32_e32 v103, 7, v101
	v_or3_b32 v99, v102, v99, v103
	s_delay_alu instid0(VALU_DEP_1)
	v_cndmask_b32_e32 v102, 0, v99, vcc_lo
.LBB2_829:                              ;   in Loop: Header=BB2_797 Depth=2
	s_or_b32 exec_lo, exec_lo, s28
.LBB2_830:                              ;   in Loop: Header=BB2_797 Depth=2
	s_delay_alu instid0(SALU_CYCLE_1) | instskip(SKIP_3) | instid1(VALU_DEP_1)
	s_or_b32 exec_lo, exec_lo, s27
	v_lshrrev_b32_e32 v99, 16, v10
	s_mov_b32 s11, 0
	s_mov_b32 s28, exec_lo
                                        ; implicit-def: $sgpr27
	v_and_b32_e32 v101, 0xff, v99
	s_delay_alu instid0(VALU_DEP_1)
	v_cmpx_lt_i16_e32 0x7f, v101
	s_xor_b32 s28, exec_lo, s28
	s_cbranch_execnz .LBB2_1260
; %bb.831:                              ;   in Loop: Header=BB2_797 Depth=2
	s_or_saveexec_b32 s28, s28
	v_mov_b32_e32 v100, s27
	s_xor_b32 exec_lo, exec_lo, s28
	s_cbranch_execnz .LBB2_1263
.LBB2_832:                              ;   in Loop: Header=BB2_797 Depth=2
	s_or_b32 exec_lo, exec_lo, s28
	s_and_saveexec_b32 s27, s11
	s_cbranch_execz .LBB2_834
.LBB2_833:                              ;   in Loop: Header=BB2_797 Depth=2
	v_bfe_u32 v100, v10, 16, 3
	s_delay_alu instid0(VALU_DEP_1) | instskip(NEXT) | instid1(VALU_DEP_1)
	v_clz_i32_u32_e32 v101, v100
	v_min_u32_e32 v101, 32, v101
	s_delay_alu instid0(VALU_DEP_1) | instskip(SKIP_1) | instid1(VALU_DEP_2)
	v_subrev_nc_u32_e32 v103, 28, v101
	v_sub_nc_u32_e32 v101, 29, v101
	v_lshlrev_b32_e32 v99, v103, v99
	v_bfe_u32 v103, v10, 19, 4
	s_delay_alu instid0(VALU_DEP_2) | instskip(NEXT) | instid1(VALU_DEP_2)
	v_and_b32_e32 v99, 7, v99
	v_cmp_eq_u32_e32 vcc_lo, 0, v103
	v_dual_cndmask_b32 v101, v103, v101 :: v_dual_lshlrev_b32 v112, 8, v10
	s_delay_alu instid0(VALU_DEP_1) | instskip(NEXT) | instid1(VALU_DEP_2)
	v_dual_cndmask_b32 v99, v100, v99 :: v_dual_and_b32 v100, 0x80000000, v112
	v_lshl_add_u32 v101, v101, 23, 0x3b800000
	s_delay_alu instid0(VALU_DEP_2) | instskip(NEXT) | instid1(VALU_DEP_1)
	v_lshlrev_b32_e32 v99, 20, v99
	v_or3_b32 v100, v100, v101, v99
.LBB2_834:                              ;   in Loop: Header=BB2_797 Depth=2
	s_or_b32 exec_lo, exec_lo, s27
	s_delay_alu instid0(VALU_DEP_1) | instskip(SKIP_1) | instid1(VALU_DEP_1)
	v_dual_mul_f32 v99, s26, v100 :: v_dual_mov_b32 v116, 0x80
	s_mov_b32 s27, exec_lo
	v_and_b32_e32 v100, 0x7f800000, v99
	s_delay_alu instid0(VALU_DEP_1)
	v_cmpx_ne_u32_e32 0x7f800000, v100
	s_cbranch_execz .LBB2_842
; %bb.835:                              ;   in Loop: Header=BB2_797 Depth=2
	v_mov_b32_e32 v116, 0
	s_mov_b32 s28, exec_lo
	v_cmpx_ne_u32_e32 0, v99
	s_cbranch_execz .LBB2_841
; %bb.836:                              ;   in Loop: Header=BB2_797 Depth=2
	v_bfe_u32 v100, v99, 23, 8
	v_and_b32_e32 v101, 0x7fffff, v99
	s_delay_alu instid0(VALU_DEP_2) | instskip(SKIP_1) | instid1(VALU_DEP_3)
	v_sub_nc_u32_e32 v103, 0x78, v100
	v_cmp_gt_u32_e32 vcc_lo, 0x79, v100
	v_or_b32_e32 v112, 0x800000, v101
	s_delay_alu instid0(VALU_DEP_3) | instskip(SKIP_2) | instid1(VALU_DEP_3)
	v_cndmask_b32_e32 v103, 0, v103, vcc_lo
	v_cmp_eq_u32_e32 vcc_lo, 0, v100
	v_add_nc_u32_e32 v100, 0xffffff89, v100
	v_cndmask_b32_e64 v103, v103, 0x77, vcc_lo
	v_cndmask_b32_e32 v101, v112, v101, vcc_lo
	s_delay_alu instid0(VALU_DEP_3) | instskip(NEXT) | instid1(VALU_DEP_3)
	v_cndmask_b32_e64 v100, v100, 0xffffff8a, vcc_lo
	v_lshl_add_u32 v112, 0x100000, v103, -1
	s_delay_alu instid0(VALU_DEP_3) | instskip(SKIP_1) | instid1(VALU_DEP_4)
	v_lshrrev_b32_e32 v113, v103, v101
	v_lshlrev_b32_e64 v115, v103, 0x80000
	v_add_nc_u32_e32 v103, v103, v100
	s_delay_alu instid0(VALU_DEP_4) | instskip(NEXT) | instid1(VALU_DEP_4)
	v_and_b32_e32 v101, v112, v101
	v_bfe_u32 v114, v113, 20, 1
	s_delay_alu instid0(VALU_DEP_2) | instskip(NEXT) | instid1(VALU_DEP_2)
	v_cmp_eq_u32_e64 s11, v101, v115
	v_add_nc_u32_e32 v112, -1, v114
	s_delay_alu instid0(VALU_DEP_1) | instskip(SKIP_2) | instid1(VALU_DEP_2)
	v_cndmask_b32_e64 v101, 0, v112, s11
	v_lshrrev_b32_e32 v112, 23, v113
	s_mov_b32 s11, exec_lo
	v_add_nc_u32_e32 v101, v101, v113
	s_delay_alu instid0(VALU_DEP_2) | instskip(NEXT) | instid1(VALU_DEP_2)
	v_xor_b32_e32 v112, 1, v112
	v_and_b32_e32 v100, 0xfffff, v101
	s_delay_alu instid0(VALU_DEP_1) | instskip(NEXT) | instid1(VALU_DEP_3)
	v_add_nc_u32_e32 v101, v100, v113
                                        ; implicit-def: $vgpr100
	v_cmpx_ne_u32_e64 v103, v112
	s_xor_b32 s11, exec_lo, s11
; %bb.837:                              ;   in Loop: Header=BB2_797 Depth=2
	s_delay_alu instid0(VALU_DEP_2) | instskip(SKIP_2) | instid1(VALU_DEP_2)
	v_cmp_lt_u32_e32 vcc_lo, 0xffffff, v101
	v_sub_nc_u32_e32 v100, v103, v112
	v_cndmask_b32_e64 v103, 0, 1, vcc_lo
	v_add_co_ci_u32_e32 v100, vcc_lo, 0, v100, vcc_lo
	s_delay_alu instid0(VALU_DEP_2)
	v_lshrrev_b32_e32 v101, v103, v101
; %bb.838:                              ;   in Loop: Header=BB2_797 Depth=2
	s_and_not1_saveexec_b32 s11, s11
; %bb.839:                              ;   in Loop: Header=BB2_797 Depth=2
	s_delay_alu instid0(VALU_DEP_1)
	v_bfe_u32 v100, v101, 23, 1
; %bb.840:                              ;   in Loop: Header=BB2_797 Depth=2
	s_or_b32 exec_lo, exec_lo, s11
	v_lshrrev_b32_e32 v101, 20, v101
	s_delay_alu instid0(VALU_DEP_2) | instskip(SKIP_2) | instid1(VALU_DEP_4)
	v_cmp_gt_i32_e32 vcc_lo, 16, v100
	v_lshrrev_b32_e32 v99, 24, v99
	v_min_i32_e32 v103, 15, v100
	v_cndmask_b32_e32 v101, 7, v101, vcc_lo
	s_delay_alu instid0(VALU_DEP_3) | instskip(NEXT) | instid1(VALU_DEP_3)
	v_and_b32_e32 v99, 0x80, v99
	v_lshlrev_b32_e32 v103, 3, v103
	s_delay_alu instid0(VALU_DEP_3) | instskip(SKIP_1) | instid1(VALU_DEP_2)
	v_and_b32_e32 v112, 7, v101
	v_or_b32_e32 v100, v100, v101
	v_or3_b32 v99, v103, v99, v112
	s_delay_alu instid0(VALU_DEP_2) | instskip(NEXT) | instid1(VALU_DEP_2)
	v_cmp_ne_u32_e32 vcc_lo, 0, v100
	v_cndmask_b32_e32 v116, 0, v99, vcc_lo
.LBB2_841:                              ;   in Loop: Header=BB2_797 Depth=2
	s_or_b32 exec_lo, exec_lo, s28
.LBB2_842:                              ;   in Loop: Header=BB2_797 Depth=2
	s_delay_alu instid0(SALU_CYCLE_1) | instskip(SKIP_3) | instid1(VALU_DEP_1)
	s_or_b32 exec_lo, exec_lo, s27
	v_lshrrev_b32_e32 v99, 24, v10
	s_mov_b32 s11, 0
	s_mov_b32 s28, exec_lo
                                        ; implicit-def: $sgpr27
	v_cmpx_lt_i16_e32 0x7f, v99
	s_xor_b32 s28, exec_lo, s28
	s_cbranch_execnz .LBB2_1264
; %bb.843:                              ;   in Loop: Header=BB2_797 Depth=2
	s_or_saveexec_b32 s28, s28
	v_mov_b32_e32 v100, s27
	s_xor_b32 exec_lo, exec_lo, s28
	s_cbranch_execnz .LBB2_1267
.LBB2_844:                              ;   in Loop: Header=BB2_797 Depth=2
	s_or_b32 exec_lo, exec_lo, s28
	s_and_saveexec_b32 s27, s11
	s_cbranch_execz .LBB2_846
.LBB2_845:                              ;   in Loop: Header=BB2_797 Depth=2
	v_bfe_u32 v100, v10, 24, 3
	s_delay_alu instid0(VALU_DEP_1) | instskip(NEXT) | instid1(VALU_DEP_1)
	v_clz_i32_u32_e32 v101, v100
	v_min_u32_e32 v101, 32, v101
	s_delay_alu instid0(VALU_DEP_1) | instskip(SKIP_1) | instid1(VALU_DEP_2)
	v_subrev_nc_u32_e32 v103, 28, v101
	v_sub_nc_u32_e32 v101, 29, v101
	v_lshlrev_b32_e32 v99, v103, v99
	v_bfe_u32 v103, v10, 27, 4
	v_and_b32_e32 v10, 0x80000000, v10
	s_delay_alu instid0(VALU_DEP_3) | instskip(NEXT) | instid1(VALU_DEP_3)
	v_and_b32_e32 v99, 7, v99
	v_cmp_eq_u32_e32 vcc_lo, 0, v103
	v_cndmask_b32_e32 v101, v103, v101, vcc_lo
	s_delay_alu instid0(VALU_DEP_3) | instskip(NEXT) | instid1(VALU_DEP_2)
	v_cndmask_b32_e32 v99, v100, v99, vcc_lo
	v_lshl_add_u32 v100, v101, 23, 0x3b800000
	s_delay_alu instid0(VALU_DEP_2) | instskip(NEXT) | instid1(VALU_DEP_1)
	v_lshlrev_b32_e32 v99, 20, v99
	v_or3_b32 v100, v10, v100, v99
.LBB2_846:                              ;   in Loop: Header=BB2_797 Depth=2
	s_or_b32 exec_lo, exec_lo, s27
	s_delay_alu instid0(VALU_DEP_1) | instskip(SKIP_1) | instid1(VALU_DEP_1)
	v_dual_mul_f32 v10, s26, v100 :: v_dual_mov_b32 v119, 0x80
	s_mov_b32 s27, exec_lo
	v_and_b32_e32 v99, 0x7f800000, v10
	s_delay_alu instid0(VALU_DEP_1)
	v_cmpx_ne_u32_e32 0x7f800000, v99
	s_cbranch_execz .LBB2_854
; %bb.847:                              ;   in Loop: Header=BB2_797 Depth=2
	v_mov_b32_e32 v119, 0
	s_mov_b32 s28, exec_lo
	v_cmpx_ne_u32_e32 0, v10
	s_cbranch_execz .LBB2_853
; %bb.848:                              ;   in Loop: Header=BB2_797 Depth=2
	v_bfe_u32 v99, v10, 23, 8
	s_delay_alu instid0(VALU_DEP_1) | instskip(SKIP_1) | instid1(VALU_DEP_2)
	v_sub_nc_u32_e32 v101, 0x78, v99
	v_cmp_gt_u32_e32 vcc_lo, 0x79, v99
	v_dual_cndmask_b32 v101, 0, v101 :: v_dual_and_b32 v100, 0x7fffff, v10
	s_delay_alu instid0(VALU_DEP_1) | instskip(SKIP_2) | instid1(VALU_DEP_4)
	v_or_b32_e32 v103, 0x800000, v100
	v_cmp_eq_u32_e32 vcc_lo, 0, v99
	v_add_nc_u32_e32 v99, 0xffffff89, v99
	v_cndmask_b32_e64 v101, v101, 0x77, vcc_lo
	s_delay_alu instid0(VALU_DEP_4) | instskip(NEXT) | instid1(VALU_DEP_3)
	v_cndmask_b32_e32 v100, v103, v100, vcc_lo
	v_cndmask_b32_e64 v99, v99, 0xffffff8a, vcc_lo
	s_delay_alu instid0(VALU_DEP_3) | instskip(NEXT) | instid1(VALU_DEP_3)
	v_lshl_add_u32 v103, 0x100000, v101, -1
	v_lshrrev_b32_e32 v112, v101, v100
	v_lshlrev_b32_e64 v114, v101, 0x80000
	s_delay_alu instid0(VALU_DEP_4) | instskip(NEXT) | instid1(VALU_DEP_4)
	v_add_nc_u32_e32 v101, v101, v99
	v_and_b32_e32 v100, v103, v100
	s_delay_alu instid0(VALU_DEP_4) | instskip(NEXT) | instid1(VALU_DEP_2)
	v_bfe_u32 v113, v112, 20, 1
	v_cmp_eq_u32_e64 s11, v100, v114
	s_delay_alu instid0(VALU_DEP_2) | instskip(NEXT) | instid1(VALU_DEP_1)
	v_add_nc_u32_e32 v103, -1, v113
	v_cndmask_b32_e64 v100, 0, v103, s11
	v_lshrrev_b32_e32 v103, 23, v112
	s_mov_b32 s11, exec_lo
	s_delay_alu instid0(VALU_DEP_2) | instskip(NEXT) | instid1(VALU_DEP_2)
	v_add_nc_u32_e32 v100, v100, v112
	v_xor_b32_e32 v103, 1, v103
	s_delay_alu instid0(VALU_DEP_2) | instskip(NEXT) | instid1(VALU_DEP_1)
	v_and_b32_e32 v99, 0xfffff, v100
	v_add_nc_u32_e32 v100, v99, v112
                                        ; implicit-def: $vgpr99
	s_delay_alu instid0(VALU_DEP_3)
	v_cmpx_ne_u32_e64 v101, v103
	s_xor_b32 s11, exec_lo, s11
; %bb.849:                              ;   in Loop: Header=BB2_797 Depth=2
	s_delay_alu instid0(VALU_DEP_2) | instskip(SKIP_2) | instid1(VALU_DEP_2)
	v_cmp_lt_u32_e32 vcc_lo, 0xffffff, v100
	v_sub_nc_u32_e32 v99, v101, v103
	v_cndmask_b32_e64 v101, 0, 1, vcc_lo
	v_add_co_ci_u32_e32 v99, vcc_lo, 0, v99, vcc_lo
	s_delay_alu instid0(VALU_DEP_2)
	v_lshrrev_b32_e32 v100, v101, v100
; %bb.850:                              ;   in Loop: Header=BB2_797 Depth=2
	s_and_not1_saveexec_b32 s11, s11
; %bb.851:                              ;   in Loop: Header=BB2_797 Depth=2
	s_delay_alu instid0(VALU_DEP_1)
	v_bfe_u32 v99, v100, 23, 1
; %bb.852:                              ;   in Loop: Header=BB2_797 Depth=2
	s_or_b32 exec_lo, exec_lo, s11
	v_lshrrev_b32_e32 v100, 20, v100
	s_delay_alu instid0(VALU_DEP_2) | instskip(SKIP_2) | instid1(VALU_DEP_4)
	v_cmp_gt_i32_e32 vcc_lo, 16, v99
	v_lshrrev_b32_e32 v10, 24, v10
	v_min_i32_e32 v101, 15, v99
	v_cndmask_b32_e32 v100, 7, v100, vcc_lo
	s_delay_alu instid0(VALU_DEP_3) | instskip(NEXT) | instid1(VALU_DEP_3)
	v_and_b32_e32 v10, 0x80, v10
	v_lshlrev_b32_e32 v101, 3, v101
	s_delay_alu instid0(VALU_DEP_3) | instskip(SKIP_1) | instid1(VALU_DEP_2)
	v_and_b32_e32 v103, 7, v100
	v_or_b32_e32 v99, v99, v100
	v_or3_b32 v10, v101, v10, v103
	s_delay_alu instid0(VALU_DEP_2) | instskip(NEXT) | instid1(VALU_DEP_2)
	v_cmp_ne_u32_e32 vcc_lo, 0, v99
	v_cndmask_b32_e32 v119, 0, v10, vcc_lo
.LBB2_853:                              ;   in Loop: Header=BB2_797 Depth=2
	s_or_b32 exec_lo, exec_lo, s28
.LBB2_854:                              ;   in Loop: Header=BB2_797 Depth=2
	s_delay_alu instid0(SALU_CYCLE_1) | instskip(SKIP_3) | instid1(VALU_DEP_1)
	s_or_b32 exec_lo, exec_lo, s27
	v_and_b32_e32 v99, 0xff, v11
	s_mov_b32 s11, 0
	s_mov_b32 s28, exec_lo
                                        ; implicit-def: $sgpr27
	v_cmpx_lt_i16_e32 0x7f, v99
	s_xor_b32 s28, exec_lo, s28
	s_cbranch_execnz .LBB2_1268
; %bb.855:                              ;   in Loop: Header=BB2_797 Depth=2
	s_or_saveexec_b32 s28, s28
	v_mov_b32_e32 v10, s27
	s_xor_b32 exec_lo, exec_lo, s28
	s_cbranch_execnz .LBB2_1271
.LBB2_856:                              ;   in Loop: Header=BB2_797 Depth=2
	s_or_b32 exec_lo, exec_lo, s28
	s_and_saveexec_b32 s27, s11
	s_cbranch_execz .LBB2_858
.LBB2_857:                              ;   in Loop: Header=BB2_797 Depth=2
	v_and_b32_e32 v10, 7, v11
	v_bfe_u32 v101, v11, 3, 4
	s_delay_alu instid0(VALU_DEP_2) | instskip(NEXT) | instid1(VALU_DEP_2)
	v_clz_i32_u32_e32 v99, v10
	v_cmp_eq_u32_e32 vcc_lo, 0, v101
	s_delay_alu instid0(VALU_DEP_2) | instskip(NEXT) | instid1(VALU_DEP_1)
	v_min_u32_e32 v99, 32, v99
	v_subrev_nc_u32_e32 v100, 28, v99
	v_sub_nc_u32_e32 v99, 29, v99
	s_delay_alu instid0(VALU_DEP_2) | instskip(NEXT) | instid1(VALU_DEP_1)
	v_lshlrev_b32_e32 v100, v100, v11
	v_dual_cndmask_b32 v99, v101, v99 :: v_dual_and_b32 v100, 7, v100
	v_lshlrev_b32_e32 v103, 24, v11
	s_delay_alu instid0(VALU_DEP_2) | instskip(NEXT) | instid1(VALU_DEP_3)
	v_lshl_add_u32 v99, v99, 23, 0x3b800000
	v_cndmask_b32_e32 v10, v10, v100, vcc_lo
	s_delay_alu instid0(VALU_DEP_3) | instskip(NEXT) | instid1(VALU_DEP_2)
	v_and_b32_e32 v100, 0x80000000, v103
	v_lshlrev_b32_e32 v10, 20, v10
	s_delay_alu instid0(VALU_DEP_1)
	v_or3_b32 v10, v100, v99, v10
.LBB2_858:                              ;   in Loop: Header=BB2_797 Depth=2
	s_or_b32 exec_lo, exec_lo, s27
	s_delay_alu instid0(VALU_DEP_1) | instskip(SKIP_2) | instid1(VALU_DEP_2)
	v_mul_f32_e32 v10, s26, v10
	v_mov_b32_e32 v118, 0x80
	s_mov_b32 s27, exec_lo
	v_and_b32_e32 v99, 0x7f800000, v10
	s_delay_alu instid0(VALU_DEP_1)
	v_cmpx_ne_u32_e32 0x7f800000, v99
	s_cbranch_execz .LBB2_866
; %bb.859:                              ;   in Loop: Header=BB2_797 Depth=2
	v_mov_b32_e32 v118, 0
	s_mov_b32 s28, exec_lo
	v_cmpx_ne_u32_e32 0, v10
	s_cbranch_execz .LBB2_865
; %bb.860:                              ;   in Loop: Header=BB2_797 Depth=2
	v_bfe_u32 v99, v10, 23, 8
	s_delay_alu instid0(VALU_DEP_1) | instskip(SKIP_1) | instid1(VALU_DEP_2)
	v_sub_nc_u32_e32 v101, 0x78, v99
	v_cmp_gt_u32_e32 vcc_lo, 0x79, v99
	v_dual_cndmask_b32 v101, 0, v101 :: v_dual_and_b32 v100, 0x7fffff, v10
	s_delay_alu instid0(VALU_DEP_1) | instskip(SKIP_2) | instid1(VALU_DEP_4)
	v_or_b32_e32 v103, 0x800000, v100
	v_cmp_eq_u32_e32 vcc_lo, 0, v99
	v_add_nc_u32_e32 v99, 0xffffff89, v99
	v_cndmask_b32_e64 v101, v101, 0x77, vcc_lo
	s_delay_alu instid0(VALU_DEP_4) | instskip(NEXT) | instid1(VALU_DEP_3)
	v_cndmask_b32_e32 v100, v103, v100, vcc_lo
	v_cndmask_b32_e64 v99, v99, 0xffffff8a, vcc_lo
	s_delay_alu instid0(VALU_DEP_3) | instskip(NEXT) | instid1(VALU_DEP_3)
	v_lshl_add_u32 v103, 0x100000, v101, -1
	v_lshrrev_b32_e32 v112, v101, v100
	v_lshlrev_b32_e64 v114, v101, 0x80000
	s_delay_alu instid0(VALU_DEP_4) | instskip(NEXT) | instid1(VALU_DEP_4)
	v_add_nc_u32_e32 v101, v101, v99
	v_and_b32_e32 v100, v103, v100
	s_delay_alu instid0(VALU_DEP_4) | instskip(NEXT) | instid1(VALU_DEP_2)
	v_bfe_u32 v113, v112, 20, 1
	v_cmp_eq_u32_e64 s11, v100, v114
	s_delay_alu instid0(VALU_DEP_2) | instskip(NEXT) | instid1(VALU_DEP_1)
	v_add_nc_u32_e32 v103, -1, v113
	v_cndmask_b32_e64 v100, 0, v103, s11
	v_lshrrev_b32_e32 v103, 23, v112
	s_mov_b32 s11, exec_lo
	s_delay_alu instid0(VALU_DEP_2) | instskip(NEXT) | instid1(VALU_DEP_2)
	v_add_nc_u32_e32 v100, v100, v112
	v_xor_b32_e32 v103, 1, v103
	s_delay_alu instid0(VALU_DEP_2) | instskip(NEXT) | instid1(VALU_DEP_1)
	v_and_b32_e32 v99, 0xfffff, v100
	v_add_nc_u32_e32 v100, v99, v112
                                        ; implicit-def: $vgpr99
	s_delay_alu instid0(VALU_DEP_3)
	v_cmpx_ne_u32_e64 v101, v103
	s_xor_b32 s11, exec_lo, s11
; %bb.861:                              ;   in Loop: Header=BB2_797 Depth=2
	s_delay_alu instid0(VALU_DEP_2) | instskip(SKIP_2) | instid1(VALU_DEP_2)
	v_cmp_lt_u32_e32 vcc_lo, 0xffffff, v100
	v_sub_nc_u32_e32 v99, v101, v103
	v_cndmask_b32_e64 v101, 0, 1, vcc_lo
	v_add_co_ci_u32_e32 v99, vcc_lo, 0, v99, vcc_lo
	s_delay_alu instid0(VALU_DEP_2)
	v_lshrrev_b32_e32 v100, v101, v100
; %bb.862:                              ;   in Loop: Header=BB2_797 Depth=2
	s_and_not1_saveexec_b32 s11, s11
; %bb.863:                              ;   in Loop: Header=BB2_797 Depth=2
	s_delay_alu instid0(VALU_DEP_1)
	v_bfe_u32 v99, v100, 23, 1
; %bb.864:                              ;   in Loop: Header=BB2_797 Depth=2
	s_or_b32 exec_lo, exec_lo, s11
	v_lshrrev_b32_e32 v100, 20, v100
	s_delay_alu instid0(VALU_DEP_2) | instskip(SKIP_2) | instid1(VALU_DEP_2)
	v_cmp_gt_i32_e32 vcc_lo, 16, v99
	v_min_i32_e32 v101, 15, v99
	v_lshrrev_b32_e32 v10, 24, v10
	v_dual_cndmask_b32 v100, 7, v100 :: v_dual_lshlrev_b32 v101, 3, v101
	s_delay_alu instid0(VALU_DEP_2) | instskip(NEXT) | instid1(VALU_DEP_2)
	v_and_b32_e32 v10, 0x80, v10
	v_or_b32_e32 v99, v99, v100
	s_delay_alu instid0(VALU_DEP_3) | instskip(NEXT) | instid1(VALU_DEP_2)
	v_and_b32_e32 v101, 0xf8, v101
	v_cmp_ne_u32_e32 vcc_lo, 0, v99
	v_and_b32_e32 v103, 7, v100
	s_delay_alu instid0(VALU_DEP_1) | instskip(NEXT) | instid1(VALU_DEP_1)
	v_or3_b32 v10, v101, v10, v103
	v_cndmask_b32_e32 v118, 0, v10, vcc_lo
.LBB2_865:                              ;   in Loop: Header=BB2_797 Depth=2
	s_or_b32 exec_lo, exec_lo, s28
.LBB2_866:                              ;   in Loop: Header=BB2_797 Depth=2
	s_delay_alu instid0(SALU_CYCLE_1) | instskip(SKIP_3) | instid1(VALU_DEP_1)
	s_or_b32 exec_lo, exec_lo, s27
	v_lshrrev_b16 v10, 8, v11
	s_mov_b32 s11, 0
	s_mov_b32 s28, exec_lo
                                        ; implicit-def: $sgpr27
	v_cmpx_lt_i16_e32 0x7f, v10
	s_xor_b32 s28, exec_lo, s28
	s_cbranch_execnz .LBB2_1272
; %bb.867:                              ;   in Loop: Header=BB2_797 Depth=2
	s_or_saveexec_b32 s28, s28
	v_mov_b32_e32 v99, s27
	s_xor_b32 exec_lo, exec_lo, s28
	s_cbranch_execnz .LBB2_1275
.LBB2_868:                              ;   in Loop: Header=BB2_797 Depth=2
	s_or_b32 exec_lo, exec_lo, s28
	s_and_saveexec_b32 s27, s11
	s_cbranch_execz .LBB2_870
.LBB2_869:                              ;   in Loop: Header=BB2_797 Depth=2
	v_and_b32_e32 v99, 0xffff, v10
	v_lshlrev_b32_e32 v10, 24, v10
	s_delay_alu instid0(VALU_DEP_2) | instskip(NEXT) | instid1(VALU_DEP_2)
	v_and_b32_e32 v100, 7, v99
	v_and_b32_e32 v10, 0x80000000, v10
	s_delay_alu instid0(VALU_DEP_2) | instskip(NEXT) | instid1(VALU_DEP_1)
	v_clz_i32_u32_e32 v101, v100
	v_min_u32_e32 v101, 32, v101
	s_delay_alu instid0(VALU_DEP_1) | instskip(SKIP_1) | instid1(VALU_DEP_2)
	v_subrev_nc_u32_e32 v103, 28, v101
	v_sub_nc_u32_e32 v101, 29, v101
	v_lshlrev_b32_e32 v103, v103, v99
	v_bfe_u32 v99, v99, 3, 4
	s_delay_alu instid0(VALU_DEP_2) | instskip(NEXT) | instid1(VALU_DEP_2)
	v_and_b32_e32 v103, 7, v103
	v_cmp_eq_u32_e32 vcc_lo, 0, v99
	s_delay_alu instid0(VALU_DEP_2) | instskip(NEXT) | instid1(VALU_DEP_1)
	v_dual_cndmask_b32 v99, v99, v101 :: v_dual_cndmask_b32 v100, v100, v103
	v_lshl_add_u32 v99, v99, 23, 0x3b800000
	s_delay_alu instid0(VALU_DEP_2) | instskip(NEXT) | instid1(VALU_DEP_1)
	v_lshlrev_b32_e32 v100, 20, v100
	v_or3_b32 v99, v10, v99, v100
.LBB2_870:                              ;   in Loop: Header=BB2_797 Depth=2
	s_or_b32 exec_lo, exec_lo, s27
	s_delay_alu instid0(VALU_DEP_1) | instskip(SKIP_1) | instid1(VALU_DEP_1)
	v_dual_mul_f32 v10, s26, v99 :: v_dual_mov_b32 v129, 0x8000
	s_mov_b32 s27, exec_lo
	v_and_b32_e32 v99, 0x7f800000, v10
	s_delay_alu instid0(VALU_DEP_1)
	v_cmpx_ne_u32_e32 0x7f800000, v99
	s_cbranch_execz .LBB2_878
; %bb.871:                              ;   in Loop: Header=BB2_797 Depth=2
	v_mov_b32_e32 v129, 0
	s_mov_b32 s28, exec_lo
	v_cmpx_ne_u32_e32 0, v10
	s_cbranch_execz .LBB2_877
; %bb.872:                              ;   in Loop: Header=BB2_797 Depth=2
	v_bfe_u32 v99, v10, 23, 8
	s_delay_alu instid0(VALU_DEP_1) | instskip(SKIP_1) | instid1(VALU_DEP_2)
	v_sub_nc_u32_e32 v101, 0x78, v99
	v_cmp_gt_u32_e32 vcc_lo, 0x79, v99
	v_dual_cndmask_b32 v101, 0, v101 :: v_dual_and_b32 v100, 0x7fffff, v10
	s_delay_alu instid0(VALU_DEP_1) | instskip(SKIP_2) | instid1(VALU_DEP_4)
	v_or_b32_e32 v103, 0x800000, v100
	v_cmp_eq_u32_e32 vcc_lo, 0, v99
	v_add_nc_u32_e32 v99, 0xffffff89, v99
	v_cndmask_b32_e64 v101, v101, 0x77, vcc_lo
	s_delay_alu instid0(VALU_DEP_4) | instskip(NEXT) | instid1(VALU_DEP_3)
	v_cndmask_b32_e32 v100, v103, v100, vcc_lo
	v_cndmask_b32_e64 v99, v99, 0xffffff8a, vcc_lo
	s_delay_alu instid0(VALU_DEP_3) | instskip(NEXT) | instid1(VALU_DEP_3)
	v_lshl_add_u32 v103, 0x100000, v101, -1
	v_lshrrev_b32_e32 v112, v101, v100
	v_lshlrev_b32_e64 v114, v101, 0x80000
	s_delay_alu instid0(VALU_DEP_4) | instskip(NEXT) | instid1(VALU_DEP_4)
	v_add_nc_u32_e32 v101, v101, v99
	v_and_b32_e32 v100, v103, v100
	s_delay_alu instid0(VALU_DEP_4) | instskip(NEXT) | instid1(VALU_DEP_2)
	v_bfe_u32 v113, v112, 20, 1
	v_cmp_eq_u32_e64 s11, v100, v114
	s_delay_alu instid0(VALU_DEP_2) | instskip(NEXT) | instid1(VALU_DEP_1)
	v_add_nc_u32_e32 v103, -1, v113
	v_cndmask_b32_e64 v100, 0, v103, s11
	v_lshrrev_b32_e32 v103, 23, v112
	s_mov_b32 s11, exec_lo
	s_delay_alu instid0(VALU_DEP_2) | instskip(NEXT) | instid1(VALU_DEP_2)
	v_add_nc_u32_e32 v100, v100, v112
	v_xor_b32_e32 v103, 1, v103
	s_delay_alu instid0(VALU_DEP_2) | instskip(NEXT) | instid1(VALU_DEP_1)
	v_and_b32_e32 v99, 0xfffff, v100
	v_add_nc_u32_e32 v100, v99, v112
                                        ; implicit-def: $vgpr99
	s_delay_alu instid0(VALU_DEP_3)
	v_cmpx_ne_u32_e64 v101, v103
	s_xor_b32 s11, exec_lo, s11
; %bb.873:                              ;   in Loop: Header=BB2_797 Depth=2
	s_delay_alu instid0(VALU_DEP_2) | instskip(SKIP_2) | instid1(VALU_DEP_2)
	v_cmp_lt_u32_e32 vcc_lo, 0xffffff, v100
	v_sub_nc_u32_e32 v99, v101, v103
	v_cndmask_b32_e64 v101, 0, 1, vcc_lo
	v_add_co_ci_u32_e32 v99, vcc_lo, 0, v99, vcc_lo
	s_delay_alu instid0(VALU_DEP_2)
	v_lshrrev_b32_e32 v100, v101, v100
; %bb.874:                              ;   in Loop: Header=BB2_797 Depth=2
	s_and_not1_saveexec_b32 s11, s11
; %bb.875:                              ;   in Loop: Header=BB2_797 Depth=2
	s_delay_alu instid0(VALU_DEP_1)
	v_bfe_u32 v99, v100, 23, 1
; %bb.876:                              ;   in Loop: Header=BB2_797 Depth=2
	s_or_b32 exec_lo, exec_lo, s11
	v_lshrrev_b32_e32 v100, 20, v100
	s_delay_alu instid0(VALU_DEP_2) | instskip(SKIP_2) | instid1(VALU_DEP_3)
	v_min_i32_e32 v101, 15, v99
	v_cmp_gt_i32_e32 vcc_lo, 16, v99
	v_lshrrev_b32_e32 v10, 24, v10
	v_dual_cndmask_b32 v100, 7, v100 :: v_dual_lshlrev_b32 v101, 3, v101
	s_delay_alu instid0(VALU_DEP_2) | instskip(NEXT) | instid1(VALU_DEP_2)
	v_and_b32_e32 v10, 0x80, v10
	v_and_b32_e32 v101, 0xf8, v101
	s_delay_alu instid0(VALU_DEP_3) | instskip(SKIP_1) | instid1(VALU_DEP_2)
	v_and_b32_e32 v103, 7, v100
	v_or_b32_e32 v99, v99, v100
	v_or3_b32 v10, v10, v101, v103
	s_delay_alu instid0(VALU_DEP_2) | instskip(NEXT) | instid1(VALU_DEP_2)
	v_cmp_ne_u32_e32 vcc_lo, 0, v99
	v_lshlrev_b32_e32 v10, 8, v10
	s_delay_alu instid0(VALU_DEP_1)
	v_cndmask_b32_e32 v129, 0, v10, vcc_lo
.LBB2_877:                              ;   in Loop: Header=BB2_797 Depth=2
	s_or_b32 exec_lo, exec_lo, s28
.LBB2_878:                              ;   in Loop: Header=BB2_797 Depth=2
	s_delay_alu instid0(SALU_CYCLE_1) | instskip(SKIP_3) | instid1(VALU_DEP_1)
	s_or_b32 exec_lo, exec_lo, s27
	v_lshrrev_b32_e32 v10, 16, v11
	s_mov_b32 s11, 0
	s_mov_b32 s28, exec_lo
                                        ; implicit-def: $sgpr27
	v_and_b32_e32 v100, 0xff, v10
	s_delay_alu instid0(VALU_DEP_1)
	v_cmpx_lt_i16_e32 0x7f, v100
	s_xor_b32 s28, exec_lo, s28
	s_cbranch_execnz .LBB2_1276
; %bb.879:                              ;   in Loop: Header=BB2_797 Depth=2
	s_or_saveexec_b32 s28, s28
	v_mov_b32_e32 v99, s27
	s_xor_b32 exec_lo, exec_lo, s28
	s_cbranch_execnz .LBB2_1279
.LBB2_880:                              ;   in Loop: Header=BB2_797 Depth=2
	s_or_b32 exec_lo, exec_lo, s28
	s_and_saveexec_b32 s27, s11
	s_cbranch_execz .LBB2_882
.LBB2_881:                              ;   in Loop: Header=BB2_797 Depth=2
	v_bfe_u32 v99, v11, 16, 3
	s_delay_alu instid0(VALU_DEP_1) | instskip(NEXT) | instid1(VALU_DEP_1)
	v_clz_i32_u32_e32 v100, v99
	v_min_u32_e32 v100, 32, v100
	s_delay_alu instid0(VALU_DEP_1) | instskip(SKIP_1) | instid1(VALU_DEP_2)
	v_subrev_nc_u32_e32 v101, 28, v100
	v_sub_nc_u32_e32 v100, 29, v100
	v_lshlrev_b32_e32 v10, v101, v10
	v_bfe_u32 v101, v11, 19, 4
	s_delay_alu instid0(VALU_DEP_2) | instskip(NEXT) | instid1(VALU_DEP_2)
	v_and_b32_e32 v10, 7, v10
	v_cmp_eq_u32_e32 vcc_lo, 0, v101
	v_dual_cndmask_b32 v100, v101, v100 :: v_dual_lshlrev_b32 v103, 8, v11
	s_delay_alu instid0(VALU_DEP_1) | instskip(NEXT) | instid1(VALU_DEP_2)
	v_dual_cndmask_b32 v10, v99, v10 :: v_dual_and_b32 v99, 0x80000000, v103
	v_lshl_add_u32 v100, v100, 23, 0x3b800000
	s_delay_alu instid0(VALU_DEP_2) | instskip(NEXT) | instid1(VALU_DEP_1)
	v_lshlrev_b32_e32 v10, 20, v10
	v_or3_b32 v99, v99, v100, v10
.LBB2_882:                              ;   in Loop: Header=BB2_797 Depth=2
	s_or_b32 exec_lo, exec_lo, s27
	s_delay_alu instid0(VALU_DEP_1) | instskip(SKIP_1) | instid1(VALU_DEP_1)
	v_dual_mul_f32 v10, s26, v99 :: v_dual_mov_b32 v117, 0x80
	s_mov_b32 s27, exec_lo
	v_and_b32_e32 v99, 0x7f800000, v10
	s_delay_alu instid0(VALU_DEP_1)
	v_cmpx_ne_u32_e32 0x7f800000, v99
	s_cbranch_execz .LBB2_890
; %bb.883:                              ;   in Loop: Header=BB2_797 Depth=2
	v_mov_b32_e32 v117, 0
	s_mov_b32 s28, exec_lo
	v_cmpx_ne_u32_e32 0, v10
	s_cbranch_execz .LBB2_889
; %bb.884:                              ;   in Loop: Header=BB2_797 Depth=2
	v_bfe_u32 v99, v10, 23, 8
	s_delay_alu instid0(VALU_DEP_1) | instskip(SKIP_1) | instid1(VALU_DEP_2)
	v_sub_nc_u32_e32 v101, 0x78, v99
	v_cmp_gt_u32_e32 vcc_lo, 0x79, v99
	v_dual_cndmask_b32 v101, 0, v101 :: v_dual_and_b32 v100, 0x7fffff, v10
	s_delay_alu instid0(VALU_DEP_1) | instskip(SKIP_2) | instid1(VALU_DEP_4)
	v_or_b32_e32 v103, 0x800000, v100
	v_cmp_eq_u32_e32 vcc_lo, 0, v99
	v_add_nc_u32_e32 v99, 0xffffff89, v99
	v_cndmask_b32_e64 v101, v101, 0x77, vcc_lo
	s_delay_alu instid0(VALU_DEP_4) | instskip(NEXT) | instid1(VALU_DEP_3)
	v_cndmask_b32_e32 v100, v103, v100, vcc_lo
	v_cndmask_b32_e64 v99, v99, 0xffffff8a, vcc_lo
	s_delay_alu instid0(VALU_DEP_3) | instskip(NEXT) | instid1(VALU_DEP_3)
	v_lshl_add_u32 v103, 0x100000, v101, -1
	v_lshrrev_b32_e32 v112, v101, v100
	v_lshlrev_b32_e64 v114, v101, 0x80000
	s_delay_alu instid0(VALU_DEP_4) | instskip(NEXT) | instid1(VALU_DEP_4)
	v_add_nc_u32_e32 v101, v101, v99
	v_and_b32_e32 v100, v103, v100
	s_delay_alu instid0(VALU_DEP_4) | instskip(NEXT) | instid1(VALU_DEP_2)
	v_bfe_u32 v113, v112, 20, 1
	v_cmp_eq_u32_e64 s11, v100, v114
	s_delay_alu instid0(VALU_DEP_2) | instskip(NEXT) | instid1(VALU_DEP_1)
	v_add_nc_u32_e32 v103, -1, v113
	v_cndmask_b32_e64 v100, 0, v103, s11
	v_lshrrev_b32_e32 v103, 23, v112
	s_mov_b32 s11, exec_lo
	s_delay_alu instid0(VALU_DEP_2) | instskip(NEXT) | instid1(VALU_DEP_2)
	v_add_nc_u32_e32 v100, v100, v112
	v_xor_b32_e32 v103, 1, v103
	s_delay_alu instid0(VALU_DEP_2) | instskip(NEXT) | instid1(VALU_DEP_1)
	v_and_b32_e32 v99, 0xfffff, v100
	v_add_nc_u32_e32 v100, v99, v112
                                        ; implicit-def: $vgpr99
	s_delay_alu instid0(VALU_DEP_3)
	v_cmpx_ne_u32_e64 v101, v103
	s_xor_b32 s11, exec_lo, s11
; %bb.885:                              ;   in Loop: Header=BB2_797 Depth=2
	s_delay_alu instid0(VALU_DEP_2) | instskip(SKIP_2) | instid1(VALU_DEP_2)
	v_cmp_lt_u32_e32 vcc_lo, 0xffffff, v100
	v_sub_nc_u32_e32 v99, v101, v103
	v_cndmask_b32_e64 v101, 0, 1, vcc_lo
	v_add_co_ci_u32_e32 v99, vcc_lo, 0, v99, vcc_lo
	s_delay_alu instid0(VALU_DEP_2)
	v_lshrrev_b32_e32 v100, v101, v100
; %bb.886:                              ;   in Loop: Header=BB2_797 Depth=2
	s_and_not1_saveexec_b32 s11, s11
; %bb.887:                              ;   in Loop: Header=BB2_797 Depth=2
	s_delay_alu instid0(VALU_DEP_1)
	v_bfe_u32 v99, v100, 23, 1
; %bb.888:                              ;   in Loop: Header=BB2_797 Depth=2
	s_or_b32 exec_lo, exec_lo, s11
	v_lshrrev_b32_e32 v100, 20, v100
	s_delay_alu instid0(VALU_DEP_2) | instskip(SKIP_2) | instid1(VALU_DEP_3)
	v_min_i32_e32 v101, 15, v99
	v_cmp_gt_i32_e32 vcc_lo, 16, v99
	v_lshrrev_b32_e32 v10, 24, v10
	v_dual_cndmask_b32 v100, 7, v100 :: v_dual_lshlrev_b32 v101, 3, v101
	s_delay_alu instid0(VALU_DEP_2) | instskip(NEXT) | instid1(VALU_DEP_2)
	v_and_b32_e32 v10, 0x80, v10
	v_and_b32_e32 v101, 0xf8, v101
	s_delay_alu instid0(VALU_DEP_3) | instskip(SKIP_1) | instid1(VALU_DEP_2)
	v_and_b32_e32 v103, 7, v100
	v_or_b32_e32 v99, v99, v100
	v_or3_b32 v10, v101, v10, v103
	s_delay_alu instid0(VALU_DEP_2) | instskip(NEXT) | instid1(VALU_DEP_2)
	v_cmp_ne_u32_e32 vcc_lo, 0, v99
	v_cndmask_b32_e32 v117, 0, v10, vcc_lo
.LBB2_889:                              ;   in Loop: Header=BB2_797 Depth=2
	s_or_b32 exec_lo, exec_lo, s28
.LBB2_890:                              ;   in Loop: Header=BB2_797 Depth=2
	s_delay_alu instid0(SALU_CYCLE_1) | instskip(SKIP_3) | instid1(VALU_DEP_1)
	s_or_b32 exec_lo, exec_lo, s27
	v_lshrrev_b32_e32 v10, 24, v11
	s_mov_b32 s11, 0
	s_mov_b32 s28, exec_lo
                                        ; implicit-def: $sgpr27
	v_cmpx_lt_i16_e32 0x7f, v10
	s_xor_b32 s28, exec_lo, s28
	s_cbranch_execnz .LBB2_1280
; %bb.891:                              ;   in Loop: Header=BB2_797 Depth=2
	s_or_saveexec_b32 s28, s28
	v_mov_b32_e32 v99, s27
	s_xor_b32 exec_lo, exec_lo, s28
	s_cbranch_execnz .LBB2_1283
.LBB2_892:                              ;   in Loop: Header=BB2_797 Depth=2
	s_or_b32 exec_lo, exec_lo, s28
	s_and_saveexec_b32 s27, s11
	s_cbranch_execz .LBB2_894
.LBB2_893:                              ;   in Loop: Header=BB2_797 Depth=2
	v_bfe_u32 v99, v11, 24, 3
	s_delay_alu instid0(VALU_DEP_1) | instskip(NEXT) | instid1(VALU_DEP_1)
	v_clz_i32_u32_e32 v100, v99
	v_min_u32_e32 v100, 32, v100
	s_delay_alu instid0(VALU_DEP_1) | instskip(SKIP_1) | instid1(VALU_DEP_2)
	v_subrev_nc_u32_e32 v101, 28, v100
	v_sub_nc_u32_e32 v100, 29, v100
	v_lshlrev_b32_e32 v10, v101, v10
	v_bfe_u32 v101, v11, 27, 4
	v_and_b32_e32 v11, 0x80000000, v11
	s_delay_alu instid0(VALU_DEP_3) | instskip(NEXT) | instid1(VALU_DEP_3)
	v_and_b32_e32 v10, 7, v10
	v_cmp_eq_u32_e32 vcc_lo, 0, v101
	v_cndmask_b32_e32 v100, v101, v100, vcc_lo
	s_delay_alu instid0(VALU_DEP_3) | instskip(NEXT) | instid1(VALU_DEP_2)
	v_cndmask_b32_e32 v10, v99, v10, vcc_lo
	v_lshl_add_u32 v99, v100, 23, 0x3b800000
	s_delay_alu instid0(VALU_DEP_2) | instskip(NEXT) | instid1(VALU_DEP_1)
	v_lshlrev_b32_e32 v10, 20, v10
	v_or3_b32 v99, v11, v99, v10
.LBB2_894:                              ;   in Loop: Header=BB2_797 Depth=2
	s_or_b32 exec_lo, exec_lo, s27
	s_delay_alu instid0(VALU_DEP_1) | instskip(SKIP_2) | instid1(VALU_DEP_2)
	v_mul_f32_e32 v10, s26, v99
	v_mov_b32_e32 v128, 0x8000
	s_mov_b32 s27, exec_lo
	v_and_b32_e32 v11, 0x7f800000, v10
	s_delay_alu instid0(VALU_DEP_1)
	v_cmpx_ne_u32_e32 0x7f800000, v11
	s_cbranch_execz .LBB2_902
; %bb.895:                              ;   in Loop: Header=BB2_797 Depth=2
	v_mov_b32_e32 v128, 0
	s_mov_b32 s28, exec_lo
	v_cmpx_ne_u32_e32 0, v10
	s_cbranch_execz .LBB2_901
; %bb.896:                              ;   in Loop: Header=BB2_797 Depth=2
	v_bfe_u32 v11, v10, 23, 8
	s_delay_alu instid0(VALU_DEP_1) | instskip(SKIP_1) | instid1(VALU_DEP_2)
	v_sub_nc_u32_e32 v100, 0x78, v11
	v_cmp_gt_u32_e32 vcc_lo, 0x79, v11
	v_dual_cndmask_b32 v100, 0, v100 :: v_dual_and_b32 v99, 0x7fffff, v10
	s_delay_alu instid0(VALU_DEP_1) | instskip(SKIP_2) | instid1(VALU_DEP_4)
	v_or_b32_e32 v101, 0x800000, v99
	v_cmp_eq_u32_e32 vcc_lo, 0, v11
	v_add_nc_u32_e32 v11, 0xffffff89, v11
	v_cndmask_b32_e64 v100, v100, 0x77, vcc_lo
	s_delay_alu instid0(VALU_DEP_4) | instskip(NEXT) | instid1(VALU_DEP_3)
	v_cndmask_b32_e32 v99, v101, v99, vcc_lo
	v_cndmask_b32_e64 v11, v11, 0xffffff8a, vcc_lo
	s_delay_alu instid0(VALU_DEP_3) | instskip(NEXT) | instid1(VALU_DEP_3)
	v_lshl_add_u32 v101, 0x100000, v100, -1
	v_lshrrev_b32_e32 v103, v100, v99
	v_lshlrev_b32_e64 v113, v100, 0x80000
	s_delay_alu instid0(VALU_DEP_4) | instskip(NEXT) | instid1(VALU_DEP_4)
	v_add_nc_u32_e32 v100, v100, v11
	v_and_b32_e32 v99, v101, v99
	s_delay_alu instid0(VALU_DEP_4) | instskip(NEXT) | instid1(VALU_DEP_2)
	v_bfe_u32 v112, v103, 20, 1
	v_cmp_eq_u32_e64 s11, v99, v113
	s_delay_alu instid0(VALU_DEP_2) | instskip(NEXT) | instid1(VALU_DEP_1)
	v_add_nc_u32_e32 v101, -1, v112
	v_cndmask_b32_e64 v99, 0, v101, s11
	v_lshrrev_b32_e32 v101, 23, v103
	s_mov_b32 s11, exec_lo
	s_delay_alu instid0(VALU_DEP_2) | instskip(NEXT) | instid1(VALU_DEP_2)
	v_add_nc_u32_e32 v99, v99, v103
	v_xor_b32_e32 v101, 1, v101
	s_delay_alu instid0(VALU_DEP_2) | instskip(NEXT) | instid1(VALU_DEP_1)
	v_and_b32_e32 v11, 0xfffff, v99
	v_add_nc_u32_e32 v99, v11, v103
                                        ; implicit-def: $vgpr11
	s_delay_alu instid0(VALU_DEP_3)
	v_cmpx_ne_u32_e64 v100, v101
	s_xor_b32 s11, exec_lo, s11
; %bb.897:                              ;   in Loop: Header=BB2_797 Depth=2
	s_delay_alu instid0(VALU_DEP_2) | instskip(SKIP_2) | instid1(VALU_DEP_2)
	v_cmp_lt_u32_e32 vcc_lo, 0xffffff, v99
	v_sub_nc_u32_e32 v11, v100, v101
	v_cndmask_b32_e64 v100, 0, 1, vcc_lo
	v_add_co_ci_u32_e32 v11, vcc_lo, 0, v11, vcc_lo
	s_delay_alu instid0(VALU_DEP_2)
	v_lshrrev_b32_e32 v99, v100, v99
; %bb.898:                              ;   in Loop: Header=BB2_797 Depth=2
	s_and_not1_saveexec_b32 s11, s11
; %bb.899:                              ;   in Loop: Header=BB2_797 Depth=2
	s_delay_alu instid0(VALU_DEP_1)
	v_bfe_u32 v11, v99, 23, 1
; %bb.900:                              ;   in Loop: Header=BB2_797 Depth=2
	s_or_b32 exec_lo, exec_lo, s11
	v_lshrrev_b32_e32 v99, 20, v99
	s_delay_alu instid0(VALU_DEP_2) | instskip(SKIP_2) | instid1(VALU_DEP_2)
	v_cmp_gt_i32_e32 vcc_lo, 16, v11
	v_min_i32_e32 v100, 15, v11
	v_lshrrev_b32_e32 v10, 24, v10
	v_dual_cndmask_b32 v99, 7, v99 :: v_dual_lshlrev_b32 v100, 3, v100
	s_delay_alu instid0(VALU_DEP_2) | instskip(NEXT) | instid1(VALU_DEP_2)
	v_and_b32_e32 v10, 0x80, v10
	v_or_b32_e32 v11, v11, v99
	s_delay_alu instid0(VALU_DEP_3) | instskip(NEXT) | instid1(VALU_DEP_2)
	v_and_b32_e32 v100, 0xf8, v100
	v_cmp_ne_u32_e32 vcc_lo, 0, v11
	v_and_b32_e32 v101, 7, v99
	s_delay_alu instid0(VALU_DEP_1) | instskip(NEXT) | instid1(VALU_DEP_1)
	v_or3_b32 v10, v10, v100, v101
	v_lshlrev_b32_e32 v10, 8, v10
	s_delay_alu instid0(VALU_DEP_1)
	v_cndmask_b32_e32 v128, 0, v10, vcc_lo
.LBB2_901:                              ;   in Loop: Header=BB2_797 Depth=2
	s_or_b32 exec_lo, exec_lo, s28
.LBB2_902:                              ;   in Loop: Header=BB2_797 Depth=2
	s_delay_alu instid0(SALU_CYCLE_1) | instskip(SKIP_3) | instid1(VALU_DEP_1)
	s_or_b32 exec_lo, exec_lo, s27
	v_and_b32_e32 v11, 0xff, v12
	s_mov_b32 s11, 0
	s_mov_b32 s28, exec_lo
                                        ; implicit-def: $sgpr27
	v_cmpx_lt_i16_e32 0x7f, v11
	s_xor_b32 s28, exec_lo, s28
	s_cbranch_execnz .LBB2_1284
; %bb.903:                              ;   in Loop: Header=BB2_797 Depth=2
	s_or_saveexec_b32 s28, s28
	v_mov_b32_e32 v10, s27
	s_xor_b32 exec_lo, exec_lo, s28
	s_cbranch_execnz .LBB2_1287
.LBB2_904:                              ;   in Loop: Header=BB2_797 Depth=2
	s_or_b32 exec_lo, exec_lo, s28
	s_and_saveexec_b32 s27, s11
	s_cbranch_execz .LBB2_906
.LBB2_905:                              ;   in Loop: Header=BB2_797 Depth=2
	v_bfe_u32 v100, v12, 3, 4
	s_delay_alu instid0(VALU_DEP_1) | instskip(SKIP_1) | instid1(VALU_DEP_1)
	v_cmp_eq_u32_e32 vcc_lo, 0, v100
	v_and_b32_e32 v10, 7, v12
	v_clz_i32_u32_e32 v11, v10
	s_delay_alu instid0(VALU_DEP_1) | instskip(NEXT) | instid1(VALU_DEP_1)
	v_min_u32_e32 v11, 32, v11
	v_subrev_nc_u32_e32 v99, 28, v11
	v_sub_nc_u32_e32 v11, 29, v11
	s_delay_alu instid0(VALU_DEP_2) | instskip(NEXT) | instid1(VALU_DEP_2)
	v_lshlrev_b32_e32 v99, v99, v12
	v_cndmask_b32_e32 v11, v100, v11, vcc_lo
	s_delay_alu instid0(VALU_DEP_2) | instskip(SKIP_1) | instid1(VALU_DEP_3)
	v_and_b32_e32 v99, 7, v99
	v_lshlrev_b32_e32 v101, 24, v12
	v_lshl_add_u32 v11, v11, 23, 0x3b800000
	s_delay_alu instid0(VALU_DEP_2) | instskip(NEXT) | instid1(VALU_DEP_1)
	v_dual_cndmask_b32 v10, v10, v99 :: v_dual_and_b32 v99, 0x80000000, v101
	v_lshlrev_b32_e32 v10, 20, v10
	s_delay_alu instid0(VALU_DEP_1)
	v_or3_b32 v10, v99, v11, v10
.LBB2_906:                              ;   in Loop: Header=BB2_797 Depth=2
	s_or_b32 exec_lo, exec_lo, s27
	s_delay_alu instid0(VALU_DEP_1) | instskip(SKIP_1) | instid1(VALU_DEP_1)
	v_dual_mul_f32 v10, s26, v10 :: v_dual_mov_b32 v115, 0x80
	s_mov_b32 s27, exec_lo
	v_and_b32_e32 v11, 0x7f800000, v10
	s_delay_alu instid0(VALU_DEP_1)
	v_cmpx_ne_u32_e32 0x7f800000, v11
	s_cbranch_execz .LBB2_914
; %bb.907:                              ;   in Loop: Header=BB2_797 Depth=2
	v_mov_b32_e32 v115, 0
	s_mov_b32 s28, exec_lo
	v_cmpx_ne_u32_e32 0, v10
	s_cbranch_execz .LBB2_913
; %bb.908:                              ;   in Loop: Header=BB2_797 Depth=2
	v_bfe_u32 v11, v10, 23, 8
	s_delay_alu instid0(VALU_DEP_1) | instskip(SKIP_1) | instid1(VALU_DEP_2)
	v_sub_nc_u32_e32 v100, 0x78, v11
	v_cmp_gt_u32_e32 vcc_lo, 0x79, v11
	v_dual_cndmask_b32 v100, 0, v100 :: v_dual_and_b32 v99, 0x7fffff, v10
	s_delay_alu instid0(VALU_DEP_1) | instskip(SKIP_2) | instid1(VALU_DEP_4)
	v_or_b32_e32 v101, 0x800000, v99
	v_cmp_eq_u32_e32 vcc_lo, 0, v11
	v_add_nc_u32_e32 v11, 0xffffff89, v11
	v_cndmask_b32_e64 v100, v100, 0x77, vcc_lo
	s_delay_alu instid0(VALU_DEP_4) | instskip(NEXT) | instid1(VALU_DEP_3)
	v_cndmask_b32_e32 v99, v101, v99, vcc_lo
	v_cndmask_b32_e64 v11, v11, 0xffffff8a, vcc_lo
	s_delay_alu instid0(VALU_DEP_3) | instskip(NEXT) | instid1(VALU_DEP_3)
	v_lshl_add_u32 v101, 0x100000, v100, -1
	v_lshrrev_b32_e32 v103, v100, v99
	v_lshlrev_b32_e64 v113, v100, 0x80000
	s_delay_alu instid0(VALU_DEP_4) | instskip(NEXT) | instid1(VALU_DEP_4)
	v_add_nc_u32_e32 v100, v100, v11
	v_and_b32_e32 v99, v101, v99
	s_delay_alu instid0(VALU_DEP_4) | instskip(NEXT) | instid1(VALU_DEP_2)
	v_bfe_u32 v112, v103, 20, 1
	v_cmp_eq_u32_e64 s11, v99, v113
	s_delay_alu instid0(VALU_DEP_2) | instskip(NEXT) | instid1(VALU_DEP_1)
	v_add_nc_u32_e32 v101, -1, v112
	v_cndmask_b32_e64 v99, 0, v101, s11
	v_lshrrev_b32_e32 v101, 23, v103
	s_mov_b32 s11, exec_lo
	s_delay_alu instid0(VALU_DEP_2) | instskip(NEXT) | instid1(VALU_DEP_2)
	v_add_nc_u32_e32 v99, v99, v103
	v_xor_b32_e32 v101, 1, v101
	s_delay_alu instid0(VALU_DEP_2) | instskip(NEXT) | instid1(VALU_DEP_1)
	v_and_b32_e32 v11, 0xfffff, v99
	v_add_nc_u32_e32 v99, v11, v103
                                        ; implicit-def: $vgpr11
	s_delay_alu instid0(VALU_DEP_3)
	v_cmpx_ne_u32_e64 v100, v101
	s_xor_b32 s11, exec_lo, s11
; %bb.909:                              ;   in Loop: Header=BB2_797 Depth=2
	s_delay_alu instid0(VALU_DEP_2) | instskip(SKIP_2) | instid1(VALU_DEP_2)
	v_cmp_lt_u32_e32 vcc_lo, 0xffffff, v99
	v_sub_nc_u32_e32 v11, v100, v101
	v_cndmask_b32_e64 v100, 0, 1, vcc_lo
	v_add_co_ci_u32_e32 v11, vcc_lo, 0, v11, vcc_lo
	s_delay_alu instid0(VALU_DEP_2)
	v_lshrrev_b32_e32 v99, v100, v99
; %bb.910:                              ;   in Loop: Header=BB2_797 Depth=2
	s_and_not1_saveexec_b32 s11, s11
; %bb.911:                              ;   in Loop: Header=BB2_797 Depth=2
	s_delay_alu instid0(VALU_DEP_1)
	v_bfe_u32 v11, v99, 23, 1
; %bb.912:                              ;   in Loop: Header=BB2_797 Depth=2
	s_or_b32 exec_lo, exec_lo, s11
	v_lshrrev_b32_e32 v99, 20, v99
	s_delay_alu instid0(VALU_DEP_2) | instskip(SKIP_2) | instid1(VALU_DEP_2)
	v_cmp_gt_i32_e32 vcc_lo, 16, v11
	v_lshrrev_b32_e32 v10, 24, v10
	v_min_i32_e32 v100, 15, v11
	v_dual_cndmask_b32 v99, 7, v99 :: v_dual_and_b32 v10, 0x80, v10
	s_delay_alu instid0(VALU_DEP_1) | instskip(SKIP_1) | instid1(VALU_DEP_2)
	v_or_b32_e32 v11, v11, v99
	v_and_b32_e32 v101, 7, v99
	v_cmp_ne_u32_e32 vcc_lo, 0, v11
	v_lshlrev_b32_e32 v100, 3, v100
	s_delay_alu instid0(VALU_DEP_1) | instskip(NEXT) | instid1(VALU_DEP_1)
	v_or3_b32 v10, v100, v10, v101
	v_cndmask_b32_e32 v115, 0, v10, vcc_lo
.LBB2_913:                              ;   in Loop: Header=BB2_797 Depth=2
	s_or_b32 exec_lo, exec_lo, s28
.LBB2_914:                              ;   in Loop: Header=BB2_797 Depth=2
	s_delay_alu instid0(SALU_CYCLE_1) | instskip(SKIP_3) | instid1(VALU_DEP_1)
	s_or_b32 exec_lo, exec_lo, s27
	v_lshrrev_b16 v10, 8, v12
	s_mov_b32 s11, 0
	s_mov_b32 s28, exec_lo
                                        ; implicit-def: $sgpr27
	v_cmpx_lt_i16_e32 0x7f, v10
	s_xor_b32 s28, exec_lo, s28
	s_cbranch_execnz .LBB2_1288
; %bb.915:                              ;   in Loop: Header=BB2_797 Depth=2
	s_or_saveexec_b32 s28, s28
	v_mov_b32_e32 v11, s27
	s_xor_b32 exec_lo, exec_lo, s28
	s_cbranch_execnz .LBB2_1291
.LBB2_916:                              ;   in Loop: Header=BB2_797 Depth=2
	s_or_b32 exec_lo, exec_lo, s28
	s_and_saveexec_b32 s27, s11
	s_cbranch_execz .LBB2_918
.LBB2_917:                              ;   in Loop: Header=BB2_797 Depth=2
	v_and_b32_e32 v11, 0xffff, v10
	s_delay_alu instid0(VALU_DEP_1) | instskip(NEXT) | instid1(VALU_DEP_1)
	v_and_b32_e32 v99, 7, v11
	v_clz_i32_u32_e32 v100, v99
	s_delay_alu instid0(VALU_DEP_1) | instskip(NEXT) | instid1(VALU_DEP_1)
	v_min_u32_e32 v100, 32, v100
	v_subrev_nc_u32_e32 v101, 28, v100
	v_sub_nc_u32_e32 v100, 29, v100
	s_delay_alu instid0(VALU_DEP_2) | instskip(SKIP_1) | instid1(VALU_DEP_2)
	v_lshlrev_b32_e32 v101, v101, v11
	v_bfe_u32 v11, v11, 3, 4
	v_and_b32_e32 v101, 7, v101
	s_delay_alu instid0(VALU_DEP_2) | instskip(SKIP_1) | instid1(VALU_DEP_1)
	v_cmp_eq_u32_e32 vcc_lo, 0, v11
	v_dual_cndmask_b32 v11, v11, v100 :: v_dual_lshlrev_b32 v10, 24, v10
	v_dual_cndmask_b32 v99, v99, v101 :: v_dual_and_b32 v10, 0x80000000, v10
	s_delay_alu instid0(VALU_DEP_2) | instskip(NEXT) | instid1(VALU_DEP_2)
	v_lshl_add_u32 v11, v11, 23, 0x3b800000
	v_lshlrev_b32_e32 v99, 20, v99
	s_delay_alu instid0(VALU_DEP_1)
	v_or3_b32 v11, v10, v11, v99
.LBB2_918:                              ;   in Loop: Header=BB2_797 Depth=2
	s_or_b32 exec_lo, exec_lo, s27
	s_delay_alu instid0(VALU_DEP_1) | instskip(SKIP_1) | instid1(VALU_DEP_1)
	v_dual_mul_f32 v10, s26, v11 :: v_dual_mov_b32 v113, 0x80
	s_mov_b32 s27, exec_lo
	v_and_b32_e32 v11, 0x7f800000, v10
	s_delay_alu instid0(VALU_DEP_1)
	v_cmpx_ne_u32_e32 0x7f800000, v11
	s_cbranch_execz .LBB2_926
; %bb.919:                              ;   in Loop: Header=BB2_797 Depth=2
	v_mov_b32_e32 v113, 0
	s_mov_b32 s28, exec_lo
	v_cmpx_ne_u32_e32 0, v10
	s_cbranch_execz .LBB2_925
; %bb.920:                              ;   in Loop: Header=BB2_797 Depth=2
	v_bfe_u32 v11, v10, 23, 8
	s_delay_alu instid0(VALU_DEP_1) | instskip(SKIP_1) | instid1(VALU_DEP_2)
	v_sub_nc_u32_e32 v100, 0x78, v11
	v_cmp_gt_u32_e32 vcc_lo, 0x79, v11
	v_dual_cndmask_b32 v100, 0, v100 :: v_dual_and_b32 v99, 0x7fffff, v10
	s_delay_alu instid0(VALU_DEP_1) | instskip(SKIP_2) | instid1(VALU_DEP_4)
	v_or_b32_e32 v101, 0x800000, v99
	v_cmp_eq_u32_e32 vcc_lo, 0, v11
	v_add_nc_u32_e32 v11, 0xffffff89, v11
	v_cndmask_b32_e64 v100, v100, 0x77, vcc_lo
	s_delay_alu instid0(VALU_DEP_4) | instskip(NEXT) | instid1(VALU_DEP_3)
	v_cndmask_b32_e32 v99, v101, v99, vcc_lo
	v_cndmask_b32_e64 v11, v11, 0xffffff8a, vcc_lo
	s_delay_alu instid0(VALU_DEP_3) | instskip(NEXT) | instid1(VALU_DEP_3)
	v_lshl_add_u32 v101, 0x100000, v100, -1
	v_lshrrev_b32_e32 v103, v100, v99
	v_lshlrev_b32_e64 v113, v100, 0x80000
	s_delay_alu instid0(VALU_DEP_4) | instskip(NEXT) | instid1(VALU_DEP_4)
	v_add_nc_u32_e32 v100, v100, v11
	v_and_b32_e32 v99, v101, v99
	s_delay_alu instid0(VALU_DEP_4) | instskip(NEXT) | instid1(VALU_DEP_2)
	v_bfe_u32 v112, v103, 20, 1
	v_cmp_eq_u32_e64 s11, v99, v113
	s_delay_alu instid0(VALU_DEP_2) | instskip(NEXT) | instid1(VALU_DEP_1)
	v_add_nc_u32_e32 v101, -1, v112
	v_cndmask_b32_e64 v99, 0, v101, s11
	v_lshrrev_b32_e32 v101, 23, v103
	s_mov_b32 s11, exec_lo
	s_delay_alu instid0(VALU_DEP_2) | instskip(NEXT) | instid1(VALU_DEP_2)
	v_add_nc_u32_e32 v99, v99, v103
	v_xor_b32_e32 v101, 1, v101
	s_delay_alu instid0(VALU_DEP_2) | instskip(NEXT) | instid1(VALU_DEP_1)
	v_and_b32_e32 v11, 0xfffff, v99
	v_add_nc_u32_e32 v99, v11, v103
                                        ; implicit-def: $vgpr11
	s_delay_alu instid0(VALU_DEP_3)
	v_cmpx_ne_u32_e64 v100, v101
	s_xor_b32 s11, exec_lo, s11
; %bb.921:                              ;   in Loop: Header=BB2_797 Depth=2
	s_delay_alu instid0(VALU_DEP_2) | instskip(SKIP_2) | instid1(VALU_DEP_2)
	v_cmp_lt_u32_e32 vcc_lo, 0xffffff, v99
	v_sub_nc_u32_e32 v11, v100, v101
	v_cndmask_b32_e64 v100, 0, 1, vcc_lo
	v_add_co_ci_u32_e32 v11, vcc_lo, 0, v11, vcc_lo
	s_delay_alu instid0(VALU_DEP_2)
	v_lshrrev_b32_e32 v99, v100, v99
; %bb.922:                              ;   in Loop: Header=BB2_797 Depth=2
	s_and_not1_saveexec_b32 s11, s11
; %bb.923:                              ;   in Loop: Header=BB2_797 Depth=2
	s_delay_alu instid0(VALU_DEP_1)
	v_bfe_u32 v11, v99, 23, 1
; %bb.924:                              ;   in Loop: Header=BB2_797 Depth=2
	s_or_b32 exec_lo, exec_lo, s11
	v_lshrrev_b32_e32 v99, 20, v99
	s_delay_alu instid0(VALU_DEP_2) | instskip(SKIP_2) | instid1(VALU_DEP_2)
	v_cmp_gt_i32_e32 vcc_lo, 16, v11
	v_lshrrev_b32_e32 v10, 24, v10
	v_min_i32_e32 v100, 15, v11
	v_dual_cndmask_b32 v99, 7, v99 :: v_dual_and_b32 v10, 0x80, v10
	s_delay_alu instid0(VALU_DEP_1) | instskip(SKIP_1) | instid1(VALU_DEP_2)
	v_or_b32_e32 v11, v11, v99
	v_and_b32_e32 v101, 7, v99
	v_cmp_ne_u32_e32 vcc_lo, 0, v11
	v_lshlrev_b32_e32 v100, 3, v100
	s_delay_alu instid0(VALU_DEP_1) | instskip(NEXT) | instid1(VALU_DEP_1)
	v_or3_b32 v10, v100, v10, v101
	v_cndmask_b32_e32 v113, 0, v10, vcc_lo
.LBB2_925:                              ;   in Loop: Header=BB2_797 Depth=2
	s_or_b32 exec_lo, exec_lo, s28
.LBB2_926:                              ;   in Loop: Header=BB2_797 Depth=2
	s_delay_alu instid0(SALU_CYCLE_1) | instskip(SKIP_3) | instid1(VALU_DEP_1)
	s_or_b32 exec_lo, exec_lo, s27
	v_lshrrev_b32_e32 v10, 16, v12
	s_mov_b32 s11, 0
	s_mov_b32 s28, exec_lo
                                        ; implicit-def: $sgpr27
	v_and_b32_e32 v99, 0xff, v10
	s_delay_alu instid0(VALU_DEP_1)
	v_cmpx_lt_i16_e32 0x7f, v99
	s_xor_b32 s28, exec_lo, s28
	s_cbranch_execnz .LBB2_1292
; %bb.927:                              ;   in Loop: Header=BB2_797 Depth=2
	s_or_saveexec_b32 s28, s28
	v_mov_b32_e32 v11, s27
	s_xor_b32 exec_lo, exec_lo, s28
	s_cbranch_execnz .LBB2_1295
.LBB2_928:                              ;   in Loop: Header=BB2_797 Depth=2
	s_or_b32 exec_lo, exec_lo, s28
	s_and_saveexec_b32 s27, s11
	s_cbranch_execz .LBB2_930
.LBB2_929:                              ;   in Loop: Header=BB2_797 Depth=2
	v_bfe_u32 v11, v12, 16, 3
	s_delay_alu instid0(VALU_DEP_1) | instskip(NEXT) | instid1(VALU_DEP_1)
	v_clz_i32_u32_e32 v99, v11
	v_min_u32_e32 v99, 32, v99
	s_delay_alu instid0(VALU_DEP_1) | instskip(SKIP_1) | instid1(VALU_DEP_2)
	v_subrev_nc_u32_e32 v100, 28, v99
	v_sub_nc_u32_e32 v99, 29, v99
	v_lshlrev_b32_e32 v10, v100, v10
	v_bfe_u32 v100, v12, 19, 4
	s_delay_alu instid0(VALU_DEP_1) | instskip(NEXT) | instid1(VALU_DEP_3)
	v_cmp_eq_u32_e32 vcc_lo, 0, v100
	v_dual_cndmask_b32 v99, v100, v99 :: v_dual_and_b32 v10, 7, v10
	s_delay_alu instid0(VALU_DEP_1) | instskip(NEXT) | instid1(VALU_DEP_2)
	v_dual_cndmask_b32 v10, v11, v10 :: v_dual_lshlrev_b32 v101, 8, v12
	v_lshl_add_u32 v99, v99, 23, 0x3b800000
	s_delay_alu instid0(VALU_DEP_2) | instskip(NEXT) | instid1(VALU_DEP_3)
	v_and_b32_e32 v11, 0x80000000, v101
	v_lshlrev_b32_e32 v10, 20, v10
	s_delay_alu instid0(VALU_DEP_1)
	v_or3_b32 v11, v11, v99, v10
.LBB2_930:                              ;   in Loop: Header=BB2_797 Depth=2
	s_or_b32 exec_lo, exec_lo, s27
	s_delay_alu instid0(VALU_DEP_1) | instskip(SKIP_2) | instid1(VALU_DEP_2)
	v_mul_f32_e32 v10, s26, v11
	v_mov_b32_e32 v112, 0x80
	s_mov_b32 s27, exec_lo
	v_and_b32_e32 v11, 0x7f800000, v10
	s_delay_alu instid0(VALU_DEP_1)
	v_cmpx_ne_u32_e32 0x7f800000, v11
	s_cbranch_execz .LBB2_938
; %bb.931:                              ;   in Loop: Header=BB2_797 Depth=2
	v_mov_b32_e32 v112, 0
	s_mov_b32 s28, exec_lo
	v_cmpx_ne_u32_e32 0, v10
	s_cbranch_execz .LBB2_937
; %bb.932:                              ;   in Loop: Header=BB2_797 Depth=2
	v_bfe_u32 v11, v10, 23, 8
	s_delay_alu instid0(VALU_DEP_1) | instskip(SKIP_1) | instid1(VALU_DEP_2)
	v_sub_nc_u32_e32 v100, 0x78, v11
	v_cmp_gt_u32_e32 vcc_lo, 0x79, v11
	v_dual_cndmask_b32 v100, 0, v100 :: v_dual_and_b32 v99, 0x7fffff, v10
	s_delay_alu instid0(VALU_DEP_1) | instskip(SKIP_2) | instid1(VALU_DEP_4)
	v_or_b32_e32 v101, 0x800000, v99
	v_cmp_eq_u32_e32 vcc_lo, 0, v11
	v_add_nc_u32_e32 v11, 0xffffff89, v11
	v_cndmask_b32_e64 v100, v100, 0x77, vcc_lo
	s_delay_alu instid0(VALU_DEP_4) | instskip(NEXT) | instid1(VALU_DEP_3)
	v_cndmask_b32_e32 v99, v101, v99, vcc_lo
	v_cndmask_b32_e64 v11, v11, 0xffffff8a, vcc_lo
	s_delay_alu instid0(VALU_DEP_3) | instskip(NEXT) | instid1(VALU_DEP_3)
	v_lshl_add_u32 v101, 0x100000, v100, -1
	v_lshrrev_b32_e32 v103, v100, v99
	v_lshlrev_b32_e64 v114, v100, 0x80000
	s_delay_alu instid0(VALU_DEP_4) | instskip(NEXT) | instid1(VALU_DEP_4)
	v_add_nc_u32_e32 v100, v100, v11
	v_and_b32_e32 v99, v101, v99
	s_delay_alu instid0(VALU_DEP_4) | instskip(NEXT) | instid1(VALU_DEP_2)
	v_bfe_u32 v112, v103, 20, 1
	v_cmp_eq_u32_e64 s11, v99, v114
	s_delay_alu instid0(VALU_DEP_2) | instskip(NEXT) | instid1(VALU_DEP_1)
	v_add_nc_u32_e32 v101, -1, v112
	v_cndmask_b32_e64 v99, 0, v101, s11
	v_lshrrev_b32_e32 v101, 23, v103
	s_mov_b32 s11, exec_lo
	s_delay_alu instid0(VALU_DEP_2) | instskip(NEXT) | instid1(VALU_DEP_2)
	v_add_nc_u32_e32 v99, v99, v103
	v_xor_b32_e32 v101, 1, v101
	s_delay_alu instid0(VALU_DEP_2) | instskip(NEXT) | instid1(VALU_DEP_1)
	v_and_b32_e32 v11, 0xfffff, v99
	v_add_nc_u32_e32 v99, v11, v103
                                        ; implicit-def: $vgpr11
	s_delay_alu instid0(VALU_DEP_3)
	v_cmpx_ne_u32_e64 v100, v101
	s_xor_b32 s11, exec_lo, s11
; %bb.933:                              ;   in Loop: Header=BB2_797 Depth=2
	s_delay_alu instid0(VALU_DEP_2) | instskip(SKIP_2) | instid1(VALU_DEP_2)
	v_cmp_lt_u32_e32 vcc_lo, 0xffffff, v99
	v_sub_nc_u32_e32 v11, v100, v101
	v_cndmask_b32_e64 v100, 0, 1, vcc_lo
	v_add_co_ci_u32_e32 v11, vcc_lo, 0, v11, vcc_lo
	s_delay_alu instid0(VALU_DEP_2)
	v_lshrrev_b32_e32 v99, v100, v99
; %bb.934:                              ;   in Loop: Header=BB2_797 Depth=2
	s_and_not1_saveexec_b32 s11, s11
; %bb.935:                              ;   in Loop: Header=BB2_797 Depth=2
	s_delay_alu instid0(VALU_DEP_1)
	v_bfe_u32 v11, v99, 23, 1
; %bb.936:                              ;   in Loop: Header=BB2_797 Depth=2
	s_or_b32 exec_lo, exec_lo, s11
	v_lshrrev_b32_e32 v99, 20, v99
	s_delay_alu instid0(VALU_DEP_2) | instskip(SKIP_2) | instid1(VALU_DEP_2)
	v_cmp_gt_i32_e32 vcc_lo, 16, v11
	v_lshrrev_b32_e32 v10, 24, v10
	v_min_i32_e32 v100, 15, v11
	v_dual_cndmask_b32 v99, 7, v99 :: v_dual_and_b32 v10, 0x80, v10
	s_delay_alu instid0(VALU_DEP_2) | instskip(NEXT) | instid1(VALU_DEP_2)
	v_lshlrev_b32_e32 v100, 3, v100
	v_or_b32_e32 v11, v11, v99
	s_delay_alu instid0(VALU_DEP_1) | instskip(SKIP_1) | instid1(VALU_DEP_1)
	v_cmp_ne_u32_e32 vcc_lo, 0, v11
	v_and_b32_e32 v101, 7, v99
	v_or3_b32 v10, v100, v10, v101
	s_delay_alu instid0(VALU_DEP_1)
	v_cndmask_b32_e32 v112, 0, v10, vcc_lo
.LBB2_937:                              ;   in Loop: Header=BB2_797 Depth=2
	s_or_b32 exec_lo, exec_lo, s28
.LBB2_938:                              ;   in Loop: Header=BB2_797 Depth=2
	s_delay_alu instid0(SALU_CYCLE_1) | instskip(SKIP_3) | instid1(VALU_DEP_1)
	s_or_b32 exec_lo, exec_lo, s27
	v_lshrrev_b32_e32 v10, 24, v12
	s_mov_b32 s11, 0
	s_mov_b32 s28, exec_lo
                                        ; implicit-def: $sgpr27
	v_cmpx_lt_i16_e32 0x7f, v10
	s_xor_b32 s28, exec_lo, s28
	s_cbranch_execnz .LBB2_1296
; %bb.939:                              ;   in Loop: Header=BB2_797 Depth=2
	s_or_saveexec_b32 s28, s28
	v_mov_b32_e32 v11, s27
	s_xor_b32 exec_lo, exec_lo, s28
	s_cbranch_execnz .LBB2_1299
.LBB2_940:                              ;   in Loop: Header=BB2_797 Depth=2
	s_or_b32 exec_lo, exec_lo, s28
	s_and_saveexec_b32 s27, s11
	s_cbranch_execz .LBB2_942
.LBB2_941:                              ;   in Loop: Header=BB2_797 Depth=2
	v_bfe_u32 v11, v12, 24, 3
	s_delay_alu instid0(VALU_DEP_1) | instskip(NEXT) | instid1(VALU_DEP_1)
	v_clz_i32_u32_e32 v99, v11
	v_min_u32_e32 v99, 32, v99
	s_delay_alu instid0(VALU_DEP_1) | instskip(SKIP_1) | instid1(VALU_DEP_2)
	v_subrev_nc_u32_e32 v100, 28, v99
	v_sub_nc_u32_e32 v99, 29, v99
	v_lshlrev_b32_e32 v10, v100, v10
	v_bfe_u32 v100, v12, 27, 4
	s_delay_alu instid0(VALU_DEP_1) | instskip(NEXT) | instid1(VALU_DEP_3)
	v_cmp_eq_u32_e32 vcc_lo, 0, v100
	v_dual_cndmask_b32 v99, v100, v99 :: v_dual_and_b32 v10, 7, v10
	s_delay_alu instid0(VALU_DEP_1) | instskip(NEXT) | instid1(VALU_DEP_2)
	v_dual_cndmask_b32 v10, v11, v10 :: v_dual_and_b32 v11, 0x80000000, v12
	v_lshl_add_u32 v12, v99, 23, 0x3b800000
	s_delay_alu instid0(VALU_DEP_2) | instskip(NEXT) | instid1(VALU_DEP_1)
	v_lshlrev_b32_e32 v10, 20, v10
	v_or3_b32 v11, v11, v12, v10
.LBB2_942:                              ;   in Loop: Header=BB2_797 Depth=2
	s_or_b32 exec_lo, exec_lo, s27
	s_delay_alu instid0(VALU_DEP_1) | instskip(SKIP_1) | instid1(VALU_DEP_1)
	v_dual_mul_f32 v10, s26, v11 :: v_dual_mov_b32 v101, 0x80
	s_mov_b32 s27, exec_lo
	v_and_b32_e32 v11, 0x7f800000, v10
	s_delay_alu instid0(VALU_DEP_1)
	v_cmpx_ne_u32_e32 0x7f800000, v11
	s_cbranch_execz .LBB2_950
; %bb.943:                              ;   in Loop: Header=BB2_797 Depth=2
	v_mov_b32_e32 v101, 0
	s_mov_b32 s28, exec_lo
	v_cmpx_ne_u32_e32 0, v10
	s_cbranch_execz .LBB2_949
; %bb.944:                              ;   in Loop: Header=BB2_797 Depth=2
	v_bfe_u32 v11, v10, 23, 8
	s_delay_alu instid0(VALU_DEP_1) | instskip(SKIP_1) | instid1(VALU_DEP_2)
	v_sub_nc_u32_e32 v99, 0x78, v11
	v_cmp_gt_u32_e32 vcc_lo, 0x79, v11
	v_dual_cndmask_b32 v99, 0, v99 :: v_dual_and_b32 v12, 0x7fffff, v10
	s_delay_alu instid0(VALU_DEP_1) | instskip(SKIP_2) | instid1(VALU_DEP_4)
	v_or_b32_e32 v100, 0x800000, v12
	v_cmp_eq_u32_e32 vcc_lo, 0, v11
	v_add_nc_u32_e32 v11, 0xffffff89, v11
	v_cndmask_b32_e64 v99, v99, 0x77, vcc_lo
	s_delay_alu instid0(VALU_DEP_4) | instskip(NEXT) | instid1(VALU_DEP_3)
	v_cndmask_b32_e32 v12, v100, v12, vcc_lo
	v_cndmask_b32_e64 v11, v11, 0xffffff8a, vcc_lo
	s_delay_alu instid0(VALU_DEP_3) | instskip(NEXT) | instid1(VALU_DEP_3)
	v_lshl_add_u32 v100, 0x100000, v99, -1
	v_lshrrev_b32_e32 v101, v99, v12
	v_lshlrev_b32_e64 v114, v99, 0x80000
	s_delay_alu instid0(VALU_DEP_4) | instskip(NEXT) | instid1(VALU_DEP_4)
	v_add_nc_u32_e32 v99, v99, v11
	v_and_b32_e32 v12, v100, v12
	s_delay_alu instid0(VALU_DEP_4) | instskip(NEXT) | instid1(VALU_DEP_2)
	v_bfe_u32 v103, v101, 20, 1
	v_cmp_eq_u32_e64 s11, v12, v114
	s_delay_alu instid0(VALU_DEP_2) | instskip(NEXT) | instid1(VALU_DEP_1)
	v_add_nc_u32_e32 v100, -1, v103
	v_cndmask_b32_e64 v12, 0, v100, s11
	v_lshrrev_b32_e32 v100, 23, v101
	s_mov_b32 s11, exec_lo
	s_delay_alu instid0(VALU_DEP_2) | instskip(NEXT) | instid1(VALU_DEP_2)
	v_add_nc_u32_e32 v12, v12, v101
	v_xor_b32_e32 v100, 1, v100
	s_delay_alu instid0(VALU_DEP_2) | instskip(NEXT) | instid1(VALU_DEP_1)
	v_and_b32_e32 v11, 0xfffff, v12
	v_add_nc_u32_e32 v12, v11, v101
                                        ; implicit-def: $vgpr11
	s_delay_alu instid0(VALU_DEP_3)
	v_cmpx_ne_u32_e64 v99, v100
	s_xor_b32 s11, exec_lo, s11
; %bb.945:                              ;   in Loop: Header=BB2_797 Depth=2
	s_delay_alu instid0(VALU_DEP_2) | instskip(SKIP_2) | instid1(VALU_DEP_2)
	v_cmp_lt_u32_e32 vcc_lo, 0xffffff, v12
	v_sub_nc_u32_e32 v11, v99, v100
	v_cndmask_b32_e64 v99, 0, 1, vcc_lo
	v_add_co_ci_u32_e32 v11, vcc_lo, 0, v11, vcc_lo
	s_delay_alu instid0(VALU_DEP_2)
	v_lshrrev_b32_e32 v12, v99, v12
; %bb.946:                              ;   in Loop: Header=BB2_797 Depth=2
	s_and_not1_saveexec_b32 s11, s11
; %bb.947:                              ;   in Loop: Header=BB2_797 Depth=2
	s_delay_alu instid0(VALU_DEP_1)
	v_bfe_u32 v11, v12, 23, 1
; %bb.948:                              ;   in Loop: Header=BB2_797 Depth=2
	s_or_b32 exec_lo, exec_lo, s11
	v_lshrrev_b32_e32 v12, 20, v12
	s_delay_alu instid0(VALU_DEP_2) | instskip(SKIP_2) | instid1(VALU_DEP_2)
	v_cmp_gt_i32_e32 vcc_lo, 16, v11
	v_min_i32_e32 v99, 15, v11
	v_lshrrev_b32_e32 v10, 24, v10
	v_dual_cndmask_b32 v12, 7, v12 :: v_dual_lshlrev_b32 v99, 3, v99
	s_delay_alu instid0(VALU_DEP_2) | instskip(NEXT) | instid1(VALU_DEP_2)
	v_and_b32_e32 v10, 0x80, v10
	v_or_b32_e32 v11, v11, v12
	s_delay_alu instid0(VALU_DEP_1) | instskip(SKIP_1) | instid1(VALU_DEP_1)
	v_cmp_ne_u32_e32 vcc_lo, 0, v11
	v_and_b32_e32 v100, 7, v12
	v_or3_b32 v10, v99, v10, v100
	s_delay_alu instid0(VALU_DEP_1)
	v_cndmask_b32_e32 v101, 0, v10, vcc_lo
.LBB2_949:                              ;   in Loop: Header=BB2_797 Depth=2
	s_or_b32 exec_lo, exec_lo, s28
.LBB2_950:                              ;   in Loop: Header=BB2_797 Depth=2
	s_delay_alu instid0(SALU_CYCLE_1) | instskip(SKIP_3) | instid1(VALU_DEP_1)
	s_or_b32 exec_lo, exec_lo, s27
	v_and_b32_e32 v11, 0xff, v13
	s_mov_b32 s11, 0
	s_mov_b32 s28, exec_lo
                                        ; implicit-def: $sgpr27
	v_cmpx_lt_i16_e32 0x7f, v11
	s_xor_b32 s28, exec_lo, s28
	s_cbranch_execnz .LBB2_1300
; %bb.951:                              ;   in Loop: Header=BB2_797 Depth=2
	s_or_saveexec_b32 s28, s28
	v_mov_b32_e32 v10, s27
	s_xor_b32 exec_lo, exec_lo, s28
	s_cbranch_execnz .LBB2_1303
.LBB2_952:                              ;   in Loop: Header=BB2_797 Depth=2
	s_or_b32 exec_lo, exec_lo, s28
	s_and_saveexec_b32 s27, s11
	s_cbranch_execz .LBB2_954
.LBB2_953:                              ;   in Loop: Header=BB2_797 Depth=2
	v_bfe_u32 v99, v13, 3, 4
	v_lshlrev_b32_e32 v100, 24, v13
	s_delay_alu instid0(VALU_DEP_2) | instskip(SKIP_1) | instid1(VALU_DEP_1)
	v_cmp_eq_u32_e32 vcc_lo, 0, v99
	v_and_b32_e32 v10, 7, v13
	v_clz_i32_u32_e32 v11, v10
	s_delay_alu instid0(VALU_DEP_1) | instskip(NEXT) | instid1(VALU_DEP_1)
	v_min_u32_e32 v11, 32, v11
	v_subrev_nc_u32_e32 v12, 28, v11
	v_sub_nc_u32_e32 v11, 29, v11
	s_delay_alu instid0(VALU_DEP_1) | instskip(NEXT) | instid1(VALU_DEP_1)
	v_dual_cndmask_b32 v11, v99, v11 :: v_dual_lshlrev_b32 v12, v12, v13
	v_and_b32_e32 v12, 7, v12
	s_delay_alu instid0(VALU_DEP_2) | instskip(NEXT) | instid1(VALU_DEP_2)
	v_lshl_add_u32 v11, v11, 23, 0x3b800000
	v_cndmask_b32_e32 v10, v10, v12, vcc_lo
	v_and_b32_e32 v12, 0x80000000, v100
	s_delay_alu instid0(VALU_DEP_2) | instskip(NEXT) | instid1(VALU_DEP_1)
	v_lshlrev_b32_e32 v10, 20, v10
	v_or3_b32 v10, v12, v11, v10
.LBB2_954:                              ;   in Loop: Header=BB2_797 Depth=2
	s_or_b32 exec_lo, exec_lo, s27
	s_delay_alu instid0(VALU_DEP_1) | instskip(SKIP_2) | instid1(VALU_DEP_2)
	v_mul_f32_e32 v10, s26, v10
	v_mov_b32_e32 v100, 0x80
	s_mov_b32 s27, exec_lo
	v_and_b32_e32 v11, 0x7f800000, v10
	s_delay_alu instid0(VALU_DEP_1)
	v_cmpx_ne_u32_e32 0x7f800000, v11
	s_cbranch_execz .LBB2_962
; %bb.955:                              ;   in Loop: Header=BB2_797 Depth=2
	v_mov_b32_e32 v100, 0
	s_mov_b32 s28, exec_lo
	v_cmpx_ne_u32_e32 0, v10
	s_cbranch_execz .LBB2_961
; %bb.956:                              ;   in Loop: Header=BB2_797 Depth=2
	v_bfe_u32 v11, v10, 23, 8
	s_delay_alu instid0(VALU_DEP_1) | instskip(SKIP_1) | instid1(VALU_DEP_2)
	v_sub_nc_u32_e32 v99, 0x78, v11
	v_cmp_gt_u32_e32 vcc_lo, 0x79, v11
	v_dual_cndmask_b32 v99, 0, v99 :: v_dual_and_b32 v12, 0x7fffff, v10
	s_delay_alu instid0(VALU_DEP_1) | instskip(SKIP_2) | instid1(VALU_DEP_4)
	v_or_b32_e32 v100, 0x800000, v12
	v_cmp_eq_u32_e32 vcc_lo, 0, v11
	v_add_nc_u32_e32 v11, 0xffffff89, v11
	v_cndmask_b32_e64 v99, v99, 0x77, vcc_lo
	s_delay_alu instid0(VALU_DEP_4) | instskip(NEXT) | instid1(VALU_DEP_3)
	v_cndmask_b32_e32 v12, v100, v12, vcc_lo
	v_cndmask_b32_e64 v11, v11, 0xffffff8a, vcc_lo
	s_delay_alu instid0(VALU_DEP_3) | instskip(NEXT) | instid1(VALU_DEP_3)
	v_lshl_add_u32 v100, 0x100000, v99, -1
	v_lshrrev_b32_e32 v103, v99, v12
	v_lshlrev_b32_e64 v130, v99, 0x80000
	s_delay_alu instid0(VALU_DEP_4) | instskip(NEXT) | instid1(VALU_DEP_4)
	v_add_nc_u32_e32 v99, v99, v11
	v_and_b32_e32 v12, v100, v12
	s_delay_alu instid0(VALU_DEP_4) | instskip(NEXT) | instid1(VALU_DEP_2)
	v_bfe_u32 v114, v103, 20, 1
	v_cmp_eq_u32_e64 s11, v12, v130
	s_delay_alu instid0(VALU_DEP_2) | instskip(NEXT) | instid1(VALU_DEP_1)
	v_add_nc_u32_e32 v100, -1, v114
	v_cndmask_b32_e64 v12, 0, v100, s11
	v_lshrrev_b32_e32 v100, 23, v103
	s_mov_b32 s11, exec_lo
	s_delay_alu instid0(VALU_DEP_2) | instskip(NEXT) | instid1(VALU_DEP_2)
	v_add_nc_u32_e32 v12, v12, v103
	v_xor_b32_e32 v100, 1, v100
	s_delay_alu instid0(VALU_DEP_2) | instskip(NEXT) | instid1(VALU_DEP_1)
	v_and_b32_e32 v11, 0xfffff, v12
	v_add_nc_u32_e32 v12, v11, v103
                                        ; implicit-def: $vgpr11
	s_delay_alu instid0(VALU_DEP_3)
	v_cmpx_ne_u32_e64 v99, v100
	s_xor_b32 s11, exec_lo, s11
; %bb.957:                              ;   in Loop: Header=BB2_797 Depth=2
	s_delay_alu instid0(VALU_DEP_2) | instskip(SKIP_2) | instid1(VALU_DEP_2)
	v_cmp_lt_u32_e32 vcc_lo, 0xffffff, v12
	v_sub_nc_u32_e32 v11, v99, v100
	v_cndmask_b32_e64 v99, 0, 1, vcc_lo
	v_add_co_ci_u32_e32 v11, vcc_lo, 0, v11, vcc_lo
	s_delay_alu instid0(VALU_DEP_2)
	v_lshrrev_b32_e32 v12, v99, v12
; %bb.958:                              ;   in Loop: Header=BB2_797 Depth=2
	s_and_not1_saveexec_b32 s11, s11
; %bb.959:                              ;   in Loop: Header=BB2_797 Depth=2
	s_delay_alu instid0(VALU_DEP_1)
	v_bfe_u32 v11, v12, 23, 1
; %bb.960:                              ;   in Loop: Header=BB2_797 Depth=2
	s_or_b32 exec_lo, exec_lo, s11
	v_lshrrev_b32_e32 v12, 20, v12
	s_delay_alu instid0(VALU_DEP_2) | instskip(SKIP_2) | instid1(VALU_DEP_2)
	v_cmp_gt_i32_e32 vcc_lo, 16, v11
	v_min_i32_e32 v99, 15, v11
	v_lshrrev_b32_e32 v10, 24, v10
	v_dual_cndmask_b32 v12, 7, v12 :: v_dual_lshlrev_b32 v99, 3, v99
	s_delay_alu instid0(VALU_DEP_2) | instskip(NEXT) | instid1(VALU_DEP_2)
	v_and_b32_e32 v10, 0x80, v10
	v_or_b32_e32 v11, v11, v12
	v_and_b32_e32 v100, 7, v12
	s_delay_alu instid0(VALU_DEP_2) | instskip(SKIP_1) | instid1(VALU_DEP_1)
	v_cmp_ne_u32_e32 vcc_lo, 0, v11
	v_and_b32_e32 v99, 0xf8, v99
	v_or3_b32 v10, v99, v10, v100
	s_delay_alu instid0(VALU_DEP_1)
	v_cndmask_b32_e32 v100, 0, v10, vcc_lo
.LBB2_961:                              ;   in Loop: Header=BB2_797 Depth=2
	s_or_b32 exec_lo, exec_lo, s28
.LBB2_962:                              ;   in Loop: Header=BB2_797 Depth=2
	s_delay_alu instid0(SALU_CYCLE_1) | instskip(SKIP_3) | instid1(VALU_DEP_1)
	s_or_b32 exec_lo, exec_lo, s27
	v_lshrrev_b16 v10, 8, v13
	s_mov_b32 s11, 0
	s_mov_b32 s28, exec_lo
                                        ; implicit-def: $sgpr27
	v_cmpx_lt_i16_e32 0x7f, v10
	s_xor_b32 s28, exec_lo, s28
	s_cbranch_execnz .LBB2_1304
; %bb.963:                              ;   in Loop: Header=BB2_797 Depth=2
	s_or_saveexec_b32 s28, s28
	v_mov_b32_e32 v11, s27
	s_xor_b32 exec_lo, exec_lo, s28
	s_cbranch_execnz .LBB2_1307
.LBB2_964:                              ;   in Loop: Header=BB2_797 Depth=2
	s_or_b32 exec_lo, exec_lo, s28
	s_and_saveexec_b32 s27, s11
	s_cbranch_execz .LBB2_966
.LBB2_965:                              ;   in Loop: Header=BB2_797 Depth=2
	v_and_b32_e32 v11, 0xffff, v10
	s_delay_alu instid0(VALU_DEP_1) | instskip(NEXT) | instid1(VALU_DEP_1)
	v_and_b32_e32 v12, 7, v11
	v_clz_i32_u32_e32 v99, v12
	s_delay_alu instid0(VALU_DEP_1) | instskip(NEXT) | instid1(VALU_DEP_1)
	v_min_u32_e32 v99, 32, v99
	v_subrev_nc_u32_e32 v103, 28, v99
	v_sub_nc_u32_e32 v99, 29, v99
	s_delay_alu instid0(VALU_DEP_2) | instskip(SKIP_1) | instid1(VALU_DEP_2)
	v_lshlrev_b32_e32 v103, v103, v11
	v_bfe_u32 v11, v11, 3, 4
	v_and_b32_e32 v103, 7, v103
	s_delay_alu instid0(VALU_DEP_2) | instskip(SKIP_1) | instid1(VALU_DEP_3)
	v_cmp_eq_u32_e32 vcc_lo, 0, v11
	v_dual_cndmask_b32 v11, v11, v99 :: v_dual_lshlrev_b32 v10, 24, v10
	v_cndmask_b32_e32 v12, v12, v103, vcc_lo
	s_delay_alu instid0(VALU_DEP_2) | instskip(NEXT) | instid1(VALU_DEP_3)
	v_and_b32_e32 v10, 0x80000000, v10
	v_lshl_add_u32 v11, v11, 23, 0x3b800000
	s_delay_alu instid0(VALU_DEP_3) | instskip(NEXT) | instid1(VALU_DEP_1)
	v_lshlrev_b32_e32 v12, 20, v12
	v_or3_b32 v11, v10, v11, v12
.LBB2_966:                              ;   in Loop: Header=BB2_797 Depth=2
	s_or_b32 exec_lo, exec_lo, s27
	s_delay_alu instid0(VALU_DEP_1) | instskip(SKIP_2) | instid1(VALU_DEP_2)
	v_mul_f32_e32 v10, s26, v11
	v_mov_b32_e32 v114, 0x8000
	s_mov_b32 s27, exec_lo
	v_and_b32_e32 v11, 0x7f800000, v10
	s_delay_alu instid0(VALU_DEP_1)
	v_cmpx_ne_u32_e32 0x7f800000, v11
	s_cbranch_execz .LBB2_974
; %bb.967:                              ;   in Loop: Header=BB2_797 Depth=2
	v_mov_b32_e32 v114, 0
	s_mov_b32 s28, exec_lo
	v_cmpx_ne_u32_e32 0, v10
	s_cbranch_execz .LBB2_973
; %bb.968:                              ;   in Loop: Header=BB2_797 Depth=2
	v_bfe_u32 v11, v10, 23, 8
	s_delay_alu instid0(VALU_DEP_1) | instskip(SKIP_1) | instid1(VALU_DEP_2)
	v_sub_nc_u32_e32 v99, 0x78, v11
	v_cmp_gt_u32_e32 vcc_lo, 0x79, v11
	v_dual_cndmask_b32 v99, 0, v99 :: v_dual_and_b32 v12, 0x7fffff, v10
	s_delay_alu instid0(VALU_DEP_1) | instskip(SKIP_2) | instid1(VALU_DEP_4)
	v_or_b32_e32 v103, 0x800000, v12
	v_cmp_eq_u32_e32 vcc_lo, 0, v11
	v_add_nc_u32_e32 v11, 0xffffff89, v11
	v_cndmask_b32_e64 v99, v99, 0x77, vcc_lo
	s_delay_alu instid0(VALU_DEP_4) | instskip(NEXT) | instid1(VALU_DEP_3)
	v_cndmask_b32_e32 v12, v103, v12, vcc_lo
	v_cndmask_b32_e64 v11, v11, 0xffffff8a, vcc_lo
	s_delay_alu instid0(VALU_DEP_3) | instskip(NEXT) | instid1(VALU_DEP_3)
	v_lshl_add_u32 v103, 0x100000, v99, -1
	v_lshrrev_b32_e32 v114, v99, v12
	v_lshlrev_b32_e64 v131, v99, 0x80000
	s_delay_alu instid0(VALU_DEP_4) | instskip(NEXT) | instid1(VALU_DEP_4)
	v_add_nc_u32_e32 v99, v99, v11
	v_and_b32_e32 v12, v103, v12
	s_delay_alu instid0(VALU_DEP_4) | instskip(NEXT) | instid1(VALU_DEP_2)
	v_bfe_u32 v130, v114, 20, 1
	v_cmp_eq_u32_e64 s11, v12, v131
	s_delay_alu instid0(VALU_DEP_2) | instskip(NEXT) | instid1(VALU_DEP_1)
	v_add_nc_u32_e32 v103, -1, v130
	v_cndmask_b32_e64 v12, 0, v103, s11
	v_lshrrev_b32_e32 v103, 23, v114
	s_mov_b32 s11, exec_lo
	s_delay_alu instid0(VALU_DEP_2) | instskip(NEXT) | instid1(VALU_DEP_2)
	v_add_nc_u32_e32 v12, v12, v114
	v_xor_b32_e32 v103, 1, v103
	s_delay_alu instid0(VALU_DEP_2) | instskip(NEXT) | instid1(VALU_DEP_1)
	v_and_b32_e32 v11, 0xfffff, v12
	v_add_nc_u32_e32 v12, v11, v114
                                        ; implicit-def: $vgpr11
	s_delay_alu instid0(VALU_DEP_3)
	v_cmpx_ne_u32_e64 v99, v103
	s_xor_b32 s11, exec_lo, s11
; %bb.969:                              ;   in Loop: Header=BB2_797 Depth=2
	s_delay_alu instid0(VALU_DEP_2) | instskip(SKIP_2) | instid1(VALU_DEP_2)
	v_cmp_lt_u32_e32 vcc_lo, 0xffffff, v12
	v_sub_nc_u32_e32 v11, v99, v103
	v_cndmask_b32_e64 v99, 0, 1, vcc_lo
	v_add_co_ci_u32_e32 v11, vcc_lo, 0, v11, vcc_lo
	s_delay_alu instid0(VALU_DEP_2)
	v_lshrrev_b32_e32 v12, v99, v12
; %bb.970:                              ;   in Loop: Header=BB2_797 Depth=2
	s_and_not1_saveexec_b32 s11, s11
; %bb.971:                              ;   in Loop: Header=BB2_797 Depth=2
	s_delay_alu instid0(VALU_DEP_1)
	v_bfe_u32 v11, v12, 23, 1
; %bb.972:                              ;   in Loop: Header=BB2_797 Depth=2
	s_or_b32 exec_lo, exec_lo, s11
	v_lshrrev_b32_e32 v12, 20, v12
	s_delay_alu instid0(VALU_DEP_2) | instskip(SKIP_2) | instid1(VALU_DEP_2)
	v_cmp_gt_i32_e32 vcc_lo, 16, v11
	v_min_i32_e32 v99, 15, v11
	v_lshrrev_b32_e32 v10, 24, v10
	v_dual_cndmask_b32 v12, 7, v12 :: v_dual_lshlrev_b32 v99, 3, v99
	s_delay_alu instid0(VALU_DEP_2) | instskip(NEXT) | instid1(VALU_DEP_2)
	v_and_b32_e32 v10, 0x80, v10
	v_or_b32_e32 v11, v11, v12
	s_delay_alu instid0(VALU_DEP_3) | instskip(NEXT) | instid1(VALU_DEP_2)
	v_and_b32_e32 v99, 0xf8, v99
	v_cmp_ne_u32_e32 vcc_lo, 0, v11
	v_and_b32_e32 v103, 7, v12
	s_delay_alu instid0(VALU_DEP_1) | instskip(NEXT) | instid1(VALU_DEP_1)
	v_or3_b32 v10, v10, v99, v103
	v_lshlrev_b32_e32 v10, 8, v10
	s_delay_alu instid0(VALU_DEP_1)
	v_cndmask_b32_e32 v114, 0, v10, vcc_lo
.LBB2_973:                              ;   in Loop: Header=BB2_797 Depth=2
	s_or_b32 exec_lo, exec_lo, s28
.LBB2_974:                              ;   in Loop: Header=BB2_797 Depth=2
	s_delay_alu instid0(SALU_CYCLE_1) | instskip(SKIP_3) | instid1(VALU_DEP_1)
	s_or_b32 exec_lo, exec_lo, s27
	v_lshrrev_b32_e32 v10, 16, v13
	s_mov_b32 s11, 0
	s_mov_b32 s28, exec_lo
                                        ; implicit-def: $sgpr27
	v_and_b32_e32 v12, 0xff, v10
	s_delay_alu instid0(VALU_DEP_1)
	v_cmpx_lt_i16_e32 0x7f, v12
	s_xor_b32 s28, exec_lo, s28
	s_cbranch_execnz .LBB2_1308
; %bb.975:                              ;   in Loop: Header=BB2_797 Depth=2
	s_or_saveexec_b32 s28, s28
	v_mov_b32_e32 v11, s27
	s_xor_b32 exec_lo, exec_lo, s28
	s_cbranch_execnz .LBB2_1311
.LBB2_976:                              ;   in Loop: Header=BB2_797 Depth=2
	s_or_b32 exec_lo, exec_lo, s28
	s_and_saveexec_b32 s27, s11
	s_cbranch_execz .LBB2_978
.LBB2_977:                              ;   in Loop: Header=BB2_797 Depth=2
	v_bfe_u32 v11, v13, 16, 3
	s_delay_alu instid0(VALU_DEP_1) | instskip(NEXT) | instid1(VALU_DEP_1)
	v_clz_i32_u32_e32 v12, v11
	v_min_u32_e32 v12, 32, v12
	s_delay_alu instid0(VALU_DEP_1) | instskip(SKIP_1) | instid1(VALU_DEP_2)
	v_subrev_nc_u32_e32 v99, 28, v12
	v_sub_nc_u32_e32 v12, 29, v12
	v_lshlrev_b32_e32 v10, v99, v10
	v_bfe_u32 v99, v13, 19, 4
	s_delay_alu instid0(VALU_DEP_2) | instskip(NEXT) | instid1(VALU_DEP_2)
	v_and_b32_e32 v10, 7, v10
	v_cmp_eq_u32_e32 vcc_lo, 0, v99
	v_dual_cndmask_b32 v12, v99, v12 :: v_dual_lshlrev_b32 v103, 8, v13
	s_delay_alu instid0(VALU_DEP_1) | instskip(NEXT) | instid1(VALU_DEP_2)
	v_dual_cndmask_b32 v10, v11, v10 :: v_dual_and_b32 v11, 0x80000000, v103
	v_lshl_add_u32 v12, v12, 23, 0x3b800000
	s_delay_alu instid0(VALU_DEP_2) | instskip(NEXT) | instid1(VALU_DEP_1)
	v_lshlrev_b32_e32 v10, 20, v10
	v_or3_b32 v11, v11, v12, v10
.LBB2_978:                              ;   in Loop: Header=BB2_797 Depth=2
	s_or_b32 exec_lo, exec_lo, s27
	s_delay_alu instid0(VALU_DEP_1) | instskip(SKIP_1) | instid1(VALU_DEP_1)
	v_dual_mul_f32 v10, s26, v11 :: v_dual_mov_b32 v99, 0x80
	s_mov_b32 s27, exec_lo
	v_and_b32_e32 v11, 0x7f800000, v10
	s_delay_alu instid0(VALU_DEP_1)
	v_cmpx_ne_u32_e32 0x7f800000, v11
	s_cbranch_execz .LBB2_986
; %bb.979:                              ;   in Loop: Header=BB2_797 Depth=2
	v_mov_b32_e32 v99, 0
	s_mov_b32 s28, exec_lo
	v_cmpx_ne_u32_e32 0, v10
	s_cbranch_execz .LBB2_985
; %bb.980:                              ;   in Loop: Header=BB2_797 Depth=2
	v_bfe_u32 v11, v10, 23, 8
	s_delay_alu instid0(VALU_DEP_1) | instskip(SKIP_1) | instid1(VALU_DEP_2)
	v_sub_nc_u32_e32 v99, 0x78, v11
	v_cmp_gt_u32_e32 vcc_lo, 0x79, v11
	v_dual_cndmask_b32 v99, 0, v99 :: v_dual_and_b32 v12, 0x7fffff, v10
	s_delay_alu instid0(VALU_DEP_1) | instskip(SKIP_2) | instid1(VALU_DEP_4)
	v_or_b32_e32 v103, 0x800000, v12
	v_cmp_eq_u32_e32 vcc_lo, 0, v11
	v_add_nc_u32_e32 v11, 0xffffff89, v11
	v_cndmask_b32_e64 v99, v99, 0x77, vcc_lo
	s_delay_alu instid0(VALU_DEP_4) | instskip(NEXT) | instid1(VALU_DEP_3)
	v_cndmask_b32_e32 v12, v103, v12, vcc_lo
	v_cndmask_b32_e64 v11, v11, 0xffffff8a, vcc_lo
	s_delay_alu instid0(VALU_DEP_3) | instskip(NEXT) | instid1(VALU_DEP_3)
	v_lshl_add_u32 v103, 0x100000, v99, -1
	v_lshrrev_b32_e32 v130, v99, v12
	v_lshlrev_b32_e64 v132, v99, 0x80000
	s_delay_alu instid0(VALU_DEP_4) | instskip(NEXT) | instid1(VALU_DEP_4)
	v_add_nc_u32_e32 v99, v99, v11
	v_and_b32_e32 v12, v103, v12
	s_delay_alu instid0(VALU_DEP_4) | instskip(NEXT) | instid1(VALU_DEP_2)
	v_bfe_u32 v131, v130, 20, 1
	v_cmp_eq_u32_e64 s11, v12, v132
	s_delay_alu instid0(VALU_DEP_2) | instskip(NEXT) | instid1(VALU_DEP_1)
	v_add_nc_u32_e32 v103, -1, v131
	v_cndmask_b32_e64 v12, 0, v103, s11
	v_lshrrev_b32_e32 v103, 23, v130
	s_mov_b32 s11, exec_lo
	s_delay_alu instid0(VALU_DEP_2) | instskip(NEXT) | instid1(VALU_DEP_2)
	v_add_nc_u32_e32 v12, v12, v130
	v_xor_b32_e32 v103, 1, v103
	s_delay_alu instid0(VALU_DEP_2) | instskip(NEXT) | instid1(VALU_DEP_1)
	v_and_b32_e32 v11, 0xfffff, v12
	v_add_nc_u32_e32 v12, v11, v130
                                        ; implicit-def: $vgpr11
	s_delay_alu instid0(VALU_DEP_3)
	v_cmpx_ne_u32_e64 v99, v103
	s_xor_b32 s11, exec_lo, s11
; %bb.981:                              ;   in Loop: Header=BB2_797 Depth=2
	s_delay_alu instid0(VALU_DEP_2) | instskip(SKIP_2) | instid1(VALU_DEP_2)
	v_cmp_lt_u32_e32 vcc_lo, 0xffffff, v12
	v_sub_nc_u32_e32 v11, v99, v103
	v_cndmask_b32_e64 v99, 0, 1, vcc_lo
	v_add_co_ci_u32_e32 v11, vcc_lo, 0, v11, vcc_lo
	s_delay_alu instid0(VALU_DEP_2)
	v_lshrrev_b32_e32 v12, v99, v12
; %bb.982:                              ;   in Loop: Header=BB2_797 Depth=2
	s_and_not1_saveexec_b32 s11, s11
; %bb.983:                              ;   in Loop: Header=BB2_797 Depth=2
	s_delay_alu instid0(VALU_DEP_1)
	v_bfe_u32 v11, v12, 23, 1
; %bb.984:                              ;   in Loop: Header=BB2_797 Depth=2
	s_or_b32 exec_lo, exec_lo, s11
	v_lshrrev_b32_e32 v12, 20, v12
	s_delay_alu instid0(VALU_DEP_2) | instskip(SKIP_2) | instid1(VALU_DEP_3)
	v_min_i32_e32 v99, 15, v11
	v_cmp_gt_i32_e32 vcc_lo, 16, v11
	v_lshrrev_b32_e32 v10, 24, v10
	v_dual_cndmask_b32 v12, 7, v12 :: v_dual_lshlrev_b32 v99, 3, v99
	s_delay_alu instid0(VALU_DEP_2) | instskip(NEXT) | instid1(VALU_DEP_2)
	v_and_b32_e32 v10, 0x80, v10
	v_and_b32_e32 v99, 0xf8, v99
	s_delay_alu instid0(VALU_DEP_3) | instskip(SKIP_1) | instid1(VALU_DEP_2)
	v_and_b32_e32 v103, 7, v12
	v_or_b32_e32 v11, v11, v12
	v_or3_b32 v10, v99, v10, v103
	s_delay_alu instid0(VALU_DEP_2) | instskip(NEXT) | instid1(VALU_DEP_2)
	v_cmp_ne_u32_e32 vcc_lo, 0, v11
	v_cndmask_b32_e32 v99, 0, v10, vcc_lo
.LBB2_985:                              ;   in Loop: Header=BB2_797 Depth=2
	s_or_b32 exec_lo, exec_lo, s28
.LBB2_986:                              ;   in Loop: Header=BB2_797 Depth=2
	s_delay_alu instid0(SALU_CYCLE_1) | instskip(SKIP_3) | instid1(VALU_DEP_1)
	s_or_b32 exec_lo, exec_lo, s27
	v_lshrrev_b32_e32 v10, 24, v13
	s_mov_b32 s11, 0
	s_mov_b32 s28, exec_lo
                                        ; implicit-def: $sgpr27
	v_cmpx_lt_i16_e32 0x7f, v10
	s_xor_b32 s28, exec_lo, s28
	s_cbranch_execnz .LBB2_1312
; %bb.987:                              ;   in Loop: Header=BB2_797 Depth=2
	s_or_saveexec_b32 s28, s28
	v_mov_b32_e32 v11, s27
	s_xor_b32 exec_lo, exec_lo, s28
	s_cbranch_execnz .LBB2_1315
.LBB2_988:                              ;   in Loop: Header=BB2_797 Depth=2
	s_or_b32 exec_lo, exec_lo, s28
	s_and_saveexec_b32 s27, s11
	s_cbranch_execz .LBB2_990
.LBB2_989:                              ;   in Loop: Header=BB2_797 Depth=2
	v_bfe_u32 v11, v13, 24, 3
	s_delay_alu instid0(VALU_DEP_1) | instskip(NEXT) | instid1(VALU_DEP_1)
	v_clz_i32_u32_e32 v12, v11
	v_min_u32_e32 v12, 32, v12
	s_delay_alu instid0(VALU_DEP_1) | instskip(SKIP_1) | instid1(VALU_DEP_2)
	v_subrev_nc_u32_e32 v103, 28, v12
	v_sub_nc_u32_e32 v12, 29, v12
	v_lshlrev_b32_e32 v10, v103, v10
	v_bfe_u32 v103, v13, 27, 4
	s_delay_alu instid0(VALU_DEP_2) | instskip(NEXT) | instid1(VALU_DEP_2)
	v_and_b32_e32 v10, 7, v10
	v_cmp_eq_u32_e32 vcc_lo, 0, v103
	v_cndmask_b32_e32 v12, v103, v12, vcc_lo
	s_delay_alu instid0(VALU_DEP_3) | instskip(NEXT) | instid1(VALU_DEP_2)
	v_dual_cndmask_b32 v10, v11, v10 :: v_dual_and_b32 v11, 0x80000000, v13
	v_lshl_add_u32 v12, v12, 23, 0x3b800000
	s_delay_alu instid0(VALU_DEP_2) | instskip(NEXT) | instid1(VALU_DEP_1)
	v_lshlrev_b32_e32 v10, 20, v10
	v_or3_b32 v11, v11, v12, v10
.LBB2_990:                              ;   in Loop: Header=BB2_797 Depth=2
	s_or_b32 exec_lo, exec_lo, s27
	s_delay_alu instid0(VALU_DEP_1) | instskip(SKIP_1) | instid1(VALU_DEP_1)
	v_dual_mul_f32 v10, s26, v11 :: v_dual_mov_b32 v103, 0x8000
	s_mov_b32 s26, exec_lo
	v_and_b32_e32 v11, 0x7f800000, v10
	s_delay_alu instid0(VALU_DEP_1)
	v_cmpx_ne_u32_e32 0x7f800000, v11
	s_cbranch_execz .LBB2_998
; %bb.991:                              ;   in Loop: Header=BB2_797 Depth=2
	v_mov_b32_e32 v103, 0
	s_mov_b32 s27, exec_lo
	v_cmpx_ne_u32_e32 0, v10
	s_cbranch_execz .LBB2_997
; %bb.992:                              ;   in Loop: Header=BB2_797 Depth=2
	v_bfe_u32 v11, v10, 23, 8
	s_delay_alu instid0(VALU_DEP_1) | instskip(SKIP_1) | instid1(VALU_DEP_2)
	v_sub_nc_u32_e32 v13, 0x78, v11
	v_cmp_gt_u32_e32 vcc_lo, 0x79, v11
	v_dual_cndmask_b32 v13, 0, v13 :: v_dual_and_b32 v12, 0x7fffff, v10
	s_delay_alu instid0(VALU_DEP_1) | instskip(SKIP_2) | instid1(VALU_DEP_4)
	v_or_b32_e32 v103, 0x800000, v12
	v_cmp_eq_u32_e32 vcc_lo, 0, v11
	v_add_nc_u32_e32 v11, 0xffffff89, v11
	v_cndmask_b32_e64 v13, v13, 0x77, vcc_lo
	s_delay_alu instid0(VALU_DEP_4) | instskip(NEXT) | instid1(VALU_DEP_3)
	v_cndmask_b32_e32 v12, v103, v12, vcc_lo
	v_cndmask_b32_e64 v11, v11, 0xffffff8a, vcc_lo
	s_delay_alu instid0(VALU_DEP_3) | instskip(NEXT) | instid1(VALU_DEP_3)
	v_lshl_add_u32 v103, 0x100000, v13, -1
	v_lshrrev_b32_e32 v130, v13, v12
	v_lshlrev_b32_e64 v132, v13, 0x80000
	s_delay_alu instid0(VALU_DEP_4) | instskip(NEXT) | instid1(VALU_DEP_4)
	v_add_nc_u32_e32 v13, v13, v11
	v_and_b32_e32 v12, v103, v12
	s_delay_alu instid0(VALU_DEP_4) | instskip(NEXT) | instid1(VALU_DEP_2)
	v_bfe_u32 v131, v130, 20, 1
	v_cmp_eq_u32_e64 s11, v12, v132
	s_delay_alu instid0(VALU_DEP_2) | instskip(NEXT) | instid1(VALU_DEP_1)
	v_add_nc_u32_e32 v103, -1, v131
	v_cndmask_b32_e64 v12, 0, v103, s11
	v_lshrrev_b32_e32 v103, 23, v130
	s_mov_b32 s11, exec_lo
	s_delay_alu instid0(VALU_DEP_2) | instskip(NEXT) | instid1(VALU_DEP_2)
	v_add_nc_u32_e32 v12, v12, v130
	v_xor_b32_e32 v103, 1, v103
	s_delay_alu instid0(VALU_DEP_2) | instskip(NEXT) | instid1(VALU_DEP_1)
	v_and_b32_e32 v11, 0xfffff, v12
	v_add_nc_u32_e32 v12, v11, v130
                                        ; implicit-def: $vgpr11
	s_delay_alu instid0(VALU_DEP_3)
	v_cmpx_ne_u32_e64 v13, v103
	s_xor_b32 s11, exec_lo, s11
; %bb.993:                              ;   in Loop: Header=BB2_797 Depth=2
	s_delay_alu instid0(VALU_DEP_2) | instskip(SKIP_2) | instid1(VALU_DEP_2)
	v_cmp_lt_u32_e32 vcc_lo, 0xffffff, v12
	v_sub_nc_u32_e32 v11, v13, v103
	v_cndmask_b32_e64 v13, 0, 1, vcc_lo
	v_add_co_ci_u32_e32 v11, vcc_lo, 0, v11, vcc_lo
	s_delay_alu instid0(VALU_DEP_2)
	v_lshrrev_b32_e32 v12, v13, v12
; %bb.994:                              ;   in Loop: Header=BB2_797 Depth=2
	s_and_not1_saveexec_b32 s11, s11
; %bb.995:                              ;   in Loop: Header=BB2_797 Depth=2
	s_delay_alu instid0(VALU_DEP_1)
	v_bfe_u32 v11, v12, 23, 1
; %bb.996:                              ;   in Loop: Header=BB2_797 Depth=2
	s_or_b32 exec_lo, exec_lo, s11
	v_lshrrev_b32_e32 v12, 20, v12
	s_delay_alu instid0(VALU_DEP_2) | instskip(SKIP_2) | instid1(VALU_DEP_3)
	v_min_i32_e32 v13, 15, v11
	v_cmp_gt_i32_e32 vcc_lo, 16, v11
	v_lshrrev_b32_e32 v10, 24, v10
	v_dual_cndmask_b32 v12, 7, v12 :: v_dual_lshlrev_b32 v13, 3, v13
	s_delay_alu instid0(VALU_DEP_2) | instskip(NEXT) | instid1(VALU_DEP_2)
	v_and_b32_e32 v10, 0x80, v10
	v_and_b32_e32 v13, 0xf8, v13
	s_delay_alu instid0(VALU_DEP_3) | instskip(SKIP_1) | instid1(VALU_DEP_2)
	v_and_b32_e32 v103, 7, v12
	v_or_b32_e32 v11, v11, v12
	v_or3_b32 v10, v10, v13, v103
	s_delay_alu instid0(VALU_DEP_2) | instskip(NEXT) | instid1(VALU_DEP_2)
	v_cmp_ne_u32_e32 vcc_lo, 0, v11
	v_lshlrev_b32_e32 v10, 8, v10
	s_delay_alu instid0(VALU_DEP_1)
	v_cndmask_b32_e32 v103, 0, v10, vcc_lo
.LBB2_997:                              ;   in Loop: Header=BB2_797 Depth=2
	s_or_b32 exec_lo, exec_lo, s27
.LBB2_998:                              ;   in Loop: Header=BB2_797 Depth=2
	s_delay_alu instid0(SALU_CYCLE_1) | instskip(SKIP_4) | instid1(VALU_DEP_1)
	s_or_b32 exec_lo, exec_lo, s26
	global_load_b128 v[10:13], v[48:49], off slc dlc
	v_and_b32_e32 v131, 0xff, v98
	s_mov_b32 s11, 0
	s_mov_b32 s27, exec_lo
                                        ; implicit-def: $sgpr26
	v_cmpx_lt_i16_e64 0x7f, v131
	s_xor_b32 s27, exec_lo, s27
	s_cbranch_execnz .LBB2_1316
; %bb.999:                              ;   in Loop: Header=BB2_797 Depth=2
	s_or_saveexec_b32 s27, s27
	v_mov_b32_e32 v130, s26
	s_xor_b32 exec_lo, exec_lo, s27
	s_cbranch_execnz .LBB2_1319
.LBB2_1000:                             ;   in Loop: Header=BB2_797 Depth=2
	s_or_b32 exec_lo, exec_lo, s27
	s_and_saveexec_b32 s26, s11
	s_cbranch_execz .LBB2_1002
.LBB2_1001:                             ;   in Loop: Header=BB2_797 Depth=2
	v_bfe_u32 v133, v98, 3, 4
	s_delay_alu instid0(VALU_DEP_1) | instskip(SKIP_1) | instid1(VALU_DEP_1)
	v_cmp_eq_u32_e32 vcc_lo, 0, v133
	v_and_b32_e32 v130, 7, v98
	v_clz_i32_u32_e32 v131, v130
	s_delay_alu instid0(VALU_DEP_1) | instskip(NEXT) | instid1(VALU_DEP_1)
	v_min_u32_e32 v131, 32, v131
	v_subrev_nc_u32_e32 v132, 28, v131
	v_sub_nc_u32_e32 v131, 29, v131
	s_delay_alu instid0(VALU_DEP_1) | instskip(SKIP_1) | instid1(VALU_DEP_2)
	v_dual_cndmask_b32 v131, v133, v131 :: v_dual_lshlrev_b32 v132, v132, v98
	v_lshlrev_b32_e32 v98, 24, v98
	v_and_b32_e32 v132, 7, v132
	s_delay_alu instid0(VALU_DEP_3) | instskip(NEXT) | instid1(VALU_DEP_3)
	v_lshl_add_u32 v131, v131, 23, 0x3b800000
	v_and_b32_e32 v98, 0x80000000, v98
	s_delay_alu instid0(VALU_DEP_3) | instskip(NEXT) | instid1(VALU_DEP_1)
	v_cndmask_b32_e32 v130, v130, v132, vcc_lo
	v_lshlrev_b32_e32 v130, 20, v130
	s_delay_alu instid0(VALU_DEP_1)
	v_or3_b32 v130, v98, v131, v130
.LBB2_1002:                             ;   in Loop: Header=BB2_797 Depth=2
	s_or_b32 exec_lo, exec_lo, s26
	s_waitcnt vmcnt(0)
	v_and_b32_e32 v131, 0xff, v10
	s_mov_b32 s11, 0
	s_mov_b32 s27, exec_lo
                                        ; implicit-def: $sgpr26
	s_delay_alu instid0(VALU_DEP_1)
	v_cmpx_lt_i16_e64 0x7f, v131
	s_xor_b32 s27, exec_lo, s27
	s_cbranch_execnz .LBB2_1320
; %bb.1003:                             ;   in Loop: Header=BB2_797 Depth=2
	s_or_saveexec_b32 s27, s27
	v_mov_b32_e32 v98, s26
	s_xor_b32 exec_lo, exec_lo, s27
	s_cbranch_execnz .LBB2_1323
.LBB2_1004:                             ;   in Loop: Header=BB2_797 Depth=2
	s_or_b32 exec_lo, exec_lo, s27
	s_and_saveexec_b32 s26, s11
	s_cbranch_execz .LBB2_1006
.LBB2_1005:                             ;   in Loop: Header=BB2_797 Depth=2
	v_bfe_u32 v133, v10, 3, 4
	v_lshlrev_b32_e32 v134, 24, v10
	s_delay_alu instid0(VALU_DEP_2) | instskip(SKIP_1) | instid1(VALU_DEP_1)
	v_cmp_eq_u32_e32 vcc_lo, 0, v133
	v_and_b32_e32 v98, 7, v10
	v_clz_i32_u32_e32 v131, v98
	s_delay_alu instid0(VALU_DEP_1) | instskip(NEXT) | instid1(VALU_DEP_1)
	v_min_u32_e32 v131, 32, v131
	v_subrev_nc_u32_e32 v132, 28, v131
	v_sub_nc_u32_e32 v131, 29, v131
	s_delay_alu instid0(VALU_DEP_1) | instskip(NEXT) | instid1(VALU_DEP_1)
	v_dual_cndmask_b32 v131, v133, v131 :: v_dual_lshlrev_b32 v132, v132, v10
	v_and_b32_e32 v132, 7, v132
	s_delay_alu instid0(VALU_DEP_2) | instskip(NEXT) | instid1(VALU_DEP_2)
	v_lshl_add_u32 v131, v131, 23, 0x3b800000
	v_cndmask_b32_e32 v98, v98, v132, vcc_lo
	v_and_b32_e32 v132, 0x80000000, v134
	s_delay_alu instid0(VALU_DEP_2) | instskip(NEXT) | instid1(VALU_DEP_1)
	v_lshlrev_b32_e32 v98, 20, v98
	v_or3_b32 v98, v132, v131, v98
.LBB2_1006:                             ;   in Loop: Header=BB2_797 Depth=2
	s_or_b32 exec_lo, exec_lo, s26
	s_delay_alu instid0(VALU_DEP_1) | instskip(NEXT) | instid1(VALU_DEP_1)
	v_add_f32_e32 v130, v130, v98
	v_and_b32_e32 v98, 0x7f800000, v130
	s_delay_alu instid0(VALU_DEP_1)
	v_cmp_ne_u32_e32 vcc_lo, 0x7f800000, v98
	v_mov_b32_e32 v98, 0x80
	s_and_saveexec_b32 s26, vcc_lo
	s_cbranch_execz .LBB2_1014
; %bb.1007:                             ;   in Loop: Header=BB2_797 Depth=2
	v_mov_b32_e32 v98, 0
	s_mov_b32 s27, exec_lo
	v_cmpx_ne_u32_e32 0, v130
	s_cbranch_execz .LBB2_1013
; %bb.1008:                             ;   in Loop: Header=BB2_797 Depth=2
	v_bfe_u32 v98, v130, 23, 8
	s_delay_alu instid0(VALU_DEP_1) | instskip(SKIP_1) | instid1(VALU_DEP_2)
	v_sub_nc_u32_e32 v132, 0x78, v98
	v_cmp_gt_u32_e32 vcc_lo, 0x79, v98
	v_dual_cndmask_b32 v132, 0, v132 :: v_dual_and_b32 v131, 0x7fffff, v130
	s_delay_alu instid0(VALU_DEP_1) | instskip(SKIP_2) | instid1(VALU_DEP_4)
	v_or_b32_e32 v133, 0x800000, v131
	v_cmp_eq_u32_e32 vcc_lo, 0, v98
	v_add_nc_u32_e32 v98, 0xffffff89, v98
	v_cndmask_b32_e64 v132, v132, 0x77, vcc_lo
	s_delay_alu instid0(VALU_DEP_4) | instskip(NEXT) | instid1(VALU_DEP_3)
	v_cndmask_b32_e32 v131, v133, v131, vcc_lo
	v_cndmask_b32_e64 v98, v98, 0xffffff8a, vcc_lo
	s_delay_alu instid0(VALU_DEP_3) | instskip(NEXT) | instid1(VALU_DEP_3)
	v_lshl_add_u32 v133, 0x100000, v132, -1
	v_lshrrev_b32_e32 v134, v132, v131
	v_lshlrev_b32_e64 v144, v132, 0x80000
	s_delay_alu instid0(VALU_DEP_4) | instskip(NEXT) | instid1(VALU_DEP_4)
	v_add_nc_u32_e32 v132, v132, v98
	v_and_b32_e32 v131, v133, v131
	s_delay_alu instid0(VALU_DEP_4) | instskip(NEXT) | instid1(VALU_DEP_2)
	v_bfe_u32 v135, v134, 20, 1
	v_cmp_eq_u32_e64 s11, v131, v144
	s_delay_alu instid0(VALU_DEP_2) | instskip(NEXT) | instid1(VALU_DEP_1)
	v_add_nc_u32_e32 v133, -1, v135
	v_cndmask_b32_e64 v131, 0, v133, s11
	v_lshrrev_b32_e32 v133, 23, v134
	s_mov_b32 s11, exec_lo
	s_delay_alu instid0(VALU_DEP_2) | instskip(NEXT) | instid1(VALU_DEP_2)
	v_add_nc_u32_e32 v131, v131, v134
	v_xor_b32_e32 v133, 1, v133
	s_delay_alu instid0(VALU_DEP_2) | instskip(NEXT) | instid1(VALU_DEP_1)
	v_and_b32_e32 v98, 0xfffff, v131
	v_add_nc_u32_e32 v131, v98, v134
                                        ; implicit-def: $vgpr98
	s_delay_alu instid0(VALU_DEP_3)
	v_cmpx_ne_u32_e64 v132, v133
	s_xor_b32 s11, exec_lo, s11
; %bb.1009:                             ;   in Loop: Header=BB2_797 Depth=2
	s_delay_alu instid0(VALU_DEP_2) | instskip(SKIP_2) | instid1(VALU_DEP_2)
	v_cmp_lt_u32_e32 vcc_lo, 0xffffff, v131
	v_sub_nc_u32_e32 v98, v132, v133
	v_cndmask_b32_e64 v132, 0, 1, vcc_lo
	v_add_co_ci_u32_e32 v98, vcc_lo, 0, v98, vcc_lo
	s_delay_alu instid0(VALU_DEP_2)
	v_lshrrev_b32_e32 v131, v132, v131
; %bb.1010:                             ;   in Loop: Header=BB2_797 Depth=2
	s_and_not1_saveexec_b32 s11, s11
; %bb.1011:                             ;   in Loop: Header=BB2_797 Depth=2
	s_delay_alu instid0(VALU_DEP_1)
	v_bfe_u32 v98, v131, 23, 1
; %bb.1012:                             ;   in Loop: Header=BB2_797 Depth=2
	s_or_b32 exec_lo, exec_lo, s11
	v_lshrrev_b32_e32 v131, 20, v131
	s_delay_alu instid0(VALU_DEP_2) | instskip(SKIP_2) | instid1(VALU_DEP_2)
	v_cmp_gt_i32_e32 vcc_lo, 16, v98
	v_lshrrev_b32_e32 v130, 24, v130
	v_min_i32_e32 v132, 15, v98
	v_dual_cndmask_b32 v131, 7, v131 :: v_dual_and_b32 v130, 0x80, v130
	s_delay_alu instid0(VALU_DEP_2) | instskip(NEXT) | instid1(VALU_DEP_2)
	v_lshlrev_b32_e32 v132, 3, v132
	v_or_b32_e32 v98, v98, v131
	s_delay_alu instid0(VALU_DEP_1) | instskip(SKIP_1) | instid1(VALU_DEP_1)
	v_cmp_ne_u32_e32 vcc_lo, 0, v98
	v_and_b32_e32 v133, 7, v131
	v_or3_b32 v130, v132, v130, v133
	s_delay_alu instid0(VALU_DEP_1)
	v_cndmask_b32_e32 v98, 0, v130, vcc_lo
.LBB2_1013:                             ;   in Loop: Header=BB2_797 Depth=2
	s_or_b32 exec_lo, exec_lo, s27
.LBB2_1014:                             ;   in Loop: Header=BB2_797 Depth=2
	s_delay_alu instid0(SALU_CYCLE_1) | instskip(SKIP_3) | instid1(VALU_DEP_1)
	s_or_b32 exec_lo, exec_lo, s26
	v_and_b32_e32 v131, 0xff, v102
	s_mov_b32 s11, 0
	s_mov_b32 s27, exec_lo
                                        ; implicit-def: $sgpr26
	v_cmpx_lt_i16_e64 0x7f, v131
	s_xor_b32 s27, exec_lo, s27
	s_cbranch_execnz .LBB2_1324
; %bb.1015:                             ;   in Loop: Header=BB2_797 Depth=2
	s_or_saveexec_b32 s27, s27
	v_mov_b32_e32 v130, s26
	s_xor_b32 exec_lo, exec_lo, s27
	s_cbranch_execnz .LBB2_1327
.LBB2_1016:                             ;   in Loop: Header=BB2_797 Depth=2
	s_or_b32 exec_lo, exec_lo, s27
	s_and_saveexec_b32 s26, s11
	s_cbranch_execz .LBB2_1018
.LBB2_1017:                             ;   in Loop: Header=BB2_797 Depth=2
	v_bfe_u32 v133, v102, 3, 4
	s_delay_alu instid0(VALU_DEP_1) | instskip(SKIP_1) | instid1(VALU_DEP_1)
	v_cmp_eq_u32_e32 vcc_lo, 0, v133
	v_and_b32_e32 v130, 7, v102
	v_clz_i32_u32_e32 v131, v130
	s_delay_alu instid0(VALU_DEP_1) | instskip(NEXT) | instid1(VALU_DEP_1)
	v_min_u32_e32 v131, 32, v131
	v_subrev_nc_u32_e32 v132, 28, v131
	v_sub_nc_u32_e32 v131, 29, v131
	s_delay_alu instid0(VALU_DEP_1) | instskip(SKIP_1) | instid1(VALU_DEP_2)
	v_dual_cndmask_b32 v131, v133, v131 :: v_dual_lshlrev_b32 v132, v132, v102
	v_lshlrev_b32_e32 v102, 24, v102
	v_and_b32_e32 v132, 7, v132
	s_delay_alu instid0(VALU_DEP_3) | instskip(NEXT) | instid1(VALU_DEP_3)
	v_lshl_add_u32 v131, v131, 23, 0x3b800000
	v_and_b32_e32 v102, 0x80000000, v102
	s_delay_alu instid0(VALU_DEP_3) | instskip(NEXT) | instid1(VALU_DEP_1)
	v_cndmask_b32_e32 v130, v130, v132, vcc_lo
	v_lshlrev_b32_e32 v130, 20, v130
	s_delay_alu instid0(VALU_DEP_1)
	v_or3_b32 v130, v102, v131, v130
.LBB2_1018:                             ;   in Loop: Header=BB2_797 Depth=2
	s_or_b32 exec_lo, exec_lo, s26
	v_lshrrev_b16 v102, 8, v10
	s_mov_b32 s11, 0
	s_mov_b32 s27, exec_lo
                                        ; implicit-def: $sgpr26
	s_delay_alu instid0(VALU_DEP_1)
	v_cmpx_lt_i16_e32 0x7f, v102
	s_xor_b32 s27, exec_lo, s27
	s_cbranch_execnz .LBB2_1328
; %bb.1019:                             ;   in Loop: Header=BB2_797 Depth=2
	s_or_saveexec_b32 s27, s27
	v_mov_b32_e32 v131, s26
	s_xor_b32 exec_lo, exec_lo, s27
	s_cbranch_execnz .LBB2_1331
.LBB2_1020:                             ;   in Loop: Header=BB2_797 Depth=2
	s_or_b32 exec_lo, exec_lo, s27
	s_and_saveexec_b32 s26, s11
	s_cbranch_execz .LBB2_1022
.LBB2_1021:                             ;   in Loop: Header=BB2_797 Depth=2
	v_and_b32_e32 v131, 0xffff, v102
	v_lshlrev_b32_e32 v102, 24, v102
	s_delay_alu instid0(VALU_DEP_2) | instskip(NEXT) | instid1(VALU_DEP_2)
	v_and_b32_e32 v132, 7, v131
	v_and_b32_e32 v102, 0x80000000, v102
	s_delay_alu instid0(VALU_DEP_2) | instskip(NEXT) | instid1(VALU_DEP_1)
	v_clz_i32_u32_e32 v133, v132
	v_min_u32_e32 v133, 32, v133
	s_delay_alu instid0(VALU_DEP_1) | instskip(SKIP_1) | instid1(VALU_DEP_2)
	v_subrev_nc_u32_e32 v134, 28, v133
	v_sub_nc_u32_e32 v133, 29, v133
	v_lshlrev_b32_e32 v134, v134, v131
	v_bfe_u32 v131, v131, 3, 4
	s_delay_alu instid0(VALU_DEP_2) | instskip(NEXT) | instid1(VALU_DEP_2)
	v_and_b32_e32 v134, 7, v134
	v_cmp_eq_u32_e32 vcc_lo, 0, v131
	s_delay_alu instid0(VALU_DEP_2) | instskip(NEXT) | instid1(VALU_DEP_1)
	v_dual_cndmask_b32 v131, v131, v133 :: v_dual_cndmask_b32 v132, v132, v134
	v_lshl_add_u32 v131, v131, 23, 0x3b800000
	s_delay_alu instid0(VALU_DEP_2) | instskip(NEXT) | instid1(VALU_DEP_1)
	v_lshlrev_b32_e32 v132, 20, v132
	v_or3_b32 v131, v102, v131, v132
.LBB2_1022:                             ;   in Loop: Header=BB2_797 Depth=2
	s_or_b32 exec_lo, exec_lo, s26
	s_delay_alu instid0(VALU_DEP_1) | instskip(NEXT) | instid1(VALU_DEP_1)
	v_add_f32_e32 v130, v130, v131
	v_and_b32_e32 v102, 0x7f800000, v130
	s_delay_alu instid0(VALU_DEP_1)
	v_cmp_ne_u32_e32 vcc_lo, 0x7f800000, v102
	v_mov_b32_e32 v102, 0x80
	s_and_saveexec_b32 s26, vcc_lo
	s_cbranch_execz .LBB2_1030
; %bb.1023:                             ;   in Loop: Header=BB2_797 Depth=2
	v_mov_b32_e32 v102, 0
	s_mov_b32 s27, exec_lo
	v_cmpx_ne_u32_e32 0, v130
	s_cbranch_execz .LBB2_1029
; %bb.1024:                             ;   in Loop: Header=BB2_797 Depth=2
	v_bfe_u32 v102, v130, 23, 8
	s_delay_alu instid0(VALU_DEP_1) | instskip(SKIP_1) | instid1(VALU_DEP_2)
	v_sub_nc_u32_e32 v132, 0x78, v102
	v_cmp_gt_u32_e32 vcc_lo, 0x79, v102
	v_dual_cndmask_b32 v132, 0, v132 :: v_dual_and_b32 v131, 0x7fffff, v130
	s_delay_alu instid0(VALU_DEP_1) | instskip(SKIP_2) | instid1(VALU_DEP_4)
	v_or_b32_e32 v133, 0x800000, v131
	v_cmp_eq_u32_e32 vcc_lo, 0, v102
	v_add_nc_u32_e32 v102, 0xffffff89, v102
	v_cndmask_b32_e64 v132, v132, 0x77, vcc_lo
	s_delay_alu instid0(VALU_DEP_4) | instskip(NEXT) | instid1(VALU_DEP_3)
	v_cndmask_b32_e32 v131, v133, v131, vcc_lo
	v_cndmask_b32_e64 v102, v102, 0xffffff8a, vcc_lo
	s_delay_alu instid0(VALU_DEP_3) | instskip(NEXT) | instid1(VALU_DEP_3)
	v_lshl_add_u32 v133, 0x100000, v132, -1
	v_lshrrev_b32_e32 v134, v132, v131
	v_lshlrev_b32_e64 v144, v132, 0x80000
	s_delay_alu instid0(VALU_DEP_4) | instskip(NEXT) | instid1(VALU_DEP_4)
	v_add_nc_u32_e32 v132, v132, v102
	v_and_b32_e32 v131, v133, v131
	s_delay_alu instid0(VALU_DEP_4) | instskip(NEXT) | instid1(VALU_DEP_2)
	v_bfe_u32 v135, v134, 20, 1
	v_cmp_eq_u32_e64 s11, v131, v144
	s_delay_alu instid0(VALU_DEP_2) | instskip(NEXT) | instid1(VALU_DEP_1)
	v_add_nc_u32_e32 v133, -1, v135
	v_cndmask_b32_e64 v131, 0, v133, s11
	v_lshrrev_b32_e32 v133, 23, v134
	s_mov_b32 s11, exec_lo
	s_delay_alu instid0(VALU_DEP_2) | instskip(NEXT) | instid1(VALU_DEP_2)
	v_add_nc_u32_e32 v131, v131, v134
	v_xor_b32_e32 v133, 1, v133
	s_delay_alu instid0(VALU_DEP_2) | instskip(NEXT) | instid1(VALU_DEP_1)
	v_and_b32_e32 v102, 0xfffff, v131
	v_add_nc_u32_e32 v131, v102, v134
                                        ; implicit-def: $vgpr102
	s_delay_alu instid0(VALU_DEP_3)
	v_cmpx_ne_u32_e64 v132, v133
	s_xor_b32 s11, exec_lo, s11
; %bb.1025:                             ;   in Loop: Header=BB2_797 Depth=2
	s_delay_alu instid0(VALU_DEP_2) | instskip(SKIP_2) | instid1(VALU_DEP_2)
	v_cmp_lt_u32_e32 vcc_lo, 0xffffff, v131
	v_sub_nc_u32_e32 v102, v132, v133
	v_cndmask_b32_e64 v132, 0, 1, vcc_lo
	v_add_co_ci_u32_e32 v102, vcc_lo, 0, v102, vcc_lo
	s_delay_alu instid0(VALU_DEP_2)
	v_lshrrev_b32_e32 v131, v132, v131
; %bb.1026:                             ;   in Loop: Header=BB2_797 Depth=2
	s_and_not1_saveexec_b32 s11, s11
; %bb.1027:                             ;   in Loop: Header=BB2_797 Depth=2
	s_delay_alu instid0(VALU_DEP_1)
	v_bfe_u32 v102, v131, 23, 1
; %bb.1028:                             ;   in Loop: Header=BB2_797 Depth=2
	s_or_b32 exec_lo, exec_lo, s11
	v_lshrrev_b32_e32 v131, 20, v131
	s_delay_alu instid0(VALU_DEP_2) | instskip(SKIP_2) | instid1(VALU_DEP_2)
	v_cmp_gt_i32_e32 vcc_lo, 16, v102
	v_lshrrev_b32_e32 v130, 24, v130
	v_min_i32_e32 v132, 15, v102
	v_dual_cndmask_b32 v131, 7, v131 :: v_dual_and_b32 v130, 0x80, v130
	s_delay_alu instid0(VALU_DEP_2) | instskip(NEXT) | instid1(VALU_DEP_2)
	v_lshlrev_b32_e32 v132, 3, v132
	v_or_b32_e32 v102, v102, v131
	s_delay_alu instid0(VALU_DEP_1) | instskip(SKIP_1) | instid1(VALU_DEP_1)
	v_cmp_ne_u32_e32 vcc_lo, 0, v102
	v_and_b32_e32 v133, 7, v131
	v_or3_b32 v130, v132, v130, v133
	s_delay_alu instid0(VALU_DEP_1)
	v_cndmask_b32_e32 v102, 0, v130, vcc_lo
.LBB2_1029:                             ;   in Loop: Header=BB2_797 Depth=2
	s_or_b32 exec_lo, exec_lo, s27
.LBB2_1030:                             ;   in Loop: Header=BB2_797 Depth=2
	s_delay_alu instid0(SALU_CYCLE_1) | instskip(SKIP_3) | instid1(VALU_DEP_1)
	s_or_b32 exec_lo, exec_lo, s26
	v_and_b32_e32 v131, 0xff, v116
	s_mov_b32 s11, 0
	s_mov_b32 s27, exec_lo
                                        ; implicit-def: $sgpr26
	v_cmpx_lt_i16_e64 0x7f, v131
	s_xor_b32 s27, exec_lo, s27
	s_cbranch_execnz .LBB2_1332
; %bb.1031:                             ;   in Loop: Header=BB2_797 Depth=2
	s_or_saveexec_b32 s27, s27
	v_mov_b32_e32 v130, s26
	s_xor_b32 exec_lo, exec_lo, s27
	s_cbranch_execnz .LBB2_1335
.LBB2_1032:                             ;   in Loop: Header=BB2_797 Depth=2
	s_or_b32 exec_lo, exec_lo, s27
	s_and_saveexec_b32 s26, s11
	s_cbranch_execz .LBB2_1034
.LBB2_1033:                             ;   in Loop: Header=BB2_797 Depth=2
	v_bfe_u32 v133, v116, 3, 4
	s_delay_alu instid0(VALU_DEP_1) | instskip(SKIP_1) | instid1(VALU_DEP_1)
	v_cmp_eq_u32_e32 vcc_lo, 0, v133
	v_and_b32_e32 v130, 7, v116
	v_clz_i32_u32_e32 v131, v130
	s_delay_alu instid0(VALU_DEP_1) | instskip(NEXT) | instid1(VALU_DEP_1)
	v_min_u32_e32 v131, 32, v131
	v_subrev_nc_u32_e32 v132, 28, v131
	v_sub_nc_u32_e32 v131, 29, v131
	s_delay_alu instid0(VALU_DEP_1) | instskip(SKIP_1) | instid1(VALU_DEP_2)
	v_dual_cndmask_b32 v131, v133, v131 :: v_dual_lshlrev_b32 v132, v132, v116
	v_lshlrev_b32_e32 v116, 24, v116
	v_and_b32_e32 v132, 7, v132
	s_delay_alu instid0(VALU_DEP_3) | instskip(NEXT) | instid1(VALU_DEP_3)
	v_lshl_add_u32 v131, v131, 23, 0x3b800000
	v_and_b32_e32 v116, 0x80000000, v116
	s_delay_alu instid0(VALU_DEP_3) | instskip(NEXT) | instid1(VALU_DEP_1)
	v_cndmask_b32_e32 v130, v130, v132, vcc_lo
	v_lshlrev_b32_e32 v130, 20, v130
	s_delay_alu instid0(VALU_DEP_1)
	v_or3_b32 v130, v116, v131, v130
.LBB2_1034:                             ;   in Loop: Header=BB2_797 Depth=2
	s_or_b32 exec_lo, exec_lo, s26
	v_lshrrev_b32_e32 v116, 16, v10
	s_mov_b32 s11, 0
	s_mov_b32 s27, exec_lo
                                        ; implicit-def: $sgpr26
	s_delay_alu instid0(VALU_DEP_1) | instskip(NEXT) | instid1(VALU_DEP_1)
	v_and_b32_e32 v132, 0xff, v116
	v_cmpx_lt_i16_e64 0x7f, v132
	s_xor_b32 s27, exec_lo, s27
	s_cbranch_execnz .LBB2_1336
; %bb.1035:                             ;   in Loop: Header=BB2_797 Depth=2
	s_or_saveexec_b32 s27, s27
	v_mov_b32_e32 v131, s26
	s_xor_b32 exec_lo, exec_lo, s27
	s_cbranch_execnz .LBB2_1339
.LBB2_1036:                             ;   in Loop: Header=BB2_797 Depth=2
	s_or_b32 exec_lo, exec_lo, s27
	s_and_saveexec_b32 s26, s11
	s_cbranch_execz .LBB2_1038
.LBB2_1037:                             ;   in Loop: Header=BB2_797 Depth=2
	v_bfe_u32 v131, v10, 16, 3
	v_lshlrev_b32_e32 v134, 8, v10
	s_delay_alu instid0(VALU_DEP_2) | instskip(NEXT) | instid1(VALU_DEP_1)
	v_clz_i32_u32_e32 v132, v131
	v_min_u32_e32 v132, 32, v132
	s_delay_alu instid0(VALU_DEP_1) | instskip(SKIP_1) | instid1(VALU_DEP_2)
	v_subrev_nc_u32_e32 v133, 28, v132
	v_sub_nc_u32_e32 v132, 29, v132
	v_lshlrev_b32_e32 v116, v133, v116
	v_bfe_u32 v133, v10, 19, 4
	s_delay_alu instid0(VALU_DEP_2) | instskip(NEXT) | instid1(VALU_DEP_2)
	v_and_b32_e32 v116, 7, v116
	v_cmp_eq_u32_e32 vcc_lo, 0, v133
	v_cndmask_b32_e32 v132, v133, v132, vcc_lo
	s_delay_alu instid0(VALU_DEP_3) | instskip(NEXT) | instid1(VALU_DEP_2)
	v_dual_cndmask_b32 v116, v131, v116 :: v_dual_and_b32 v131, 0x80000000, v134
	v_lshl_add_u32 v132, v132, 23, 0x3b800000
	s_delay_alu instid0(VALU_DEP_2) | instskip(NEXT) | instid1(VALU_DEP_1)
	v_lshlrev_b32_e32 v116, 20, v116
	v_or3_b32 v131, v131, v132, v116
.LBB2_1038:                             ;   in Loop: Header=BB2_797 Depth=2
	s_or_b32 exec_lo, exec_lo, s26
	s_delay_alu instid0(VALU_DEP_1) | instskip(NEXT) | instid1(VALU_DEP_1)
	v_add_f32_e32 v130, v130, v131
	v_and_b32_e32 v116, 0x7f800000, v130
	s_delay_alu instid0(VALU_DEP_1)
	v_cmp_ne_u32_e32 vcc_lo, 0x7f800000, v116
	v_mov_b32_e32 v116, 0x80
	s_and_saveexec_b32 s26, vcc_lo
	s_cbranch_execz .LBB2_1046
; %bb.1039:                             ;   in Loop: Header=BB2_797 Depth=2
	v_mov_b32_e32 v116, 0
	s_mov_b32 s27, exec_lo
	v_cmpx_ne_u32_e32 0, v130
	s_cbranch_execz .LBB2_1045
; %bb.1040:                             ;   in Loop: Header=BB2_797 Depth=2
	v_bfe_u32 v116, v130, 23, 8
	s_delay_alu instid0(VALU_DEP_1) | instskip(SKIP_1) | instid1(VALU_DEP_2)
	v_sub_nc_u32_e32 v132, 0x78, v116
	v_cmp_gt_u32_e32 vcc_lo, 0x79, v116
	v_dual_cndmask_b32 v132, 0, v132 :: v_dual_and_b32 v131, 0x7fffff, v130
	s_delay_alu instid0(VALU_DEP_1) | instskip(SKIP_2) | instid1(VALU_DEP_4)
	v_or_b32_e32 v133, 0x800000, v131
	v_cmp_eq_u32_e32 vcc_lo, 0, v116
	v_add_nc_u32_e32 v116, 0xffffff89, v116
	v_cndmask_b32_e64 v132, v132, 0x77, vcc_lo
	s_delay_alu instid0(VALU_DEP_4) | instskip(NEXT) | instid1(VALU_DEP_3)
	v_cndmask_b32_e32 v131, v133, v131, vcc_lo
	v_cndmask_b32_e64 v116, v116, 0xffffff8a, vcc_lo
	s_delay_alu instid0(VALU_DEP_3) | instskip(NEXT) | instid1(VALU_DEP_3)
	v_lshl_add_u32 v133, 0x100000, v132, -1
	v_lshrrev_b32_e32 v134, v132, v131
	v_lshlrev_b32_e64 v144, v132, 0x80000
	s_delay_alu instid0(VALU_DEP_4) | instskip(NEXT) | instid1(VALU_DEP_4)
	v_add_nc_u32_e32 v132, v132, v116
	v_and_b32_e32 v131, v133, v131
	s_delay_alu instid0(VALU_DEP_4) | instskip(NEXT) | instid1(VALU_DEP_2)
	v_bfe_u32 v135, v134, 20, 1
	v_cmp_eq_u32_e64 s11, v131, v144
	s_delay_alu instid0(VALU_DEP_2) | instskip(NEXT) | instid1(VALU_DEP_1)
	v_add_nc_u32_e32 v133, -1, v135
	v_cndmask_b32_e64 v131, 0, v133, s11
	v_lshrrev_b32_e32 v133, 23, v134
	s_mov_b32 s11, exec_lo
	s_delay_alu instid0(VALU_DEP_2) | instskip(NEXT) | instid1(VALU_DEP_2)
	v_add_nc_u32_e32 v131, v131, v134
	v_xor_b32_e32 v133, 1, v133
	s_delay_alu instid0(VALU_DEP_2) | instskip(NEXT) | instid1(VALU_DEP_1)
	v_and_b32_e32 v116, 0xfffff, v131
	v_add_nc_u32_e32 v131, v116, v134
                                        ; implicit-def: $vgpr116
	s_delay_alu instid0(VALU_DEP_3)
	v_cmpx_ne_u32_e64 v132, v133
	s_xor_b32 s11, exec_lo, s11
; %bb.1041:                             ;   in Loop: Header=BB2_797 Depth=2
	s_delay_alu instid0(VALU_DEP_2) | instskip(SKIP_2) | instid1(VALU_DEP_2)
	v_cmp_lt_u32_e32 vcc_lo, 0xffffff, v131
	v_sub_nc_u32_e32 v116, v132, v133
	v_cndmask_b32_e64 v132, 0, 1, vcc_lo
	v_add_co_ci_u32_e32 v116, vcc_lo, 0, v116, vcc_lo
	s_delay_alu instid0(VALU_DEP_2)
	v_lshrrev_b32_e32 v131, v132, v131
; %bb.1042:                             ;   in Loop: Header=BB2_797 Depth=2
	s_and_not1_saveexec_b32 s11, s11
; %bb.1043:                             ;   in Loop: Header=BB2_797 Depth=2
	s_delay_alu instid0(VALU_DEP_1)
	v_bfe_u32 v116, v131, 23, 1
; %bb.1044:                             ;   in Loop: Header=BB2_797 Depth=2
	s_or_b32 exec_lo, exec_lo, s11
	v_lshrrev_b32_e32 v131, 20, v131
	s_delay_alu instid0(VALU_DEP_2) | instskip(SKIP_2) | instid1(VALU_DEP_2)
	v_cmp_gt_i32_e32 vcc_lo, 16, v116
	v_lshrrev_b32_e32 v130, 24, v130
	v_min_i32_e32 v132, 15, v116
	v_dual_cndmask_b32 v131, 7, v131 :: v_dual_and_b32 v130, 0x80, v130
	s_delay_alu instid0(VALU_DEP_2) | instskip(NEXT) | instid1(VALU_DEP_2)
	v_lshlrev_b32_e32 v132, 3, v132
	v_or_b32_e32 v116, v116, v131
	s_delay_alu instid0(VALU_DEP_1) | instskip(SKIP_1) | instid1(VALU_DEP_1)
	v_cmp_ne_u32_e32 vcc_lo, 0, v116
	v_and_b32_e32 v133, 7, v131
	v_or3_b32 v130, v132, v130, v133
	s_delay_alu instid0(VALU_DEP_1)
	v_cndmask_b32_e32 v116, 0, v130, vcc_lo
.LBB2_1045:                             ;   in Loop: Header=BB2_797 Depth=2
	s_or_b32 exec_lo, exec_lo, s27
.LBB2_1046:                             ;   in Loop: Header=BB2_797 Depth=2
	s_delay_alu instid0(SALU_CYCLE_1) | instskip(SKIP_3) | instid1(VALU_DEP_1)
	s_or_b32 exec_lo, exec_lo, s26
	v_and_b32_e32 v131, 0xff, v119
	s_mov_b32 s11, 0
	s_mov_b32 s27, exec_lo
                                        ; implicit-def: $sgpr26
	v_cmpx_lt_i16_e64 0x7f, v131
	s_xor_b32 s27, exec_lo, s27
	s_cbranch_execnz .LBB2_1340
; %bb.1047:                             ;   in Loop: Header=BB2_797 Depth=2
	s_or_saveexec_b32 s27, s27
	v_mov_b32_e32 v130, s26
	s_xor_b32 exec_lo, exec_lo, s27
	s_cbranch_execnz .LBB2_1343
.LBB2_1048:                             ;   in Loop: Header=BB2_797 Depth=2
	s_or_b32 exec_lo, exec_lo, s27
	s_and_saveexec_b32 s26, s11
	s_cbranch_execz .LBB2_1050
.LBB2_1049:                             ;   in Loop: Header=BB2_797 Depth=2
	v_lshlrev_b32_e32 v119, 8, v119
	s_delay_alu instid0(VALU_DEP_1) | instskip(SKIP_1) | instid1(VALU_DEP_2)
	v_and_b32_e32 v130, 0xff00, v119
	v_bfe_u32 v119, v119, 11, 4
	v_bfe_u32 v132, v130, 8, 3
	s_delay_alu instid0(VALU_DEP_2) | instskip(NEXT) | instid1(VALU_DEP_2)
	v_cmp_eq_u32_e32 vcc_lo, 0, v119
	v_clz_i32_u32_e32 v133, v132
	s_delay_alu instid0(VALU_DEP_1) | instskip(NEXT) | instid1(VALU_DEP_1)
	v_min_u32_e32 v133, 32, v133
	v_subrev_nc_u32_e32 v134, 28, v133
	v_sub_nc_u32_e32 v133, 29, v133
	s_delay_alu instid0(VALU_DEP_2) | instskip(NEXT) | instid1(VALU_DEP_2)
	v_lshlrev_b32_e32 v131, v134, v131
	v_cndmask_b32_e32 v119, v119, v133, vcc_lo
	s_delay_alu instid0(VALU_DEP_2) | instskip(SKIP_1) | instid1(VALU_DEP_3)
	v_and_b32_e32 v131, 7, v131
	v_lshlrev_b32_e32 v130, 16, v130
	v_lshl_add_u32 v119, v119, 23, 0x3b800000
	s_delay_alu instid0(VALU_DEP_2) | instskip(NEXT) | instid1(VALU_DEP_1)
	v_dual_cndmask_b32 v131, v132, v131 :: v_dual_and_b32 v130, 0x80000000, v130
	v_lshlrev_b32_e32 v131, 20, v131
	s_delay_alu instid0(VALU_DEP_1)
	v_or3_b32 v130, v130, v119, v131
.LBB2_1050:                             ;   in Loop: Header=BB2_797 Depth=2
	s_or_b32 exec_lo, exec_lo, s26
	v_lshrrev_b32_e32 v119, 24, v10
	s_mov_b32 s11, 0
	s_mov_b32 s27, exec_lo
                                        ; implicit-def: $sgpr26
	s_delay_alu instid0(VALU_DEP_1)
	v_cmpx_lt_i16_e32 0x7f, v119
	s_xor_b32 s27, exec_lo, s27
	s_cbranch_execnz .LBB2_1344
; %bb.1051:                             ;   in Loop: Header=BB2_797 Depth=2
	s_or_saveexec_b32 s27, s27
	v_mov_b32_e32 v131, s26
	s_xor_b32 exec_lo, exec_lo, s27
	s_cbranch_execnz .LBB2_1347
.LBB2_1052:                             ;   in Loop: Header=BB2_797 Depth=2
	s_or_b32 exec_lo, exec_lo, s27
	s_and_saveexec_b32 s26, s11
	s_cbranch_execz .LBB2_1054
.LBB2_1053:                             ;   in Loop: Header=BB2_797 Depth=2
	v_bfe_u32 v131, v10, 24, 3
	s_delay_alu instid0(VALU_DEP_1) | instskip(NEXT) | instid1(VALU_DEP_1)
	v_clz_i32_u32_e32 v132, v131
	v_min_u32_e32 v132, 32, v132
	s_delay_alu instid0(VALU_DEP_1) | instskip(SKIP_1) | instid1(VALU_DEP_2)
	v_subrev_nc_u32_e32 v133, 28, v132
	v_sub_nc_u32_e32 v132, 29, v132
	v_lshlrev_b32_e32 v119, v133, v119
	v_bfe_u32 v133, v10, 27, 4
	v_and_b32_e32 v10, 0x80000000, v10
	s_delay_alu instid0(VALU_DEP_2) | instskip(NEXT) | instid1(VALU_DEP_4)
	v_cmp_eq_u32_e32 vcc_lo, 0, v133
	v_dual_cndmask_b32 v132, v133, v132 :: v_dual_and_b32 v119, 7, v119
	s_delay_alu instid0(VALU_DEP_1) | instskip(NEXT) | instid1(VALU_DEP_2)
	v_cndmask_b32_e32 v119, v131, v119, vcc_lo
	v_lshl_add_u32 v131, v132, 23, 0x3b800000
	s_delay_alu instid0(VALU_DEP_2) | instskip(NEXT) | instid1(VALU_DEP_1)
	v_lshlrev_b32_e32 v119, 20, v119
	v_or3_b32 v131, v10, v131, v119
.LBB2_1054:                             ;   in Loop: Header=BB2_797 Depth=2
	s_or_b32 exec_lo, exec_lo, s26
	s_delay_alu instid0(VALU_DEP_1) | instskip(NEXT) | instid1(VALU_DEP_1)
	v_add_f32_e32 v119, v130, v131
	v_and_b32_e32 v10, 0x7f800000, v119
	s_delay_alu instid0(VALU_DEP_1)
	v_cmp_ne_u32_e32 vcc_lo, 0x7f800000, v10
	v_mov_b32_e32 v10, 0x80
	s_and_saveexec_b32 s26, vcc_lo
	s_cbranch_execz .LBB2_1062
; %bb.1055:                             ;   in Loop: Header=BB2_797 Depth=2
	v_mov_b32_e32 v10, 0
	s_mov_b32 s27, exec_lo
	v_cmpx_ne_u32_e32 0, v119
	s_cbranch_execz .LBB2_1061
; %bb.1056:                             ;   in Loop: Header=BB2_797 Depth=2
	v_bfe_u32 v10, v119, 23, 8
	v_and_b32_e32 v130, 0x7fffff, v119
	s_delay_alu instid0(VALU_DEP_2) | instskip(SKIP_1) | instid1(VALU_DEP_3)
	v_sub_nc_u32_e32 v131, 0x78, v10
	v_cmp_gt_u32_e32 vcc_lo, 0x79, v10
	v_or_b32_e32 v132, 0x800000, v130
	s_delay_alu instid0(VALU_DEP_3) | instskip(SKIP_2) | instid1(VALU_DEP_4)
	v_cndmask_b32_e32 v131, 0, v131, vcc_lo
	v_cmp_eq_u32_e32 vcc_lo, 0, v10
	v_add_nc_u32_e32 v10, 0xffffff89, v10
	v_cndmask_b32_e32 v130, v132, v130, vcc_lo
	s_delay_alu instid0(VALU_DEP_4) | instskip(NEXT) | instid1(VALU_DEP_3)
	v_cndmask_b32_e64 v131, v131, 0x77, vcc_lo
	v_cndmask_b32_e64 v10, v10, 0xffffff8a, vcc_lo
	s_delay_alu instid0(VALU_DEP_2) | instskip(SKIP_2) | instid1(VALU_DEP_4)
	v_lshrrev_b32_e32 v133, v131, v130
	v_lshl_add_u32 v132, 0x100000, v131, -1
	v_lshlrev_b32_e64 v135, v131, 0x80000
	v_add_nc_u32_e32 v131, v131, v10
	s_delay_alu instid0(VALU_DEP_4) | instskip(NEXT) | instid1(VALU_DEP_4)
	v_bfe_u32 v134, v133, 20, 1
	v_and_b32_e32 v130, v132, v130
	s_delay_alu instid0(VALU_DEP_2) | instskip(NEXT) | instid1(VALU_DEP_2)
	v_add_nc_u32_e32 v132, -1, v134
	v_cmp_eq_u32_e64 s11, v130, v135
	s_delay_alu instid0(VALU_DEP_1) | instskip(SKIP_2) | instid1(VALU_DEP_2)
	v_cndmask_b32_e64 v130, 0, v132, s11
	v_lshrrev_b32_e32 v132, 23, v133
	s_mov_b32 s11, exec_lo
	v_add_nc_u32_e32 v130, v130, v133
	s_delay_alu instid0(VALU_DEP_2) | instskip(NEXT) | instid1(VALU_DEP_2)
	v_xor_b32_e32 v132, 1, v132
	v_and_b32_e32 v10, 0xfffff, v130
	s_delay_alu instid0(VALU_DEP_1) | instskip(NEXT) | instid1(VALU_DEP_3)
	v_add_nc_u32_e32 v130, v10, v133
                                        ; implicit-def: $vgpr10
	v_cmpx_ne_u32_e64 v131, v132
	s_xor_b32 s11, exec_lo, s11
; %bb.1057:                             ;   in Loop: Header=BB2_797 Depth=2
	s_delay_alu instid0(VALU_DEP_2) | instskip(SKIP_2) | instid1(VALU_DEP_2)
	v_cmp_lt_u32_e32 vcc_lo, 0xffffff, v130
	v_sub_nc_u32_e32 v10, v131, v132
	v_cndmask_b32_e64 v131, 0, 1, vcc_lo
	v_add_co_ci_u32_e32 v10, vcc_lo, 0, v10, vcc_lo
	s_delay_alu instid0(VALU_DEP_2)
	v_lshrrev_b32_e32 v130, v131, v130
; %bb.1058:                             ;   in Loop: Header=BB2_797 Depth=2
	s_and_not1_saveexec_b32 s11, s11
; %bb.1059:                             ;   in Loop: Header=BB2_797 Depth=2
	s_delay_alu instid0(VALU_DEP_1)
	v_bfe_u32 v10, v130, 23, 1
; %bb.1060:                             ;   in Loop: Header=BB2_797 Depth=2
	s_or_b32 exec_lo, exec_lo, s11
	v_lshrrev_b32_e32 v130, 20, v130
	s_delay_alu instid0(VALU_DEP_2) | instskip(SKIP_2) | instid1(VALU_DEP_2)
	v_cmp_gt_i32_e32 vcc_lo, 16, v10
	v_lshrrev_b32_e32 v119, 24, v119
	v_min_i32_e32 v131, 15, v10
	v_dual_cndmask_b32 v130, 7, v130 :: v_dual_and_b32 v119, 0x80, v119
	s_delay_alu instid0(VALU_DEP_2) | instskip(NEXT) | instid1(VALU_DEP_2)
	v_lshlrev_b32_e32 v131, 3, v131
	v_and_b32_e32 v132, 7, v130
	v_or_b32_e32 v10, v10, v130
	s_delay_alu instid0(VALU_DEP_2) | instskip(NEXT) | instid1(VALU_DEP_2)
	v_or3_b32 v119, v131, v119, v132
	v_cmp_ne_u32_e32 vcc_lo, 0, v10
	s_delay_alu instid0(VALU_DEP_2)
	v_cndmask_b32_e32 v10, 0, v119, vcc_lo
.LBB2_1061:                             ;   in Loop: Header=BB2_797 Depth=2
	s_or_b32 exec_lo, exec_lo, s27
.LBB2_1062:                             ;   in Loop: Header=BB2_797 Depth=2
	s_delay_alu instid0(SALU_CYCLE_1) | instskip(SKIP_3) | instid1(VALU_DEP_1)
	s_or_b32 exec_lo, exec_lo, s26
	v_or_b32_e32 v129, v129, v118
	s_mov_b32 s11, 0
	s_mov_b32 s27, exec_lo
                                        ; implicit-def: $sgpr26
	v_and_b32_e32 v119, 0xff, v129
	s_delay_alu instid0(VALU_DEP_1)
	v_cmpx_lt_i16_e32 0x7f, v119
	s_xor_b32 s27, exec_lo, s27
	s_cbranch_execnz .LBB2_1348
; %bb.1063:                             ;   in Loop: Header=BB2_797 Depth=2
	s_or_saveexec_b32 s27, s27
	v_mov_b32_e32 v118, s26
	s_xor_b32 exec_lo, exec_lo, s27
	s_cbranch_execnz .LBB2_1351
.LBB2_1064:                             ;   in Loop: Header=BB2_797 Depth=2
	s_or_b32 exec_lo, exec_lo, s27
	s_and_saveexec_b32 s26, s11
	s_cbranch_execz .LBB2_1066
.LBB2_1065:                             ;   in Loop: Header=BB2_797 Depth=2
	v_bfe_u32 v131, v129, 3, 4
	v_lshlrev_b32_e32 v132, 24, v129
	s_delay_alu instid0(VALU_DEP_2) | instskip(SKIP_1) | instid1(VALU_DEP_1)
	v_cmp_eq_u32_e32 vcc_lo, 0, v131
	v_and_b32_e32 v118, 7, v129
	v_clz_i32_u32_e32 v119, v118
	s_delay_alu instid0(VALU_DEP_1) | instskip(NEXT) | instid1(VALU_DEP_1)
	v_min_u32_e32 v119, 32, v119
	v_subrev_nc_u32_e32 v130, 28, v119
	v_sub_nc_u32_e32 v119, 29, v119
	s_delay_alu instid0(VALU_DEP_1) | instskip(NEXT) | instid1(VALU_DEP_1)
	v_dual_cndmask_b32 v119, v131, v119 :: v_dual_lshlrev_b32 v130, v130, v129
	v_and_b32_e32 v130, 7, v130
	s_delay_alu instid0(VALU_DEP_2) | instskip(NEXT) | instid1(VALU_DEP_2)
	v_lshl_add_u32 v119, v119, 23, 0x3b800000
	v_cndmask_b32_e32 v118, v118, v130, vcc_lo
	v_and_b32_e32 v130, 0x80000000, v132
	s_delay_alu instid0(VALU_DEP_2) | instskip(NEXT) | instid1(VALU_DEP_1)
	v_lshlrev_b32_e32 v118, 20, v118
	v_or3_b32 v118, v130, v119, v118
.LBB2_1066:                             ;   in Loop: Header=BB2_797 Depth=2
	s_or_b32 exec_lo, exec_lo, s26
	v_and_b32_e32 v130, 0xff, v11
	s_mov_b32 s11, 0
	s_mov_b32 s27, exec_lo
                                        ; implicit-def: $sgpr26
	s_delay_alu instid0(VALU_DEP_1)
	v_cmpx_lt_i16_e64 0x7f, v130
	s_xor_b32 s27, exec_lo, s27
	s_cbranch_execnz .LBB2_1352
; %bb.1067:                             ;   in Loop: Header=BB2_797 Depth=2
	s_or_saveexec_b32 s27, s27
	v_mov_b32_e32 v119, s26
	s_xor_b32 exec_lo, exec_lo, s27
	s_cbranch_execnz .LBB2_1355
.LBB2_1068:                             ;   in Loop: Header=BB2_797 Depth=2
	s_or_b32 exec_lo, exec_lo, s27
	s_and_saveexec_b32 s26, s11
	s_cbranch_execz .LBB2_1070
.LBB2_1069:                             ;   in Loop: Header=BB2_797 Depth=2
	v_bfe_u32 v132, v11, 3, 4
	v_lshlrev_b32_e32 v133, 24, v11
	s_delay_alu instid0(VALU_DEP_2) | instskip(SKIP_1) | instid1(VALU_DEP_1)
	v_cmp_eq_u32_e32 vcc_lo, 0, v132
	v_and_b32_e32 v119, 7, v11
	v_clz_i32_u32_e32 v130, v119
	s_delay_alu instid0(VALU_DEP_1) | instskip(NEXT) | instid1(VALU_DEP_1)
	v_min_u32_e32 v130, 32, v130
	v_subrev_nc_u32_e32 v131, 28, v130
	v_sub_nc_u32_e32 v130, 29, v130
	s_delay_alu instid0(VALU_DEP_1) | instskip(NEXT) | instid1(VALU_DEP_1)
	v_dual_cndmask_b32 v130, v132, v130 :: v_dual_lshlrev_b32 v131, v131, v11
	v_and_b32_e32 v131, 7, v131
	s_delay_alu instid0(VALU_DEP_2) | instskip(NEXT) | instid1(VALU_DEP_2)
	v_lshl_add_u32 v130, v130, 23, 0x3b800000
	v_cndmask_b32_e32 v119, v119, v131, vcc_lo
	v_and_b32_e32 v131, 0x80000000, v133
	s_delay_alu instid0(VALU_DEP_2) | instskip(NEXT) | instid1(VALU_DEP_1)
	v_lshlrev_b32_e32 v119, 20, v119
	v_or3_b32 v119, v131, v130, v119
.LBB2_1070:                             ;   in Loop: Header=BB2_797 Depth=2
	s_or_b32 exec_lo, exec_lo, s26
	s_delay_alu instid0(VALU_DEP_1) | instskip(NEXT) | instid1(VALU_DEP_1)
	v_add_f32_e32 v119, v118, v119
	v_and_b32_e32 v118, 0x7f800000, v119
	s_delay_alu instid0(VALU_DEP_1)
	v_cmp_ne_u32_e32 vcc_lo, 0x7f800000, v118
	v_mov_b32_e32 v118, 0x80
	s_and_saveexec_b32 s26, vcc_lo
	s_cbranch_execz .LBB2_1078
; %bb.1071:                             ;   in Loop: Header=BB2_797 Depth=2
	v_mov_b32_e32 v118, 0
	s_mov_b32 s27, exec_lo
	v_cmpx_ne_u32_e32 0, v119
	s_cbranch_execz .LBB2_1077
; %bb.1072:                             ;   in Loop: Header=BB2_797 Depth=2
	v_bfe_u32 v118, v119, 23, 8
	v_and_b32_e32 v130, 0x7fffff, v119
	s_delay_alu instid0(VALU_DEP_2) | instskip(SKIP_1) | instid1(VALU_DEP_3)
	v_sub_nc_u32_e32 v131, 0x78, v118
	v_cmp_gt_u32_e32 vcc_lo, 0x79, v118
	v_or_b32_e32 v132, 0x800000, v130
	s_delay_alu instid0(VALU_DEP_3) | instskip(SKIP_2) | instid1(VALU_DEP_4)
	v_cndmask_b32_e32 v131, 0, v131, vcc_lo
	v_cmp_eq_u32_e32 vcc_lo, 0, v118
	v_add_nc_u32_e32 v118, 0xffffff89, v118
	v_cndmask_b32_e32 v130, v132, v130, vcc_lo
	s_delay_alu instid0(VALU_DEP_4) | instskip(NEXT) | instid1(VALU_DEP_3)
	v_cndmask_b32_e64 v131, v131, 0x77, vcc_lo
	v_cndmask_b32_e64 v118, v118, 0xffffff8a, vcc_lo
	s_delay_alu instid0(VALU_DEP_2) | instskip(SKIP_2) | instid1(VALU_DEP_4)
	v_lshrrev_b32_e32 v133, v131, v130
	v_lshl_add_u32 v132, 0x100000, v131, -1
	v_lshlrev_b32_e64 v135, v131, 0x80000
	v_add_nc_u32_e32 v131, v131, v118
	s_delay_alu instid0(VALU_DEP_4) | instskip(NEXT) | instid1(VALU_DEP_4)
	v_bfe_u32 v134, v133, 20, 1
	v_and_b32_e32 v130, v132, v130
	s_delay_alu instid0(VALU_DEP_2) | instskip(NEXT) | instid1(VALU_DEP_2)
	v_add_nc_u32_e32 v132, -1, v134
	v_cmp_eq_u32_e64 s11, v130, v135
	s_delay_alu instid0(VALU_DEP_1) | instskip(SKIP_2) | instid1(VALU_DEP_2)
	v_cndmask_b32_e64 v130, 0, v132, s11
	v_lshrrev_b32_e32 v132, 23, v133
	s_mov_b32 s11, exec_lo
	v_add_nc_u32_e32 v130, v130, v133
	s_delay_alu instid0(VALU_DEP_2) | instskip(NEXT) | instid1(VALU_DEP_2)
	v_xor_b32_e32 v132, 1, v132
	v_and_b32_e32 v118, 0xfffff, v130
	s_delay_alu instid0(VALU_DEP_1) | instskip(NEXT) | instid1(VALU_DEP_3)
	v_add_nc_u32_e32 v130, v118, v133
                                        ; implicit-def: $vgpr118
	v_cmpx_ne_u32_e64 v131, v132
	s_xor_b32 s11, exec_lo, s11
; %bb.1073:                             ;   in Loop: Header=BB2_797 Depth=2
	s_delay_alu instid0(VALU_DEP_2) | instskip(SKIP_2) | instid1(VALU_DEP_2)
	v_cmp_lt_u32_e32 vcc_lo, 0xffffff, v130
	v_sub_nc_u32_e32 v118, v131, v132
	v_cndmask_b32_e64 v131, 0, 1, vcc_lo
	v_add_co_ci_u32_e32 v118, vcc_lo, 0, v118, vcc_lo
	s_delay_alu instid0(VALU_DEP_2)
	v_lshrrev_b32_e32 v130, v131, v130
; %bb.1074:                             ;   in Loop: Header=BB2_797 Depth=2
	s_and_not1_saveexec_b32 s11, s11
; %bb.1075:                             ;   in Loop: Header=BB2_797 Depth=2
	s_delay_alu instid0(VALU_DEP_1)
	v_bfe_u32 v118, v130, 23, 1
; %bb.1076:                             ;   in Loop: Header=BB2_797 Depth=2
	s_or_b32 exec_lo, exec_lo, s11
	v_lshrrev_b32_e32 v130, 20, v130
	s_delay_alu instid0(VALU_DEP_2) | instskip(SKIP_2) | instid1(VALU_DEP_2)
	v_cmp_gt_i32_e32 vcc_lo, 16, v118
	v_lshrrev_b32_e32 v119, 24, v119
	v_min_i32_e32 v131, 15, v118
	v_dual_cndmask_b32 v130, 7, v130 :: v_dual_and_b32 v119, 0x80, v119
	s_delay_alu instid0(VALU_DEP_2) | instskip(NEXT) | instid1(VALU_DEP_2)
	v_lshlrev_b32_e32 v131, 3, v131
	v_and_b32_e32 v132, 7, v130
	v_or_b32_e32 v118, v118, v130
	s_delay_alu instid0(VALU_DEP_2) | instskip(NEXT) | instid1(VALU_DEP_2)
	v_or3_b32 v119, v131, v119, v132
	v_cmp_ne_u32_e32 vcc_lo, 0, v118
	s_delay_alu instid0(VALU_DEP_2)
	v_cndmask_b32_e32 v118, 0, v119, vcc_lo
.LBB2_1077:                             ;   in Loop: Header=BB2_797 Depth=2
	s_or_b32 exec_lo, exec_lo, s27
.LBB2_1078:                             ;   in Loop: Header=BB2_797 Depth=2
	s_delay_alu instid0(SALU_CYCLE_1) | instskip(SKIP_3) | instid1(VALU_DEP_1)
	s_or_b32 exec_lo, exec_lo, s26
	v_lshrrev_b16 v130, 8, v129
	s_mov_b32 s11, 0
	s_mov_b32 s27, exec_lo
                                        ; implicit-def: $sgpr26
	v_cmpx_lt_i16_e64 0x7f, v130
	s_xor_b32 s27, exec_lo, s27
	s_cbranch_execnz .LBB2_1356
; %bb.1079:                             ;   in Loop: Header=BB2_797 Depth=2
	s_or_saveexec_b32 s27, s27
	v_mov_b32_e32 v119, s26
	s_xor_b32 exec_lo, exec_lo, s27
	s_cbranch_execnz .LBB2_1359
.LBB2_1080:                             ;   in Loop: Header=BB2_797 Depth=2
	s_or_b32 exec_lo, exec_lo, s27
	s_and_saveexec_b32 s26, s11
	s_cbranch_execz .LBB2_1082
.LBB2_1081:                             ;   in Loop: Header=BB2_797 Depth=2
	v_and_b32_e32 v119, 0xffff, v130
	s_delay_alu instid0(VALU_DEP_1) | instskip(NEXT) | instid1(VALU_DEP_1)
	v_and_b32_e32 v131, 7, v119
	v_clz_i32_u32_e32 v132, v131
	s_delay_alu instid0(VALU_DEP_1) | instskip(NEXT) | instid1(VALU_DEP_1)
	v_min_u32_e32 v132, 32, v132
	v_subrev_nc_u32_e32 v133, 28, v132
	v_sub_nc_u32_e32 v132, 29, v132
	s_delay_alu instid0(VALU_DEP_2) | instskip(SKIP_1) | instid1(VALU_DEP_2)
	v_lshlrev_b32_e32 v133, v133, v119
	v_bfe_u32 v119, v119, 3, 4
	v_and_b32_e32 v133, 7, v133
	s_delay_alu instid0(VALU_DEP_2) | instskip(SKIP_1) | instid1(VALU_DEP_1)
	v_cmp_eq_u32_e32 vcc_lo, 0, v119
	v_dual_cndmask_b32 v119, v119, v132 :: v_dual_lshlrev_b32 v130, 24, v130
	v_dual_cndmask_b32 v131, v131, v133 :: v_dual_and_b32 v130, 0x80000000, v130
	s_delay_alu instid0(VALU_DEP_2) | instskip(NEXT) | instid1(VALU_DEP_2)
	v_lshl_add_u32 v119, v119, 23, 0x3b800000
	v_lshlrev_b32_e32 v131, 20, v131
	s_delay_alu instid0(VALU_DEP_1)
	v_or3_b32 v119, v130, v119, v131
.LBB2_1082:                             ;   in Loop: Header=BB2_797 Depth=2
	s_or_b32 exec_lo, exec_lo, s26
	v_lshrrev_b16 v130, 8, v11
	s_mov_b32 s11, 0
	s_mov_b32 s27, exec_lo
                                        ; implicit-def: $sgpr26
	s_delay_alu instid0(VALU_DEP_1)
	v_cmpx_lt_i16_e64 0x7f, v130
	s_xor_b32 s27, exec_lo, s27
	s_cbranch_execnz .LBB2_1360
; %bb.1083:                             ;   in Loop: Header=BB2_797 Depth=2
	s_or_saveexec_b32 s27, s27
	v_mov_b32_e32 v131, s26
	s_xor_b32 exec_lo, exec_lo, s27
	s_cbranch_execnz .LBB2_1363
.LBB2_1084:                             ;   in Loop: Header=BB2_797 Depth=2
	s_or_b32 exec_lo, exec_lo, s27
	s_and_saveexec_b32 s26, s11
	s_cbranch_execz .LBB2_1086
.LBB2_1085:                             ;   in Loop: Header=BB2_797 Depth=2
	v_and_b32_e32 v131, 0xffff, v130
	v_lshlrev_b32_e32 v130, 24, v130
	s_delay_alu instid0(VALU_DEP_2) | instskip(NEXT) | instid1(VALU_DEP_2)
	v_and_b32_e32 v132, 7, v131
	v_and_b32_e32 v130, 0x80000000, v130
	s_delay_alu instid0(VALU_DEP_2) | instskip(NEXT) | instid1(VALU_DEP_1)
	v_clz_i32_u32_e32 v133, v132
	v_min_u32_e32 v133, 32, v133
	s_delay_alu instid0(VALU_DEP_1) | instskip(SKIP_1) | instid1(VALU_DEP_2)
	v_subrev_nc_u32_e32 v134, 28, v133
	v_sub_nc_u32_e32 v133, 29, v133
	v_lshlrev_b32_e32 v134, v134, v131
	v_bfe_u32 v131, v131, 3, 4
	s_delay_alu instid0(VALU_DEP_2) | instskip(NEXT) | instid1(VALU_DEP_2)
	v_and_b32_e32 v134, 7, v134
	v_cmp_eq_u32_e32 vcc_lo, 0, v131
	s_delay_alu instid0(VALU_DEP_2) | instskip(NEXT) | instid1(VALU_DEP_1)
	v_dual_cndmask_b32 v131, v131, v133 :: v_dual_cndmask_b32 v132, v132, v134
	v_lshl_add_u32 v131, v131, 23, 0x3b800000
	s_delay_alu instid0(VALU_DEP_2) | instskip(NEXT) | instid1(VALU_DEP_1)
	v_lshlrev_b32_e32 v132, 20, v132
	v_or3_b32 v131, v130, v131, v132
.LBB2_1086:                             ;   in Loop: Header=BB2_797 Depth=2
	s_or_b32 exec_lo, exec_lo, s26
	s_delay_alu instid0(VALU_DEP_1) | instskip(NEXT) | instid1(VALU_DEP_1)
	v_add_f32_e32 v130, v119, v131
	v_and_b32_e32 v119, 0x7f800000, v130
	s_delay_alu instid0(VALU_DEP_1)
	v_cmp_ne_u32_e32 vcc_lo, 0x7f800000, v119
	v_mov_b32_e32 v119, 0x8000
	s_and_saveexec_b32 s26, vcc_lo
	s_cbranch_execz .LBB2_1094
; %bb.1087:                             ;   in Loop: Header=BB2_797 Depth=2
	v_mov_b32_e32 v119, 0
	s_mov_b32 s27, exec_lo
	v_cmpx_ne_u32_e32 0, v130
	s_cbranch_execz .LBB2_1093
; %bb.1088:                             ;   in Loop: Header=BB2_797 Depth=2
	v_bfe_u32 v119, v130, 23, 8
	s_delay_alu instid0(VALU_DEP_1) | instskip(SKIP_1) | instid1(VALU_DEP_2)
	v_sub_nc_u32_e32 v132, 0x78, v119
	v_cmp_gt_u32_e32 vcc_lo, 0x79, v119
	v_dual_cndmask_b32 v132, 0, v132 :: v_dual_and_b32 v131, 0x7fffff, v130
	s_delay_alu instid0(VALU_DEP_1) | instskip(SKIP_2) | instid1(VALU_DEP_4)
	v_or_b32_e32 v133, 0x800000, v131
	v_cmp_eq_u32_e32 vcc_lo, 0, v119
	v_add_nc_u32_e32 v119, 0xffffff89, v119
	v_cndmask_b32_e64 v132, v132, 0x77, vcc_lo
	s_delay_alu instid0(VALU_DEP_4) | instskip(NEXT) | instid1(VALU_DEP_3)
	v_cndmask_b32_e32 v131, v133, v131, vcc_lo
	v_cndmask_b32_e64 v119, v119, 0xffffff8a, vcc_lo
	s_delay_alu instid0(VALU_DEP_3) | instskip(NEXT) | instid1(VALU_DEP_3)
	v_lshl_add_u32 v133, 0x100000, v132, -1
	v_lshrrev_b32_e32 v134, v132, v131
	v_lshlrev_b32_e64 v144, v132, 0x80000
	s_delay_alu instid0(VALU_DEP_4) | instskip(NEXT) | instid1(VALU_DEP_4)
	v_add_nc_u32_e32 v132, v132, v119
	v_and_b32_e32 v131, v133, v131
	s_delay_alu instid0(VALU_DEP_4) | instskip(NEXT) | instid1(VALU_DEP_2)
	v_bfe_u32 v135, v134, 20, 1
	v_cmp_eq_u32_e64 s11, v131, v144
	s_delay_alu instid0(VALU_DEP_2) | instskip(NEXT) | instid1(VALU_DEP_1)
	v_add_nc_u32_e32 v133, -1, v135
	v_cndmask_b32_e64 v131, 0, v133, s11
	v_lshrrev_b32_e32 v133, 23, v134
	s_mov_b32 s11, exec_lo
	s_delay_alu instid0(VALU_DEP_2) | instskip(NEXT) | instid1(VALU_DEP_2)
	v_add_nc_u32_e32 v131, v131, v134
	v_xor_b32_e32 v133, 1, v133
	s_delay_alu instid0(VALU_DEP_2) | instskip(NEXT) | instid1(VALU_DEP_1)
	v_and_b32_e32 v119, 0xfffff, v131
	v_add_nc_u32_e32 v131, v119, v134
                                        ; implicit-def: $vgpr119
	s_delay_alu instid0(VALU_DEP_3)
	v_cmpx_ne_u32_e64 v132, v133
	s_xor_b32 s11, exec_lo, s11
; %bb.1089:                             ;   in Loop: Header=BB2_797 Depth=2
	s_delay_alu instid0(VALU_DEP_2) | instskip(SKIP_2) | instid1(VALU_DEP_2)
	v_cmp_lt_u32_e32 vcc_lo, 0xffffff, v131
	v_sub_nc_u32_e32 v119, v132, v133
	v_cndmask_b32_e64 v132, 0, 1, vcc_lo
	v_add_co_ci_u32_e32 v119, vcc_lo, 0, v119, vcc_lo
	s_delay_alu instid0(VALU_DEP_2)
	v_lshrrev_b32_e32 v131, v132, v131
; %bb.1090:                             ;   in Loop: Header=BB2_797 Depth=2
	s_and_not1_saveexec_b32 s11, s11
; %bb.1091:                             ;   in Loop: Header=BB2_797 Depth=2
	s_delay_alu instid0(VALU_DEP_1)
	v_bfe_u32 v119, v131, 23, 1
; %bb.1092:                             ;   in Loop: Header=BB2_797 Depth=2
	s_or_b32 exec_lo, exec_lo, s11
	v_lshrrev_b32_e32 v131, 20, v131
	s_delay_alu instid0(VALU_DEP_2) | instskip(SKIP_2) | instid1(VALU_DEP_2)
	v_cmp_gt_i32_e32 vcc_lo, 16, v119
	v_min_i32_e32 v132, 15, v119
	v_lshrrev_b32_e32 v130, 24, v130
	v_dual_cndmask_b32 v131, 7, v131 :: v_dual_lshlrev_b32 v132, 3, v132
	s_delay_alu instid0(VALU_DEP_2) | instskip(NEXT) | instid1(VALU_DEP_2)
	v_and_b32_e32 v130, 0x80, v130
	v_or_b32_e32 v119, v119, v131
	v_and_b32_e32 v133, 7, v131
	s_delay_alu instid0(VALU_DEP_2) | instskip(SKIP_1) | instid1(VALU_DEP_1)
	v_cmp_ne_u32_e32 vcc_lo, 0, v119
	v_and_b32_e32 v132, 0xf8, v132
	v_or3_b32 v130, v130, v132, v133
	s_delay_alu instid0(VALU_DEP_1) | instskip(NEXT) | instid1(VALU_DEP_1)
	v_lshlrev_b32_e32 v130, 8, v130
	v_cndmask_b32_e32 v119, 0, v130, vcc_lo
.LBB2_1093:                             ;   in Loop: Header=BB2_797 Depth=2
	s_or_b32 exec_lo, exec_lo, s27
.LBB2_1094:                             ;   in Loop: Header=BB2_797 Depth=2
	s_delay_alu instid0(SALU_CYCLE_1) | instskip(SKIP_3) | instid1(VALU_DEP_1)
	s_or_b32 exec_lo, exec_lo, s26
	v_or_b32_e32 v128, v128, v117
	s_mov_b32 s11, 0
	s_mov_b32 s27, exec_lo
                                        ; implicit-def: $sgpr26
	v_and_b32_e32 v130, 0xff, v128
	s_delay_alu instid0(VALU_DEP_1)
	v_cmpx_lt_i16_e64 0x7f, v130
	s_xor_b32 s27, exec_lo, s27
	s_cbranch_execnz .LBB2_1364
; %bb.1095:                             ;   in Loop: Header=BB2_797 Depth=2
	s_or_saveexec_b32 s27, s27
	v_mov_b32_e32 v117, s26
	s_xor_b32 exec_lo, exec_lo, s27
	s_cbranch_execnz .LBB2_1367
.LBB2_1096:                             ;   in Loop: Header=BB2_797 Depth=2
	s_or_b32 exec_lo, exec_lo, s27
	v_lshl_or_b32 v128, v128, 16, v129
	s_and_saveexec_b32 s26, s11
	s_cbranch_execz .LBB2_1098
.LBB2_1097:                             ;   in Loop: Header=BB2_797 Depth=2
	s_delay_alu instid0(VALU_DEP_1) | instskip(SKIP_1) | instid1(VALU_DEP_2)
	v_bfe_u32 v117, v128, 16, 3
	v_lshrrev_b32_e32 v130, 16, v128
	v_clz_i32_u32_e32 v129, v117
	s_delay_alu instid0(VALU_DEP_1) | instskip(NEXT) | instid1(VALU_DEP_1)
	v_min_u32_e32 v129, 32, v129
	v_subrev_nc_u32_e32 v131, 28, v129
	v_sub_nc_u32_e32 v129, 29, v129
	s_delay_alu instid0(VALU_DEP_2) | instskip(SKIP_1) | instid1(VALU_DEP_1)
	v_lshlrev_b32_e32 v130, v131, v130
	v_bfe_u32 v131, v128, 19, 4
	v_cmp_eq_u32_e32 vcc_lo, 0, v131
	s_delay_alu instid0(VALU_DEP_3) | instskip(NEXT) | instid1(VALU_DEP_1)
	v_dual_cndmask_b32 v129, v131, v129 :: v_dual_and_b32 v130, 7, v130
	v_dual_cndmask_b32 v117, v117, v130 :: v_dual_lshlrev_b32 v132, 8, v128
	s_delay_alu instid0(VALU_DEP_2) | instskip(NEXT) | instid1(VALU_DEP_2)
	v_lshl_add_u32 v129, v129, 23, 0x3b800000
	v_and_b32_e32 v130, 0x80000000, v132
	s_delay_alu instid0(VALU_DEP_3) | instskip(NEXT) | instid1(VALU_DEP_1)
	v_lshlrev_b32_e32 v117, 20, v117
	v_or3_b32 v117, v130, v129, v117
.LBB2_1098:                             ;   in Loop: Header=BB2_797 Depth=2
	s_or_b32 exec_lo, exec_lo, s26
	v_lshrrev_b32_e32 v129, 16, v11
	s_mov_b32 s11, 0
	s_mov_b32 s27, exec_lo
                                        ; implicit-def: $sgpr26
	s_delay_alu instid0(VALU_DEP_1) | instskip(NEXT) | instid1(VALU_DEP_1)
	v_and_b32_e32 v131, 0xff, v129
	v_cmpx_lt_i16_e64 0x7f, v131
	s_xor_b32 s27, exec_lo, s27
	s_cbranch_execnz .LBB2_1368
; %bb.1099:                             ;   in Loop: Header=BB2_797 Depth=2
	s_or_saveexec_b32 s27, s27
	v_mov_b32_e32 v130, s26
	s_xor_b32 exec_lo, exec_lo, s27
	s_cbranch_execnz .LBB2_1371
.LBB2_1100:                             ;   in Loop: Header=BB2_797 Depth=2
	s_or_b32 exec_lo, exec_lo, s27
	s_and_saveexec_b32 s26, s11
	s_cbranch_execz .LBB2_1102
.LBB2_1101:                             ;   in Loop: Header=BB2_797 Depth=2
	v_bfe_u32 v130, v11, 16, 3
	v_lshlrev_b32_e32 v133, 8, v11
	s_delay_alu instid0(VALU_DEP_2) | instskip(NEXT) | instid1(VALU_DEP_1)
	v_clz_i32_u32_e32 v131, v130
	v_min_u32_e32 v131, 32, v131
	s_delay_alu instid0(VALU_DEP_1) | instskip(SKIP_1) | instid1(VALU_DEP_2)
	v_subrev_nc_u32_e32 v132, 28, v131
	v_sub_nc_u32_e32 v131, 29, v131
	v_lshlrev_b32_e32 v129, v132, v129
	v_bfe_u32 v132, v11, 19, 4
	s_delay_alu instid0(VALU_DEP_2) | instskip(NEXT) | instid1(VALU_DEP_2)
	v_and_b32_e32 v129, 7, v129
	v_cmp_eq_u32_e32 vcc_lo, 0, v132
	v_cndmask_b32_e32 v131, v132, v131, vcc_lo
	s_delay_alu instid0(VALU_DEP_3) | instskip(SKIP_1) | instid1(VALU_DEP_3)
	v_cndmask_b32_e32 v129, v130, v129, vcc_lo
	v_and_b32_e32 v130, 0x80000000, v133
	v_lshl_add_u32 v131, v131, 23, 0x3b800000
	s_delay_alu instid0(VALU_DEP_3) | instskip(NEXT) | instid1(VALU_DEP_1)
	v_lshlrev_b32_e32 v129, 20, v129
	v_or3_b32 v130, v130, v131, v129
.LBB2_1102:                             ;   in Loop: Header=BB2_797 Depth=2
	s_or_b32 exec_lo, exec_lo, s26
	s_delay_alu instid0(VALU_DEP_1) | instskip(NEXT) | instid1(VALU_DEP_1)
	v_add_f32_e32 v129, v117, v130
	v_and_b32_e32 v117, 0x7f800000, v129
	s_delay_alu instid0(VALU_DEP_1)
	v_cmp_ne_u32_e32 vcc_lo, 0x7f800000, v117
	v_mov_b32_e32 v117, 0x80
	s_and_saveexec_b32 s26, vcc_lo
	s_cbranch_execz .LBB2_1110
; %bb.1103:                             ;   in Loop: Header=BB2_797 Depth=2
	v_mov_b32_e32 v117, 0
	s_mov_b32 s27, exec_lo
	v_cmpx_ne_u32_e32 0, v129
	s_cbranch_execz .LBB2_1109
; %bb.1104:                             ;   in Loop: Header=BB2_797 Depth=2
	v_bfe_u32 v117, v129, 23, 8
	s_delay_alu instid0(VALU_DEP_1) | instskip(SKIP_1) | instid1(VALU_DEP_2)
	v_sub_nc_u32_e32 v131, 0x78, v117
	v_cmp_gt_u32_e32 vcc_lo, 0x79, v117
	v_dual_cndmask_b32 v131, 0, v131 :: v_dual_and_b32 v130, 0x7fffff, v129
	s_delay_alu instid0(VALU_DEP_1) | instskip(SKIP_2) | instid1(VALU_DEP_4)
	v_or_b32_e32 v132, 0x800000, v130
	v_cmp_eq_u32_e32 vcc_lo, 0, v117
	v_add_nc_u32_e32 v117, 0xffffff89, v117
	v_cndmask_b32_e64 v131, v131, 0x77, vcc_lo
	s_delay_alu instid0(VALU_DEP_4) | instskip(NEXT) | instid1(VALU_DEP_3)
	v_cndmask_b32_e32 v130, v132, v130, vcc_lo
	v_cndmask_b32_e64 v117, v117, 0xffffff8a, vcc_lo
	s_delay_alu instid0(VALU_DEP_3) | instskip(NEXT) | instid1(VALU_DEP_3)
	v_lshl_add_u32 v132, 0x100000, v131, -1
	v_lshrrev_b32_e32 v133, v131, v130
	v_lshlrev_b32_e64 v135, v131, 0x80000
	s_delay_alu instid0(VALU_DEP_4) | instskip(NEXT) | instid1(VALU_DEP_4)
	v_add_nc_u32_e32 v131, v131, v117
	v_and_b32_e32 v130, v132, v130
	s_delay_alu instid0(VALU_DEP_4) | instskip(NEXT) | instid1(VALU_DEP_2)
	v_bfe_u32 v134, v133, 20, 1
	v_cmp_eq_u32_e64 s11, v130, v135
	s_delay_alu instid0(VALU_DEP_2) | instskip(NEXT) | instid1(VALU_DEP_1)
	v_add_nc_u32_e32 v132, -1, v134
	v_cndmask_b32_e64 v130, 0, v132, s11
	v_lshrrev_b32_e32 v132, 23, v133
	s_mov_b32 s11, exec_lo
	s_delay_alu instid0(VALU_DEP_2) | instskip(NEXT) | instid1(VALU_DEP_2)
	v_add_nc_u32_e32 v130, v130, v133
	v_xor_b32_e32 v132, 1, v132
	s_delay_alu instid0(VALU_DEP_2) | instskip(NEXT) | instid1(VALU_DEP_1)
	v_and_b32_e32 v117, 0xfffff, v130
	v_add_nc_u32_e32 v130, v117, v133
                                        ; implicit-def: $vgpr117
	s_delay_alu instid0(VALU_DEP_3)
	v_cmpx_ne_u32_e64 v131, v132
	s_xor_b32 s11, exec_lo, s11
; %bb.1105:                             ;   in Loop: Header=BB2_797 Depth=2
	s_delay_alu instid0(VALU_DEP_2) | instskip(SKIP_2) | instid1(VALU_DEP_2)
	v_cmp_lt_u32_e32 vcc_lo, 0xffffff, v130
	v_sub_nc_u32_e32 v117, v131, v132
	v_cndmask_b32_e64 v131, 0, 1, vcc_lo
	v_add_co_ci_u32_e32 v117, vcc_lo, 0, v117, vcc_lo
	s_delay_alu instid0(VALU_DEP_2)
	v_lshrrev_b32_e32 v130, v131, v130
; %bb.1106:                             ;   in Loop: Header=BB2_797 Depth=2
	s_and_not1_saveexec_b32 s11, s11
; %bb.1107:                             ;   in Loop: Header=BB2_797 Depth=2
	s_delay_alu instid0(VALU_DEP_1)
	v_bfe_u32 v117, v130, 23, 1
; %bb.1108:                             ;   in Loop: Header=BB2_797 Depth=2
	s_or_b32 exec_lo, exec_lo, s11
	v_lshrrev_b32_e32 v130, 20, v130
	s_delay_alu instid0(VALU_DEP_2) | instskip(SKIP_2) | instid1(VALU_DEP_2)
	v_cmp_gt_i32_e32 vcc_lo, 16, v117
	v_min_i32_e32 v131, 15, v117
	v_lshrrev_b32_e32 v129, 24, v129
	v_dual_cndmask_b32 v130, 7, v130 :: v_dual_lshlrev_b32 v131, 3, v131
	s_delay_alu instid0(VALU_DEP_2) | instskip(NEXT) | instid1(VALU_DEP_2)
	v_and_b32_e32 v129, 0x80, v129
	v_or_b32_e32 v117, v117, v130
	s_delay_alu instid0(VALU_DEP_3) | instskip(NEXT) | instid1(VALU_DEP_2)
	v_and_b32_e32 v131, 0xf8, v131
	v_cmp_ne_u32_e32 vcc_lo, 0, v117
	v_and_b32_e32 v132, 7, v130
	s_delay_alu instid0(VALU_DEP_1) | instskip(NEXT) | instid1(VALU_DEP_1)
	v_or3_b32 v129, v131, v129, v132
	v_cndmask_b32_e32 v117, 0, v129, vcc_lo
.LBB2_1109:                             ;   in Loop: Header=BB2_797 Depth=2
	s_or_b32 exec_lo, exec_lo, s27
.LBB2_1110:                             ;   in Loop: Header=BB2_797 Depth=2
	s_delay_alu instid0(SALU_CYCLE_1) | instskip(SKIP_3) | instid1(VALU_DEP_1)
	s_or_b32 exec_lo, exec_lo, s26
	v_lshrrev_b32_e32 v130, 24, v128
	s_mov_b32 s11, 0
	s_mov_b32 s27, exec_lo
                                        ; implicit-def: $sgpr26
	v_cmpx_lt_i16_e64 0x7f, v130
	s_xor_b32 s27, exec_lo, s27
	s_cbranch_execnz .LBB2_1372
; %bb.1111:                             ;   in Loop: Header=BB2_797 Depth=2
	s_or_saveexec_b32 s27, s27
	v_mov_b32_e32 v129, s26
	s_xor_b32 exec_lo, exec_lo, s27
	s_cbranch_execnz .LBB2_1375
.LBB2_1112:                             ;   in Loop: Header=BB2_797 Depth=2
	s_or_b32 exec_lo, exec_lo, s27
	s_and_saveexec_b32 s26, s11
	s_cbranch_execz .LBB2_1114
.LBB2_1113:                             ;   in Loop: Header=BB2_797 Depth=2
	v_bfe_u32 v129, v128, 24, 3
	s_delay_alu instid0(VALU_DEP_1) | instskip(NEXT) | instid1(VALU_DEP_1)
	v_clz_i32_u32_e32 v131, v129
	v_min_u32_e32 v131, 32, v131
	s_delay_alu instid0(VALU_DEP_1) | instskip(SKIP_1) | instid1(VALU_DEP_2)
	v_subrev_nc_u32_e32 v132, 28, v131
	v_sub_nc_u32_e32 v131, 29, v131
	v_lshlrev_b32_e32 v130, v132, v130
	v_bfe_u32 v132, v128, 27, 4
	v_and_b32_e32 v128, 0x80000000, v128
	s_delay_alu instid0(VALU_DEP_2) | instskip(NEXT) | instid1(VALU_DEP_4)
	v_cmp_eq_u32_e32 vcc_lo, 0, v132
	v_dual_cndmask_b32 v131, v132, v131 :: v_dual_and_b32 v130, 7, v130
	s_delay_alu instid0(VALU_DEP_1) | instskip(NEXT) | instid1(VALU_DEP_2)
	v_cndmask_b32_e32 v129, v129, v130, vcc_lo
	v_lshl_add_u32 v130, v131, 23, 0x3b800000
	s_delay_alu instid0(VALU_DEP_2) | instskip(NEXT) | instid1(VALU_DEP_1)
	v_lshlrev_b32_e32 v129, 20, v129
	v_or3_b32 v129, v128, v130, v129
.LBB2_1114:                             ;   in Loop: Header=BB2_797 Depth=2
	s_or_b32 exec_lo, exec_lo, s26
	v_lshrrev_b32_e32 v128, 24, v11
	s_mov_b32 s11, 0
	s_mov_b32 s27, exec_lo
                                        ; implicit-def: $sgpr26
	s_delay_alu instid0(VALU_DEP_1)
	v_cmpx_lt_i16_e64 0x7f, v128
	s_xor_b32 s27, exec_lo, s27
	s_cbranch_execnz .LBB2_1376
; %bb.1115:                             ;   in Loop: Header=BB2_797 Depth=2
	s_or_saveexec_b32 s27, s27
	v_mov_b32_e32 v130, s26
	s_xor_b32 exec_lo, exec_lo, s27
	s_cbranch_execnz .LBB2_1379
.LBB2_1116:                             ;   in Loop: Header=BB2_797 Depth=2
	s_or_b32 exec_lo, exec_lo, s27
	s_and_saveexec_b32 s26, s11
	s_cbranch_execz .LBB2_1118
.LBB2_1117:                             ;   in Loop: Header=BB2_797 Depth=2
	v_bfe_u32 v130, v11, 24, 3
	s_delay_alu instid0(VALU_DEP_1) | instskip(NEXT) | instid1(VALU_DEP_1)
	v_clz_i32_u32_e32 v131, v130
	v_min_u32_e32 v131, 32, v131
	s_delay_alu instid0(VALU_DEP_1) | instskip(SKIP_1) | instid1(VALU_DEP_2)
	v_subrev_nc_u32_e32 v132, 28, v131
	v_sub_nc_u32_e32 v131, 29, v131
	v_lshlrev_b32_e32 v128, v132, v128
	v_bfe_u32 v132, v11, 27, 4
	v_and_b32_e32 v11, 0x80000000, v11
	s_delay_alu instid0(VALU_DEP_2) | instskip(NEXT) | instid1(VALU_DEP_4)
	v_cmp_eq_u32_e32 vcc_lo, 0, v132
	v_dual_cndmask_b32 v131, v132, v131 :: v_dual_and_b32 v128, 7, v128
	s_delay_alu instid0(VALU_DEP_1) | instskip(NEXT) | instid1(VALU_DEP_2)
	v_cndmask_b32_e32 v128, v130, v128, vcc_lo
	v_lshl_add_u32 v130, v131, 23, 0x3b800000
	s_delay_alu instid0(VALU_DEP_2) | instskip(NEXT) | instid1(VALU_DEP_1)
	v_lshlrev_b32_e32 v128, 20, v128
	v_or3_b32 v130, v11, v130, v128
.LBB2_1118:                             ;   in Loop: Header=BB2_797 Depth=2
	s_or_b32 exec_lo, exec_lo, s26
	s_delay_alu instid0(VALU_DEP_1) | instskip(NEXT) | instid1(VALU_DEP_1)
	v_add_f32_e32 v128, v129, v130
	v_and_b32_e32 v11, 0x7f800000, v128
	s_delay_alu instid0(VALU_DEP_1)
	v_cmp_ne_u32_e32 vcc_lo, 0x7f800000, v11
	v_mov_b32_e32 v11, 0x8000
	s_and_saveexec_b32 s26, vcc_lo
	s_cbranch_execz .LBB2_1126
; %bb.1119:                             ;   in Loop: Header=BB2_797 Depth=2
	v_mov_b32_e32 v11, 0
	s_mov_b32 s27, exec_lo
	v_cmpx_ne_u32_e32 0, v128
	s_cbranch_execz .LBB2_1125
; %bb.1120:                             ;   in Loop: Header=BB2_797 Depth=2
	v_bfe_u32 v11, v128, 23, 8
	s_delay_alu instid0(VALU_DEP_1) | instskip(SKIP_1) | instid1(VALU_DEP_2)
	v_sub_nc_u32_e32 v130, 0x78, v11
	v_cmp_gt_u32_e32 vcc_lo, 0x79, v11
	v_dual_cndmask_b32 v130, 0, v130 :: v_dual_and_b32 v129, 0x7fffff, v128
	s_delay_alu instid0(VALU_DEP_1) | instskip(SKIP_2) | instid1(VALU_DEP_4)
	v_or_b32_e32 v131, 0x800000, v129
	v_cmp_eq_u32_e32 vcc_lo, 0, v11
	v_add_nc_u32_e32 v11, 0xffffff89, v11
	v_cndmask_b32_e64 v130, v130, 0x77, vcc_lo
	s_delay_alu instid0(VALU_DEP_2) | instskip(SKIP_1) | instid1(VALU_DEP_3)
	v_cndmask_b32_e64 v11, v11, 0xffffff8a, vcc_lo
	v_cndmask_b32_e32 v129, v131, v129, vcc_lo
	v_lshl_add_u32 v131, 0x100000, v130, -1
	v_lshlrev_b32_e64 v134, v130, 0x80000
	s_delay_alu instid0(VALU_DEP_3) | instskip(SKIP_1) | instid1(VALU_DEP_4)
	v_lshrrev_b32_e32 v132, v130, v129
	v_add_nc_u32_e32 v130, v130, v11
	v_and_b32_e32 v129, v131, v129
	s_delay_alu instid0(VALU_DEP_3) | instskip(NEXT) | instid1(VALU_DEP_2)
	v_bfe_u32 v133, v132, 20, 1
	v_cmp_eq_u32_e64 s11, v129, v134
	s_delay_alu instid0(VALU_DEP_2) | instskip(NEXT) | instid1(VALU_DEP_1)
	v_add_nc_u32_e32 v131, -1, v133
	v_cndmask_b32_e64 v129, 0, v131, s11
	v_lshrrev_b32_e32 v131, 23, v132
	s_mov_b32 s11, exec_lo
	s_delay_alu instid0(VALU_DEP_2) | instskip(NEXT) | instid1(VALU_DEP_2)
	v_add_nc_u32_e32 v129, v129, v132
	v_xor_b32_e32 v131, 1, v131
	s_delay_alu instid0(VALU_DEP_2) | instskip(NEXT) | instid1(VALU_DEP_1)
	v_and_b32_e32 v11, 0xfffff, v129
	v_add_nc_u32_e32 v129, v11, v132
                                        ; implicit-def: $vgpr11
	s_delay_alu instid0(VALU_DEP_3)
	v_cmpx_ne_u32_e64 v130, v131
	s_xor_b32 s11, exec_lo, s11
; %bb.1121:                             ;   in Loop: Header=BB2_797 Depth=2
	s_delay_alu instid0(VALU_DEP_2) | instskip(SKIP_2) | instid1(VALU_DEP_2)
	v_cmp_lt_u32_e32 vcc_lo, 0xffffff, v129
	v_sub_nc_u32_e32 v11, v130, v131
	v_cndmask_b32_e64 v130, 0, 1, vcc_lo
	v_add_co_ci_u32_e32 v11, vcc_lo, 0, v11, vcc_lo
	s_delay_alu instid0(VALU_DEP_2)
	v_lshrrev_b32_e32 v129, v130, v129
; %bb.1122:                             ;   in Loop: Header=BB2_797 Depth=2
	s_and_not1_saveexec_b32 s11, s11
; %bb.1123:                             ;   in Loop: Header=BB2_797 Depth=2
	s_delay_alu instid0(VALU_DEP_1)
	v_bfe_u32 v11, v129, 23, 1
; %bb.1124:                             ;   in Loop: Header=BB2_797 Depth=2
	s_or_b32 exec_lo, exec_lo, s11
	v_lshrrev_b32_e32 v129, 20, v129
	s_delay_alu instid0(VALU_DEP_2) | instskip(SKIP_2) | instid1(VALU_DEP_2)
	v_cmp_gt_i32_e32 vcc_lo, 16, v11
	v_min_i32_e32 v130, 15, v11
	v_lshrrev_b32_e32 v128, 24, v128
	v_dual_cndmask_b32 v129, 7, v129 :: v_dual_lshlrev_b32 v130, 3, v130
	s_delay_alu instid0(VALU_DEP_2) | instskip(NEXT) | instid1(VALU_DEP_2)
	v_and_b32_e32 v128, 0x80, v128
	v_or_b32_e32 v11, v11, v129
	v_and_b32_e32 v131, 7, v129
	s_delay_alu instid0(VALU_DEP_2) | instskip(SKIP_1) | instid1(VALU_DEP_1)
	v_cmp_ne_u32_e32 vcc_lo, 0, v11
	v_and_b32_e32 v130, 0xf8, v130
	v_or3_b32 v128, v128, v130, v131
	s_delay_alu instid0(VALU_DEP_1) | instskip(NEXT) | instid1(VALU_DEP_1)
	v_lshlrev_b32_e32 v128, 8, v128
	v_cndmask_b32_e32 v11, 0, v128, vcc_lo
.LBB2_1125:                             ;   in Loop: Header=BB2_797 Depth=2
	s_or_b32 exec_lo, exec_lo, s27
.LBB2_1126:                             ;   in Loop: Header=BB2_797 Depth=2
	s_delay_alu instid0(SALU_CYCLE_1) | instskip(SKIP_3) | instid1(VALU_DEP_1)
	s_or_b32 exec_lo, exec_lo, s26
	v_and_b32_e32 v129, 0xff, v115
	s_mov_b32 s11, 0
	s_mov_b32 s27, exec_lo
                                        ; implicit-def: $sgpr26
	v_cmpx_lt_i16_e64 0x7f, v129
	s_xor_b32 s27, exec_lo, s27
	s_cbranch_execnz .LBB2_1380
; %bb.1127:                             ;   in Loop: Header=BB2_797 Depth=2
	s_or_saveexec_b32 s27, s27
	v_mov_b32_e32 v128, s26
	s_xor_b32 exec_lo, exec_lo, s27
	s_cbranch_execnz .LBB2_1383
.LBB2_1128:                             ;   in Loop: Header=BB2_797 Depth=2
	s_or_b32 exec_lo, exec_lo, s27
	s_and_saveexec_b32 s26, s11
	s_cbranch_execz .LBB2_1130
.LBB2_1129:                             ;   in Loop: Header=BB2_797 Depth=2
	v_bfe_u32 v131, v115, 3, 4
	s_delay_alu instid0(VALU_DEP_1) | instskip(SKIP_1) | instid1(VALU_DEP_1)
	v_cmp_eq_u32_e32 vcc_lo, 0, v131
	v_and_b32_e32 v128, 7, v115
	v_clz_i32_u32_e32 v129, v128
	s_delay_alu instid0(VALU_DEP_1) | instskip(NEXT) | instid1(VALU_DEP_1)
	v_min_u32_e32 v129, 32, v129
	v_subrev_nc_u32_e32 v130, 28, v129
	v_sub_nc_u32_e32 v129, 29, v129
	s_delay_alu instid0(VALU_DEP_1) | instskip(NEXT) | instid1(VALU_DEP_1)
	v_dual_cndmask_b32 v129, v131, v129 :: v_dual_lshlrev_b32 v130, v130, v115
	v_and_b32_e32 v130, 7, v130
	v_lshlrev_b32_e32 v115, 24, v115
	s_delay_alu instid0(VALU_DEP_3) | instskip(NEXT) | instid1(VALU_DEP_2)
	v_lshl_add_u32 v129, v129, 23, 0x3b800000
	v_dual_cndmask_b32 v128, v128, v130 :: v_dual_and_b32 v115, 0x80000000, v115
	s_delay_alu instid0(VALU_DEP_1) | instskip(NEXT) | instid1(VALU_DEP_1)
	v_lshlrev_b32_e32 v128, 20, v128
	v_or3_b32 v128, v115, v129, v128
.LBB2_1130:                             ;   in Loop: Header=BB2_797 Depth=2
	s_or_b32 exec_lo, exec_lo, s26
	v_and_b32_e32 v129, 0xff, v12
	s_mov_b32 s11, 0
	s_mov_b32 s27, exec_lo
                                        ; implicit-def: $sgpr26
	s_delay_alu instid0(VALU_DEP_1)
	v_cmpx_lt_i16_e64 0x7f, v129
	s_xor_b32 s27, exec_lo, s27
	s_cbranch_execnz .LBB2_1384
; %bb.1131:                             ;   in Loop: Header=BB2_797 Depth=2
	s_or_saveexec_b32 s27, s27
	v_mov_b32_e32 v115, s26
	s_xor_b32 exec_lo, exec_lo, s27
	s_cbranch_execnz .LBB2_1387
.LBB2_1132:                             ;   in Loop: Header=BB2_797 Depth=2
	s_or_b32 exec_lo, exec_lo, s27
	s_and_saveexec_b32 s26, s11
	s_cbranch_execz .LBB2_1134
.LBB2_1133:                             ;   in Loop: Header=BB2_797 Depth=2
	v_and_b32_e32 v115, 7, v12
	v_bfe_u32 v131, v12, 3, 4
	s_delay_alu instid0(VALU_DEP_2) | instskip(NEXT) | instid1(VALU_DEP_2)
	v_clz_i32_u32_e32 v129, v115
	v_cmp_eq_u32_e32 vcc_lo, 0, v131
	s_delay_alu instid0(VALU_DEP_2) | instskip(NEXT) | instid1(VALU_DEP_1)
	v_min_u32_e32 v129, 32, v129
	v_subrev_nc_u32_e32 v130, 28, v129
	v_sub_nc_u32_e32 v129, 29, v129
	s_delay_alu instid0(VALU_DEP_1) | instskip(NEXT) | instid1(VALU_DEP_1)
	v_dual_cndmask_b32 v129, v131, v129 :: v_dual_lshlrev_b32 v130, v130, v12
	v_and_b32_e32 v130, 7, v130
	v_lshlrev_b32_e32 v132, 24, v12
	s_delay_alu instid0(VALU_DEP_3) | instskip(NEXT) | instid1(VALU_DEP_2)
	v_lshl_add_u32 v129, v129, 23, 0x3b800000
	v_dual_cndmask_b32 v115, v115, v130 :: v_dual_and_b32 v130, 0x80000000, v132
	s_delay_alu instid0(VALU_DEP_1) | instskip(NEXT) | instid1(VALU_DEP_1)
	v_lshlrev_b32_e32 v115, 20, v115
	v_or3_b32 v115, v130, v129, v115
.LBB2_1134:                             ;   in Loop: Header=BB2_797 Depth=2
	s_or_b32 exec_lo, exec_lo, s26
	s_delay_alu instid0(VALU_DEP_1) | instskip(NEXT) | instid1(VALU_DEP_1)
	v_add_f32_e32 v128, v128, v115
	v_and_b32_e32 v115, 0x7f800000, v128
	s_delay_alu instid0(VALU_DEP_1)
	v_cmp_ne_u32_e32 vcc_lo, 0x7f800000, v115
	v_mov_b32_e32 v115, 0x80
	s_and_saveexec_b32 s26, vcc_lo
	s_cbranch_execz .LBB2_1142
; %bb.1135:                             ;   in Loop: Header=BB2_797 Depth=2
	v_mov_b32_e32 v115, 0
	s_mov_b32 s27, exec_lo
	v_cmpx_ne_u32_e32 0, v128
	s_cbranch_execz .LBB2_1141
; %bb.1136:                             ;   in Loop: Header=BB2_797 Depth=2
	v_bfe_u32 v115, v128, 23, 8
	s_delay_alu instid0(VALU_DEP_1) | instskip(SKIP_1) | instid1(VALU_DEP_2)
	v_sub_nc_u32_e32 v130, 0x78, v115
	v_cmp_gt_u32_e32 vcc_lo, 0x79, v115
	v_dual_cndmask_b32 v130, 0, v130 :: v_dual_and_b32 v129, 0x7fffff, v128
	s_delay_alu instid0(VALU_DEP_1) | instskip(SKIP_2) | instid1(VALU_DEP_4)
	v_or_b32_e32 v131, 0x800000, v129
	v_cmp_eq_u32_e32 vcc_lo, 0, v115
	v_add_nc_u32_e32 v115, 0xffffff89, v115
	v_cndmask_b32_e64 v130, v130, 0x77, vcc_lo
	s_delay_alu instid0(VALU_DEP_2) | instskip(SKIP_1) | instid1(VALU_DEP_3)
	v_cndmask_b32_e64 v115, v115, 0xffffff8a, vcc_lo
	v_cndmask_b32_e32 v129, v131, v129, vcc_lo
	v_lshl_add_u32 v131, 0x100000, v130, -1
	v_lshlrev_b32_e64 v134, v130, 0x80000
	s_delay_alu instid0(VALU_DEP_3) | instskip(SKIP_1) | instid1(VALU_DEP_4)
	v_lshrrev_b32_e32 v132, v130, v129
	v_add_nc_u32_e32 v130, v130, v115
	v_and_b32_e32 v129, v131, v129
	s_delay_alu instid0(VALU_DEP_3) | instskip(NEXT) | instid1(VALU_DEP_2)
	v_bfe_u32 v133, v132, 20, 1
	v_cmp_eq_u32_e64 s11, v129, v134
	s_delay_alu instid0(VALU_DEP_2) | instskip(NEXT) | instid1(VALU_DEP_1)
	v_add_nc_u32_e32 v131, -1, v133
	v_cndmask_b32_e64 v129, 0, v131, s11
	v_lshrrev_b32_e32 v131, 23, v132
	s_mov_b32 s11, exec_lo
	s_delay_alu instid0(VALU_DEP_2) | instskip(NEXT) | instid1(VALU_DEP_2)
	v_add_nc_u32_e32 v129, v129, v132
	v_xor_b32_e32 v131, 1, v131
	s_delay_alu instid0(VALU_DEP_2) | instskip(NEXT) | instid1(VALU_DEP_1)
	v_and_b32_e32 v115, 0xfffff, v129
	v_add_nc_u32_e32 v129, v115, v132
                                        ; implicit-def: $vgpr115
	s_delay_alu instid0(VALU_DEP_3)
	v_cmpx_ne_u32_e64 v130, v131
	s_xor_b32 s11, exec_lo, s11
; %bb.1137:                             ;   in Loop: Header=BB2_797 Depth=2
	s_delay_alu instid0(VALU_DEP_2) | instskip(SKIP_2) | instid1(VALU_DEP_2)
	v_cmp_lt_u32_e32 vcc_lo, 0xffffff, v129
	v_sub_nc_u32_e32 v115, v130, v131
	v_cndmask_b32_e64 v130, 0, 1, vcc_lo
	v_add_co_ci_u32_e32 v115, vcc_lo, 0, v115, vcc_lo
	s_delay_alu instid0(VALU_DEP_2)
	v_lshrrev_b32_e32 v129, v130, v129
; %bb.1138:                             ;   in Loop: Header=BB2_797 Depth=2
	s_and_not1_saveexec_b32 s11, s11
; %bb.1139:                             ;   in Loop: Header=BB2_797 Depth=2
	s_delay_alu instid0(VALU_DEP_1)
	v_bfe_u32 v115, v129, 23, 1
; %bb.1140:                             ;   in Loop: Header=BB2_797 Depth=2
	s_or_b32 exec_lo, exec_lo, s11
	v_lshrrev_b32_e32 v129, 20, v129
	s_delay_alu instid0(VALU_DEP_2) | instskip(SKIP_2) | instid1(VALU_DEP_2)
	v_cmp_gt_i32_e32 vcc_lo, 16, v115
	v_lshrrev_b32_e32 v128, 24, v128
	v_min_i32_e32 v130, 15, v115
	v_dual_cndmask_b32 v129, 7, v129 :: v_dual_and_b32 v128, 0x80, v128
	s_delay_alu instid0(VALU_DEP_1) | instskip(SKIP_1) | instid1(VALU_DEP_2)
	v_or_b32_e32 v115, v115, v129
	v_and_b32_e32 v131, 7, v129
	v_cmp_ne_u32_e32 vcc_lo, 0, v115
	v_lshlrev_b32_e32 v130, 3, v130
	s_delay_alu instid0(VALU_DEP_1) | instskip(NEXT) | instid1(VALU_DEP_1)
	v_or3_b32 v128, v130, v128, v131
	v_cndmask_b32_e32 v115, 0, v128, vcc_lo
.LBB2_1141:                             ;   in Loop: Header=BB2_797 Depth=2
	s_or_b32 exec_lo, exec_lo, s27
.LBB2_1142:                             ;   in Loop: Header=BB2_797 Depth=2
	s_delay_alu instid0(SALU_CYCLE_1) | instskip(SKIP_3) | instid1(VALU_DEP_1)
	s_or_b32 exec_lo, exec_lo, s26
	v_and_b32_e32 v129, 0xff, v113
	s_mov_b32 s11, 0
	s_mov_b32 s27, exec_lo
                                        ; implicit-def: $sgpr26
	v_cmpx_lt_i16_e64 0x7f, v129
	s_xor_b32 s27, exec_lo, s27
	s_cbranch_execnz .LBB2_1388
; %bb.1143:                             ;   in Loop: Header=BB2_797 Depth=2
	s_or_saveexec_b32 s27, s27
	v_mov_b32_e32 v128, s26
	s_xor_b32 exec_lo, exec_lo, s27
	s_cbranch_execnz .LBB2_1391
.LBB2_1144:                             ;   in Loop: Header=BB2_797 Depth=2
	s_or_b32 exec_lo, exec_lo, s27
	s_and_saveexec_b32 s26, s11
	s_cbranch_execz .LBB2_1146
.LBB2_1145:                             ;   in Loop: Header=BB2_797 Depth=2
	v_and_b32_e32 v128, 7, v113
	v_bfe_u32 v131, v113, 3, 4
	s_delay_alu instid0(VALU_DEP_2) | instskip(NEXT) | instid1(VALU_DEP_2)
	v_clz_i32_u32_e32 v129, v128
	v_cmp_eq_u32_e32 vcc_lo, 0, v131
	s_delay_alu instid0(VALU_DEP_2) | instskip(NEXT) | instid1(VALU_DEP_1)
	v_min_u32_e32 v129, 32, v129
	v_subrev_nc_u32_e32 v130, 28, v129
	v_sub_nc_u32_e32 v129, 29, v129
	s_delay_alu instid0(VALU_DEP_2) | instskip(NEXT) | instid1(VALU_DEP_1)
	v_lshlrev_b32_e32 v130, v130, v113
	v_dual_cndmask_b32 v129, v131, v129 :: v_dual_and_b32 v130, 7, v130
	v_lshlrev_b32_e32 v113, 24, v113
	s_delay_alu instid0(VALU_DEP_2) | instskip(NEXT) | instid1(VALU_DEP_2)
	v_lshl_add_u32 v129, v129, 23, 0x3b800000
	v_dual_cndmask_b32 v128, v128, v130 :: v_dual_and_b32 v113, 0x80000000, v113
	s_delay_alu instid0(VALU_DEP_1) | instskip(NEXT) | instid1(VALU_DEP_1)
	v_lshlrev_b32_e32 v128, 20, v128
	v_or3_b32 v128, v113, v129, v128
.LBB2_1146:                             ;   in Loop: Header=BB2_797 Depth=2
	s_or_b32 exec_lo, exec_lo, s26
	v_lshrrev_b16 v113, 8, v12
	s_mov_b32 s11, 0
	s_mov_b32 s27, exec_lo
                                        ; implicit-def: $sgpr26
	s_delay_alu instid0(VALU_DEP_1)
	v_cmpx_lt_i16_e32 0x7f, v113
	s_xor_b32 s27, exec_lo, s27
	s_cbranch_execnz .LBB2_1392
; %bb.1147:                             ;   in Loop: Header=BB2_797 Depth=2
	s_or_saveexec_b32 s27, s27
	v_mov_b32_e32 v129, s26
	s_xor_b32 exec_lo, exec_lo, s27
	s_cbranch_execnz .LBB2_1395
.LBB2_1148:                             ;   in Loop: Header=BB2_797 Depth=2
	s_or_b32 exec_lo, exec_lo, s27
	s_and_saveexec_b32 s26, s11
	s_cbranch_execz .LBB2_1150
.LBB2_1149:                             ;   in Loop: Header=BB2_797 Depth=2
	v_and_b32_e32 v129, 0xffff, v113
	v_lshlrev_b32_e32 v113, 24, v113
	s_delay_alu instid0(VALU_DEP_2) | instskip(NEXT) | instid1(VALU_DEP_2)
	v_and_b32_e32 v130, 7, v129
	v_and_b32_e32 v113, 0x80000000, v113
	s_delay_alu instid0(VALU_DEP_2) | instskip(NEXT) | instid1(VALU_DEP_1)
	v_clz_i32_u32_e32 v131, v130
	v_min_u32_e32 v131, 32, v131
	s_delay_alu instid0(VALU_DEP_1) | instskip(SKIP_1) | instid1(VALU_DEP_2)
	v_subrev_nc_u32_e32 v132, 28, v131
	v_sub_nc_u32_e32 v131, 29, v131
	v_lshlrev_b32_e32 v132, v132, v129
	v_bfe_u32 v129, v129, 3, 4
	s_delay_alu instid0(VALU_DEP_2) | instskip(NEXT) | instid1(VALU_DEP_2)
	v_and_b32_e32 v132, 7, v132
	v_cmp_eq_u32_e32 vcc_lo, 0, v129
	s_delay_alu instid0(VALU_DEP_2) | instskip(NEXT) | instid1(VALU_DEP_1)
	v_dual_cndmask_b32 v129, v129, v131 :: v_dual_cndmask_b32 v130, v130, v132
	v_lshl_add_u32 v129, v129, 23, 0x3b800000
	s_delay_alu instid0(VALU_DEP_2) | instskip(NEXT) | instid1(VALU_DEP_1)
	v_lshlrev_b32_e32 v130, 20, v130
	v_or3_b32 v129, v113, v129, v130
.LBB2_1150:                             ;   in Loop: Header=BB2_797 Depth=2
	s_or_b32 exec_lo, exec_lo, s26
	s_delay_alu instid0(VALU_DEP_1) | instskip(NEXT) | instid1(VALU_DEP_1)
	v_add_f32_e32 v128, v128, v129
	v_and_b32_e32 v113, 0x7f800000, v128
	s_delay_alu instid0(VALU_DEP_1)
	v_cmp_ne_u32_e32 vcc_lo, 0x7f800000, v113
	v_mov_b32_e32 v113, 0x80
	s_and_saveexec_b32 s26, vcc_lo
	s_cbranch_execz .LBB2_1158
; %bb.1151:                             ;   in Loop: Header=BB2_797 Depth=2
	v_mov_b32_e32 v113, 0
	s_mov_b32 s27, exec_lo
	v_cmpx_ne_u32_e32 0, v128
	s_cbranch_execz .LBB2_1157
; %bb.1152:                             ;   in Loop: Header=BB2_797 Depth=2
	v_bfe_u32 v113, v128, 23, 8
	s_delay_alu instid0(VALU_DEP_1) | instskip(SKIP_1) | instid1(VALU_DEP_2)
	v_sub_nc_u32_e32 v130, 0x78, v113
	v_cmp_gt_u32_e32 vcc_lo, 0x79, v113
	v_dual_cndmask_b32 v130, 0, v130 :: v_dual_and_b32 v129, 0x7fffff, v128
	s_delay_alu instid0(VALU_DEP_1) | instskip(SKIP_2) | instid1(VALU_DEP_4)
	v_or_b32_e32 v131, 0x800000, v129
	v_cmp_eq_u32_e32 vcc_lo, 0, v113
	v_add_nc_u32_e32 v113, 0xffffff89, v113
	v_cndmask_b32_e64 v130, v130, 0x77, vcc_lo
	s_delay_alu instid0(VALU_DEP_4) | instskip(NEXT) | instid1(VALU_DEP_3)
	v_cndmask_b32_e32 v129, v131, v129, vcc_lo
	v_cndmask_b32_e64 v113, v113, 0xffffff8a, vcc_lo
	s_delay_alu instid0(VALU_DEP_3) | instskip(NEXT) | instid1(VALU_DEP_3)
	v_lshl_add_u32 v131, 0x100000, v130, -1
	v_lshrrev_b32_e32 v132, v130, v129
	v_lshlrev_b32_e64 v134, v130, 0x80000
	s_delay_alu instid0(VALU_DEP_4) | instskip(NEXT) | instid1(VALU_DEP_4)
	v_add_nc_u32_e32 v130, v130, v113
	v_and_b32_e32 v129, v131, v129
	s_delay_alu instid0(VALU_DEP_4) | instskip(NEXT) | instid1(VALU_DEP_2)
	v_bfe_u32 v133, v132, 20, 1
	v_cmp_eq_u32_e64 s11, v129, v134
	s_delay_alu instid0(VALU_DEP_2) | instskip(NEXT) | instid1(VALU_DEP_1)
	v_add_nc_u32_e32 v131, -1, v133
	v_cndmask_b32_e64 v129, 0, v131, s11
	v_lshrrev_b32_e32 v131, 23, v132
	s_mov_b32 s11, exec_lo
	s_delay_alu instid0(VALU_DEP_2) | instskip(NEXT) | instid1(VALU_DEP_2)
	v_add_nc_u32_e32 v129, v129, v132
	v_xor_b32_e32 v131, 1, v131
	s_delay_alu instid0(VALU_DEP_2) | instskip(NEXT) | instid1(VALU_DEP_1)
	v_and_b32_e32 v113, 0xfffff, v129
	v_add_nc_u32_e32 v129, v113, v132
                                        ; implicit-def: $vgpr113
	s_delay_alu instid0(VALU_DEP_3)
	v_cmpx_ne_u32_e64 v130, v131
	s_xor_b32 s11, exec_lo, s11
; %bb.1153:                             ;   in Loop: Header=BB2_797 Depth=2
	s_delay_alu instid0(VALU_DEP_2) | instskip(SKIP_2) | instid1(VALU_DEP_2)
	v_cmp_lt_u32_e32 vcc_lo, 0xffffff, v129
	v_sub_nc_u32_e32 v113, v130, v131
	v_cndmask_b32_e64 v130, 0, 1, vcc_lo
	v_add_co_ci_u32_e32 v113, vcc_lo, 0, v113, vcc_lo
	s_delay_alu instid0(VALU_DEP_2)
	v_lshrrev_b32_e32 v129, v130, v129
; %bb.1154:                             ;   in Loop: Header=BB2_797 Depth=2
	s_and_not1_saveexec_b32 s11, s11
; %bb.1155:                             ;   in Loop: Header=BB2_797 Depth=2
	s_delay_alu instid0(VALU_DEP_1)
	v_bfe_u32 v113, v129, 23, 1
; %bb.1156:                             ;   in Loop: Header=BB2_797 Depth=2
	s_or_b32 exec_lo, exec_lo, s11
	v_lshrrev_b32_e32 v129, 20, v129
	s_delay_alu instid0(VALU_DEP_2) | instskip(SKIP_2) | instid1(VALU_DEP_2)
	v_cmp_gt_i32_e32 vcc_lo, 16, v113
	v_lshrrev_b32_e32 v128, 24, v128
	v_min_i32_e32 v130, 15, v113
	v_dual_cndmask_b32 v129, 7, v129 :: v_dual_and_b32 v128, 0x80, v128
	s_delay_alu instid0(VALU_DEP_1) | instskip(SKIP_1) | instid1(VALU_DEP_2)
	v_or_b32_e32 v113, v113, v129
	v_and_b32_e32 v131, 7, v129
	v_cmp_ne_u32_e32 vcc_lo, 0, v113
	v_lshlrev_b32_e32 v130, 3, v130
	s_delay_alu instid0(VALU_DEP_1) | instskip(NEXT) | instid1(VALU_DEP_1)
	v_or3_b32 v128, v130, v128, v131
	v_cndmask_b32_e32 v113, 0, v128, vcc_lo
.LBB2_1157:                             ;   in Loop: Header=BB2_797 Depth=2
	s_or_b32 exec_lo, exec_lo, s27
.LBB2_1158:                             ;   in Loop: Header=BB2_797 Depth=2
	s_delay_alu instid0(SALU_CYCLE_1) | instskip(SKIP_3) | instid1(VALU_DEP_1)
	s_or_b32 exec_lo, exec_lo, s26
	v_and_b32_e32 v129, 0xff, v112
	s_mov_b32 s11, 0
	s_mov_b32 s27, exec_lo
                                        ; implicit-def: $sgpr26
	v_cmpx_lt_i16_e64 0x7f, v129
	s_xor_b32 s27, exec_lo, s27
	s_cbranch_execnz .LBB2_1396
; %bb.1159:                             ;   in Loop: Header=BB2_797 Depth=2
	s_or_saveexec_b32 s27, s27
	v_mov_b32_e32 v128, s26
	s_xor_b32 exec_lo, exec_lo, s27
	s_cbranch_execnz .LBB2_1399
.LBB2_1160:                             ;   in Loop: Header=BB2_797 Depth=2
	s_or_b32 exec_lo, exec_lo, s27
	s_and_saveexec_b32 s26, s11
	s_cbranch_execz .LBB2_1162
.LBB2_1161:                             ;   in Loop: Header=BB2_797 Depth=2
	v_bfe_u32 v131, v112, 3, 4
	s_delay_alu instid0(VALU_DEP_1) | instskip(SKIP_1) | instid1(VALU_DEP_1)
	v_cmp_eq_u32_e32 vcc_lo, 0, v131
	v_and_b32_e32 v128, 7, v112
	v_clz_i32_u32_e32 v129, v128
	s_delay_alu instid0(VALU_DEP_1) | instskip(NEXT) | instid1(VALU_DEP_1)
	v_min_u32_e32 v129, 32, v129
	v_subrev_nc_u32_e32 v130, 28, v129
	v_sub_nc_u32_e32 v129, 29, v129
	s_delay_alu instid0(VALU_DEP_1) | instskip(SKIP_1) | instid1(VALU_DEP_2)
	v_dual_cndmask_b32 v129, v131, v129 :: v_dual_lshlrev_b32 v130, v130, v112
	v_lshlrev_b32_e32 v112, 24, v112
	v_and_b32_e32 v130, 7, v130
	s_delay_alu instid0(VALU_DEP_3) | instskip(NEXT) | instid1(VALU_DEP_3)
	v_lshl_add_u32 v129, v129, 23, 0x3b800000
	v_and_b32_e32 v112, 0x80000000, v112
	s_delay_alu instid0(VALU_DEP_3) | instskip(NEXT) | instid1(VALU_DEP_1)
	v_cndmask_b32_e32 v128, v128, v130, vcc_lo
	v_lshlrev_b32_e32 v128, 20, v128
	s_delay_alu instid0(VALU_DEP_1)
	v_or3_b32 v128, v112, v129, v128
.LBB2_1162:                             ;   in Loop: Header=BB2_797 Depth=2
	s_or_b32 exec_lo, exec_lo, s26
	v_lshrrev_b32_e32 v112, 16, v12
	s_mov_b32 s11, 0
	s_mov_b32 s27, exec_lo
                                        ; implicit-def: $sgpr26
	s_delay_alu instid0(VALU_DEP_1) | instskip(NEXT) | instid1(VALU_DEP_1)
	v_and_b32_e32 v130, 0xff, v112
	v_cmpx_lt_i16_e64 0x7f, v130
	s_xor_b32 s27, exec_lo, s27
	s_cbranch_execnz .LBB2_1400
; %bb.1163:                             ;   in Loop: Header=BB2_797 Depth=2
	s_or_saveexec_b32 s27, s27
	v_mov_b32_e32 v129, s26
	s_xor_b32 exec_lo, exec_lo, s27
	s_cbranch_execnz .LBB2_1403
.LBB2_1164:                             ;   in Loop: Header=BB2_797 Depth=2
	s_or_b32 exec_lo, exec_lo, s27
	s_and_saveexec_b32 s26, s11
	s_cbranch_execz .LBB2_1166
.LBB2_1165:                             ;   in Loop: Header=BB2_797 Depth=2
	v_bfe_u32 v129, v12, 16, 3
	v_lshlrev_b32_e32 v132, 8, v12
	s_delay_alu instid0(VALU_DEP_2) | instskip(NEXT) | instid1(VALU_DEP_1)
	v_clz_i32_u32_e32 v130, v129
	v_min_u32_e32 v130, 32, v130
	s_delay_alu instid0(VALU_DEP_1) | instskip(SKIP_1) | instid1(VALU_DEP_2)
	v_subrev_nc_u32_e32 v131, 28, v130
	v_sub_nc_u32_e32 v130, 29, v130
	v_lshlrev_b32_e32 v112, v131, v112
	v_bfe_u32 v131, v12, 19, 4
	s_delay_alu instid0(VALU_DEP_2) | instskip(NEXT) | instid1(VALU_DEP_2)
	v_and_b32_e32 v112, 7, v112
	v_cmp_eq_u32_e32 vcc_lo, 0, v131
	v_cndmask_b32_e32 v130, v131, v130, vcc_lo
	s_delay_alu instid0(VALU_DEP_3) | instskip(SKIP_1) | instid1(VALU_DEP_3)
	v_cndmask_b32_e32 v112, v129, v112, vcc_lo
	v_and_b32_e32 v129, 0x80000000, v132
	v_lshl_add_u32 v130, v130, 23, 0x3b800000
	s_delay_alu instid0(VALU_DEP_3) | instskip(NEXT) | instid1(VALU_DEP_1)
	v_lshlrev_b32_e32 v112, 20, v112
	v_or3_b32 v129, v129, v130, v112
.LBB2_1166:                             ;   in Loop: Header=BB2_797 Depth=2
	s_or_b32 exec_lo, exec_lo, s26
	s_delay_alu instid0(VALU_DEP_1) | instskip(NEXT) | instid1(VALU_DEP_1)
	v_add_f32_e32 v128, v128, v129
	v_and_b32_e32 v112, 0x7f800000, v128
	s_delay_alu instid0(VALU_DEP_1)
	v_cmp_ne_u32_e32 vcc_lo, 0x7f800000, v112
	v_mov_b32_e32 v112, 0x80
	s_and_saveexec_b32 s26, vcc_lo
	s_cbranch_execz .LBB2_1174
; %bb.1167:                             ;   in Loop: Header=BB2_797 Depth=2
	v_mov_b32_e32 v112, 0
	s_mov_b32 s27, exec_lo
	v_cmpx_ne_u32_e32 0, v128
	s_cbranch_execz .LBB2_1173
; %bb.1168:                             ;   in Loop: Header=BB2_797 Depth=2
	v_bfe_u32 v112, v128, 23, 8
	s_delay_alu instid0(VALU_DEP_1) | instskip(SKIP_1) | instid1(VALU_DEP_2)
	v_sub_nc_u32_e32 v130, 0x78, v112
	v_cmp_gt_u32_e32 vcc_lo, 0x79, v112
	v_dual_cndmask_b32 v130, 0, v130 :: v_dual_and_b32 v129, 0x7fffff, v128
	s_delay_alu instid0(VALU_DEP_1) | instskip(SKIP_2) | instid1(VALU_DEP_4)
	v_or_b32_e32 v131, 0x800000, v129
	v_cmp_eq_u32_e32 vcc_lo, 0, v112
	v_add_nc_u32_e32 v112, 0xffffff89, v112
	v_cndmask_b32_e64 v130, v130, 0x77, vcc_lo
	s_delay_alu instid0(VALU_DEP_4) | instskip(NEXT) | instid1(VALU_DEP_3)
	v_cndmask_b32_e32 v129, v131, v129, vcc_lo
	v_cndmask_b32_e64 v112, v112, 0xffffff8a, vcc_lo
	s_delay_alu instid0(VALU_DEP_3) | instskip(NEXT) | instid1(VALU_DEP_3)
	v_lshl_add_u32 v131, 0x100000, v130, -1
	v_lshrrev_b32_e32 v132, v130, v129
	v_lshlrev_b32_e64 v134, v130, 0x80000
	s_delay_alu instid0(VALU_DEP_4) | instskip(NEXT) | instid1(VALU_DEP_4)
	v_add_nc_u32_e32 v130, v130, v112
	v_and_b32_e32 v129, v131, v129
	s_delay_alu instid0(VALU_DEP_4) | instskip(NEXT) | instid1(VALU_DEP_2)
	v_bfe_u32 v133, v132, 20, 1
	v_cmp_eq_u32_e64 s11, v129, v134
	s_delay_alu instid0(VALU_DEP_2) | instskip(NEXT) | instid1(VALU_DEP_1)
	v_add_nc_u32_e32 v131, -1, v133
	v_cndmask_b32_e64 v129, 0, v131, s11
	v_lshrrev_b32_e32 v131, 23, v132
	s_mov_b32 s11, exec_lo
	s_delay_alu instid0(VALU_DEP_2) | instskip(NEXT) | instid1(VALU_DEP_2)
	v_add_nc_u32_e32 v129, v129, v132
	v_xor_b32_e32 v131, 1, v131
	s_delay_alu instid0(VALU_DEP_2) | instskip(NEXT) | instid1(VALU_DEP_1)
	v_and_b32_e32 v112, 0xfffff, v129
	v_add_nc_u32_e32 v129, v112, v132
                                        ; implicit-def: $vgpr112
	s_delay_alu instid0(VALU_DEP_3)
	v_cmpx_ne_u32_e64 v130, v131
	s_xor_b32 s11, exec_lo, s11
; %bb.1169:                             ;   in Loop: Header=BB2_797 Depth=2
	s_delay_alu instid0(VALU_DEP_2) | instskip(SKIP_2) | instid1(VALU_DEP_2)
	v_cmp_lt_u32_e32 vcc_lo, 0xffffff, v129
	v_sub_nc_u32_e32 v112, v130, v131
	v_cndmask_b32_e64 v130, 0, 1, vcc_lo
	v_add_co_ci_u32_e32 v112, vcc_lo, 0, v112, vcc_lo
	s_delay_alu instid0(VALU_DEP_2)
	v_lshrrev_b32_e32 v129, v130, v129
; %bb.1170:                             ;   in Loop: Header=BB2_797 Depth=2
	s_and_not1_saveexec_b32 s11, s11
; %bb.1171:                             ;   in Loop: Header=BB2_797 Depth=2
	s_delay_alu instid0(VALU_DEP_1)
	v_bfe_u32 v112, v129, 23, 1
; %bb.1172:                             ;   in Loop: Header=BB2_797 Depth=2
	s_or_b32 exec_lo, exec_lo, s11
	v_lshrrev_b32_e32 v129, 20, v129
	s_delay_alu instid0(VALU_DEP_2) | instskip(SKIP_2) | instid1(VALU_DEP_2)
	v_cmp_gt_i32_e32 vcc_lo, 16, v112
	v_lshrrev_b32_e32 v128, 24, v128
	v_min_i32_e32 v130, 15, v112
	v_dual_cndmask_b32 v129, 7, v129 :: v_dual_and_b32 v128, 0x80, v128
	s_delay_alu instid0(VALU_DEP_2) | instskip(NEXT) | instid1(VALU_DEP_2)
	v_lshlrev_b32_e32 v130, 3, v130
	v_or_b32_e32 v112, v112, v129
	s_delay_alu instid0(VALU_DEP_1) | instskip(SKIP_1) | instid1(VALU_DEP_1)
	v_cmp_ne_u32_e32 vcc_lo, 0, v112
	v_and_b32_e32 v131, 7, v129
	v_or3_b32 v128, v130, v128, v131
	s_delay_alu instid0(VALU_DEP_1)
	v_cndmask_b32_e32 v112, 0, v128, vcc_lo
.LBB2_1173:                             ;   in Loop: Header=BB2_797 Depth=2
	s_or_b32 exec_lo, exec_lo, s27
.LBB2_1174:                             ;   in Loop: Header=BB2_797 Depth=2
	s_delay_alu instid0(SALU_CYCLE_1) | instskip(SKIP_3) | instid1(VALU_DEP_1)
	s_or_b32 exec_lo, exec_lo, s26
	v_and_b32_e32 v129, 0xff, v101
	s_mov_b32 s11, 0
	s_mov_b32 s27, exec_lo
                                        ; implicit-def: $sgpr26
	v_cmpx_lt_i16_e64 0x7f, v129
	s_xor_b32 s27, exec_lo, s27
	s_cbranch_execnz .LBB2_1404
; %bb.1175:                             ;   in Loop: Header=BB2_797 Depth=2
	s_or_saveexec_b32 s27, s27
	v_mov_b32_e32 v128, s26
	s_xor_b32 exec_lo, exec_lo, s27
	s_cbranch_execnz .LBB2_1407
.LBB2_1176:                             ;   in Loop: Header=BB2_797 Depth=2
	s_or_b32 exec_lo, exec_lo, s27
	s_and_saveexec_b32 s26, s11
	s_cbranch_execz .LBB2_1178
.LBB2_1177:                             ;   in Loop: Header=BB2_797 Depth=2
	v_lshlrev_b32_e32 v101, 8, v101
	s_delay_alu instid0(VALU_DEP_1) | instskip(SKIP_1) | instid1(VALU_DEP_2)
	v_and_b32_e32 v128, 0xff00, v101
	v_bfe_u32 v101, v101, 11, 4
	v_bfe_u32 v130, v128, 8, 3
	s_delay_alu instid0(VALU_DEP_2) | instskip(NEXT) | instid1(VALU_DEP_2)
	v_cmp_eq_u32_e32 vcc_lo, 0, v101
	v_clz_i32_u32_e32 v131, v130
	s_delay_alu instid0(VALU_DEP_1) | instskip(NEXT) | instid1(VALU_DEP_1)
	v_min_u32_e32 v131, 32, v131
	v_subrev_nc_u32_e32 v132, 28, v131
	v_sub_nc_u32_e32 v131, 29, v131
	s_delay_alu instid0(VALU_DEP_2) | instskip(NEXT) | instid1(VALU_DEP_2)
	v_lshlrev_b32_e32 v129, v132, v129
	v_cndmask_b32_e32 v101, v101, v131, vcc_lo
	s_delay_alu instid0(VALU_DEP_2) | instskip(SKIP_1) | instid1(VALU_DEP_3)
	v_and_b32_e32 v129, 7, v129
	v_lshlrev_b32_e32 v128, 16, v128
	v_lshl_add_u32 v101, v101, 23, 0x3b800000
	s_delay_alu instid0(VALU_DEP_2) | instskip(NEXT) | instid1(VALU_DEP_1)
	v_dual_cndmask_b32 v129, v130, v129 :: v_dual_and_b32 v128, 0x80000000, v128
	v_lshlrev_b32_e32 v129, 20, v129
	s_delay_alu instid0(VALU_DEP_1)
	v_or3_b32 v128, v128, v101, v129
.LBB2_1178:                             ;   in Loop: Header=BB2_797 Depth=2
	s_or_b32 exec_lo, exec_lo, s26
	v_lshrrev_b32_e32 v101, 24, v12
	s_mov_b32 s11, 0
	s_mov_b32 s27, exec_lo
                                        ; implicit-def: $sgpr26
	s_delay_alu instid0(VALU_DEP_1)
	v_cmpx_lt_i16_e32 0x7f, v101
	s_xor_b32 s27, exec_lo, s27
	s_cbranch_execnz .LBB2_1408
; %bb.1179:                             ;   in Loop: Header=BB2_797 Depth=2
	s_or_saveexec_b32 s27, s27
	v_mov_b32_e32 v129, s26
	s_xor_b32 exec_lo, exec_lo, s27
	s_cbranch_execnz .LBB2_1411
.LBB2_1180:                             ;   in Loop: Header=BB2_797 Depth=2
	s_or_b32 exec_lo, exec_lo, s27
	s_and_saveexec_b32 s26, s11
	s_cbranch_execz .LBB2_1182
.LBB2_1181:                             ;   in Loop: Header=BB2_797 Depth=2
	v_bfe_u32 v129, v12, 24, 3
	s_delay_alu instid0(VALU_DEP_1) | instskip(NEXT) | instid1(VALU_DEP_1)
	v_clz_i32_u32_e32 v130, v129
	v_min_u32_e32 v130, 32, v130
	s_delay_alu instid0(VALU_DEP_1) | instskip(SKIP_1) | instid1(VALU_DEP_2)
	v_subrev_nc_u32_e32 v131, 28, v130
	v_sub_nc_u32_e32 v130, 29, v130
	v_lshlrev_b32_e32 v101, v131, v101
	v_bfe_u32 v131, v12, 27, 4
	v_and_b32_e32 v12, 0x80000000, v12
	s_delay_alu instid0(VALU_DEP_2) | instskip(NEXT) | instid1(VALU_DEP_4)
	v_cmp_eq_u32_e32 vcc_lo, 0, v131
	v_dual_cndmask_b32 v130, v131, v130 :: v_dual_and_b32 v101, 7, v101
	s_delay_alu instid0(VALU_DEP_1) | instskip(NEXT) | instid1(VALU_DEP_2)
	v_cndmask_b32_e32 v101, v129, v101, vcc_lo
	v_lshl_add_u32 v129, v130, 23, 0x3b800000
	s_delay_alu instid0(VALU_DEP_2) | instskip(NEXT) | instid1(VALU_DEP_1)
	v_lshlrev_b32_e32 v101, 20, v101
	v_or3_b32 v129, v12, v129, v101
.LBB2_1182:                             ;   in Loop: Header=BB2_797 Depth=2
	s_or_b32 exec_lo, exec_lo, s26
	s_delay_alu instid0(VALU_DEP_1) | instskip(NEXT) | instid1(VALU_DEP_1)
	v_add_f32_e32 v101, v128, v129
	v_and_b32_e32 v12, 0x7f800000, v101
	s_delay_alu instid0(VALU_DEP_1)
	v_cmp_ne_u32_e32 vcc_lo, 0x7f800000, v12
	v_mov_b32_e32 v12, 0x80
	s_and_saveexec_b32 s26, vcc_lo
	s_cbranch_execz .LBB2_1190
; %bb.1183:                             ;   in Loop: Header=BB2_797 Depth=2
	v_mov_b32_e32 v12, 0
	s_mov_b32 s27, exec_lo
	v_cmpx_ne_u32_e32 0, v101
	s_cbranch_execz .LBB2_1189
; %bb.1184:                             ;   in Loop: Header=BB2_797 Depth=2
	v_bfe_u32 v12, v101, 23, 8
	v_and_b32_e32 v128, 0x7fffff, v101
	s_delay_alu instid0(VALU_DEP_2) | instskip(SKIP_1) | instid1(VALU_DEP_3)
	v_sub_nc_u32_e32 v129, 0x78, v12
	v_cmp_gt_u32_e32 vcc_lo, 0x79, v12
	v_or_b32_e32 v130, 0x800000, v128
	s_delay_alu instid0(VALU_DEP_3) | instskip(SKIP_2) | instid1(VALU_DEP_4)
	v_cndmask_b32_e32 v129, 0, v129, vcc_lo
	v_cmp_eq_u32_e32 vcc_lo, 0, v12
	v_add_nc_u32_e32 v12, 0xffffff89, v12
	v_cndmask_b32_e32 v128, v130, v128, vcc_lo
	s_delay_alu instid0(VALU_DEP_4) | instskip(NEXT) | instid1(VALU_DEP_3)
	v_cndmask_b32_e64 v129, v129, 0x77, vcc_lo
	v_cndmask_b32_e64 v12, v12, 0xffffff8a, vcc_lo
	s_delay_alu instid0(VALU_DEP_2) | instskip(SKIP_2) | instid1(VALU_DEP_4)
	v_lshrrev_b32_e32 v131, v129, v128
	v_lshl_add_u32 v130, 0x100000, v129, -1
	v_lshlrev_b32_e64 v133, v129, 0x80000
	v_add_nc_u32_e32 v129, v129, v12
	s_delay_alu instid0(VALU_DEP_4) | instskip(NEXT) | instid1(VALU_DEP_4)
	v_bfe_u32 v132, v131, 20, 1
	v_and_b32_e32 v128, v130, v128
	s_delay_alu instid0(VALU_DEP_2) | instskip(NEXT) | instid1(VALU_DEP_2)
	v_add_nc_u32_e32 v130, -1, v132
	v_cmp_eq_u32_e64 s11, v128, v133
	s_delay_alu instid0(VALU_DEP_1) | instskip(SKIP_2) | instid1(VALU_DEP_2)
	v_cndmask_b32_e64 v128, 0, v130, s11
	v_lshrrev_b32_e32 v130, 23, v131
	s_mov_b32 s11, exec_lo
	v_add_nc_u32_e32 v128, v128, v131
	s_delay_alu instid0(VALU_DEP_2) | instskip(NEXT) | instid1(VALU_DEP_2)
	v_xor_b32_e32 v130, 1, v130
	v_and_b32_e32 v12, 0xfffff, v128
	s_delay_alu instid0(VALU_DEP_1) | instskip(NEXT) | instid1(VALU_DEP_3)
	v_add_nc_u32_e32 v128, v12, v131
                                        ; implicit-def: $vgpr12
	v_cmpx_ne_u32_e64 v129, v130
	s_xor_b32 s11, exec_lo, s11
; %bb.1185:                             ;   in Loop: Header=BB2_797 Depth=2
	s_delay_alu instid0(VALU_DEP_2) | instskip(SKIP_2) | instid1(VALU_DEP_2)
	v_cmp_lt_u32_e32 vcc_lo, 0xffffff, v128
	v_sub_nc_u32_e32 v12, v129, v130
	v_cndmask_b32_e64 v129, 0, 1, vcc_lo
	v_add_co_ci_u32_e32 v12, vcc_lo, 0, v12, vcc_lo
	s_delay_alu instid0(VALU_DEP_2)
	v_lshrrev_b32_e32 v128, v129, v128
; %bb.1186:                             ;   in Loop: Header=BB2_797 Depth=2
	s_and_not1_saveexec_b32 s11, s11
; %bb.1187:                             ;   in Loop: Header=BB2_797 Depth=2
	s_delay_alu instid0(VALU_DEP_1)
	v_bfe_u32 v12, v128, 23, 1
; %bb.1188:                             ;   in Loop: Header=BB2_797 Depth=2
	s_or_b32 exec_lo, exec_lo, s11
	v_lshrrev_b32_e32 v128, 20, v128
	s_delay_alu instid0(VALU_DEP_2) | instskip(SKIP_2) | instid1(VALU_DEP_2)
	v_cmp_gt_i32_e32 vcc_lo, 16, v12
	v_lshrrev_b32_e32 v101, 24, v101
	v_min_i32_e32 v129, 15, v12
	v_dual_cndmask_b32 v128, 7, v128 :: v_dual_and_b32 v101, 0x80, v101
	s_delay_alu instid0(VALU_DEP_2) | instskip(NEXT) | instid1(VALU_DEP_2)
	v_lshlrev_b32_e32 v129, 3, v129
	v_and_b32_e32 v130, 7, v128
	v_or_b32_e32 v12, v12, v128
	s_delay_alu instid0(VALU_DEP_2) | instskip(NEXT) | instid1(VALU_DEP_2)
	v_or3_b32 v101, v129, v101, v130
	v_cmp_ne_u32_e32 vcc_lo, 0, v12
	s_delay_alu instid0(VALU_DEP_2)
	v_cndmask_b32_e32 v12, 0, v101, vcc_lo
.LBB2_1189:                             ;   in Loop: Header=BB2_797 Depth=2
	s_or_b32 exec_lo, exec_lo, s27
.LBB2_1190:                             ;   in Loop: Header=BB2_797 Depth=2
	s_delay_alu instid0(SALU_CYCLE_1) | instskip(SKIP_3) | instid1(VALU_DEP_1)
	s_or_b32 exec_lo, exec_lo, s26
	v_or_b32_e32 v101, v114, v100
	s_mov_b32 s11, 0
	s_mov_b32 s27, exec_lo
                                        ; implicit-def: $sgpr26
	v_and_b32_e32 v114, 0xff, v101
	s_delay_alu instid0(VALU_DEP_1)
	v_cmpx_lt_i16_e32 0x7f, v114
	s_xor_b32 s27, exec_lo, s27
	s_cbranch_execnz .LBB2_1412
; %bb.1191:                             ;   in Loop: Header=BB2_797 Depth=2
	s_or_saveexec_b32 s27, s27
	v_mov_b32_e32 v100, s26
	s_xor_b32 exec_lo, exec_lo, s27
	s_cbranch_execnz .LBB2_1415
.LBB2_1192:                             ;   in Loop: Header=BB2_797 Depth=2
	s_or_b32 exec_lo, exec_lo, s27
	s_and_saveexec_b32 s26, s11
	s_cbranch_execz .LBB2_1194
.LBB2_1193:                             ;   in Loop: Header=BB2_797 Depth=2
	v_and_b32_e32 v100, 7, v101
	v_bfe_u32 v129, v101, 3, 4
	v_lshlrev_b32_e32 v130, 24, v101
	s_delay_alu instid0(VALU_DEP_3) | instskip(NEXT) | instid1(VALU_DEP_3)
	v_clz_i32_u32_e32 v114, v100
	v_cmp_eq_u32_e32 vcc_lo, 0, v129
	s_delay_alu instid0(VALU_DEP_2) | instskip(NEXT) | instid1(VALU_DEP_1)
	v_min_u32_e32 v114, 32, v114
	v_subrev_nc_u32_e32 v128, 28, v114
	v_sub_nc_u32_e32 v114, 29, v114
	s_delay_alu instid0(VALU_DEP_2) | instskip(NEXT) | instid1(VALU_DEP_2)
	v_lshlrev_b32_e32 v128, v128, v101
	v_cndmask_b32_e32 v114, v129, v114, vcc_lo
	s_delay_alu instid0(VALU_DEP_2) | instskip(NEXT) | instid1(VALU_DEP_2)
	v_and_b32_e32 v128, 7, v128
	v_lshl_add_u32 v114, v114, 23, 0x3b800000
	s_delay_alu instid0(VALU_DEP_2) | instskip(SKIP_1) | instid1(VALU_DEP_2)
	v_cndmask_b32_e32 v100, v100, v128, vcc_lo
	v_and_b32_e32 v128, 0x80000000, v130
	v_lshlrev_b32_e32 v100, 20, v100
	s_delay_alu instid0(VALU_DEP_1)
	v_or3_b32 v100, v128, v114, v100
.LBB2_1194:                             ;   in Loop: Header=BB2_797 Depth=2
	s_or_b32 exec_lo, exec_lo, s26
	v_and_b32_e32 v128, 0xff, v13
	s_mov_b32 s11, 0
	s_mov_b32 s27, exec_lo
                                        ; implicit-def: $sgpr26
	s_delay_alu instid0(VALU_DEP_1)
	v_cmpx_lt_i16_e64 0x7f, v128
	s_xor_b32 s27, exec_lo, s27
	s_cbranch_execnz .LBB2_1416
; %bb.1195:                             ;   in Loop: Header=BB2_797 Depth=2
	s_or_saveexec_b32 s27, s27
	v_mov_b32_e32 v114, s26
	s_xor_b32 exec_lo, exec_lo, s27
	s_cbranch_execnz .LBB2_1419
.LBB2_1196:                             ;   in Loop: Header=BB2_797 Depth=2
	s_or_b32 exec_lo, exec_lo, s27
	s_and_saveexec_b32 s26, s11
	s_cbranch_execz .LBB2_1198
.LBB2_1197:                             ;   in Loop: Header=BB2_797 Depth=2
	v_and_b32_e32 v114, 7, v13
	v_bfe_u32 v130, v13, 3, 4
	v_lshlrev_b32_e32 v131, 24, v13
	s_delay_alu instid0(VALU_DEP_3) | instskip(NEXT) | instid1(VALU_DEP_3)
	v_clz_i32_u32_e32 v128, v114
	v_cmp_eq_u32_e32 vcc_lo, 0, v130
	s_delay_alu instid0(VALU_DEP_2) | instskip(NEXT) | instid1(VALU_DEP_1)
	v_min_u32_e32 v128, 32, v128
	v_subrev_nc_u32_e32 v129, 28, v128
	v_sub_nc_u32_e32 v128, 29, v128
	s_delay_alu instid0(VALU_DEP_1) | instskip(NEXT) | instid1(VALU_DEP_1)
	v_dual_cndmask_b32 v128, v130, v128 :: v_dual_lshlrev_b32 v129, v129, v13
	v_and_b32_e32 v129, 7, v129
	s_delay_alu instid0(VALU_DEP_2) | instskip(NEXT) | instid1(VALU_DEP_2)
	v_lshl_add_u32 v128, v128, 23, 0x3b800000
	v_dual_cndmask_b32 v114, v114, v129 :: v_dual_and_b32 v129, 0x80000000, v131
	s_delay_alu instid0(VALU_DEP_1) | instskip(NEXT) | instid1(VALU_DEP_1)
	v_lshlrev_b32_e32 v114, 20, v114
	v_or3_b32 v114, v129, v128, v114
.LBB2_1198:                             ;   in Loop: Header=BB2_797 Depth=2
	s_or_b32 exec_lo, exec_lo, s26
	s_delay_alu instid0(VALU_DEP_1) | instskip(NEXT) | instid1(VALU_DEP_1)
	v_add_f32_e32 v114, v100, v114
	v_and_b32_e32 v100, 0x7f800000, v114
	s_delay_alu instid0(VALU_DEP_1)
	v_cmp_ne_u32_e32 vcc_lo, 0x7f800000, v100
	v_mov_b32_e32 v100, 0x80
	s_and_saveexec_b32 s26, vcc_lo
	s_cbranch_execz .LBB2_1206
; %bb.1199:                             ;   in Loop: Header=BB2_797 Depth=2
	v_mov_b32_e32 v100, 0
	s_mov_b32 s27, exec_lo
	v_cmpx_ne_u32_e32 0, v114
	s_cbranch_execz .LBB2_1205
; %bb.1200:                             ;   in Loop: Header=BB2_797 Depth=2
	v_bfe_u32 v100, v114, 23, 8
	s_delay_alu instid0(VALU_DEP_1) | instskip(SKIP_1) | instid1(VALU_DEP_2)
	v_sub_nc_u32_e32 v129, 0x78, v100
	v_cmp_gt_u32_e32 vcc_lo, 0x79, v100
	v_dual_cndmask_b32 v129, 0, v129 :: v_dual_and_b32 v128, 0x7fffff, v114
	s_delay_alu instid0(VALU_DEP_1) | instskip(SKIP_2) | instid1(VALU_DEP_4)
	v_or_b32_e32 v130, 0x800000, v128
	v_cmp_eq_u32_e32 vcc_lo, 0, v100
	v_add_nc_u32_e32 v100, 0xffffff89, v100
	v_cndmask_b32_e64 v129, v129, 0x77, vcc_lo
	s_delay_alu instid0(VALU_DEP_4) | instskip(NEXT) | instid1(VALU_DEP_3)
	v_cndmask_b32_e32 v128, v130, v128, vcc_lo
	v_cndmask_b32_e64 v100, v100, 0xffffff8a, vcc_lo
	s_delay_alu instid0(VALU_DEP_3) | instskip(NEXT) | instid1(VALU_DEP_3)
	v_lshl_add_u32 v130, 0x100000, v129, -1
	v_lshrrev_b32_e32 v131, v129, v128
	v_lshlrev_b32_e64 v133, v129, 0x80000
	s_delay_alu instid0(VALU_DEP_4) | instskip(NEXT) | instid1(VALU_DEP_4)
	v_add_nc_u32_e32 v129, v129, v100
	v_and_b32_e32 v128, v130, v128
	s_delay_alu instid0(VALU_DEP_4) | instskip(NEXT) | instid1(VALU_DEP_2)
	v_bfe_u32 v132, v131, 20, 1
	v_cmp_eq_u32_e64 s11, v128, v133
	s_delay_alu instid0(VALU_DEP_2) | instskip(NEXT) | instid1(VALU_DEP_1)
	v_add_nc_u32_e32 v130, -1, v132
	v_cndmask_b32_e64 v128, 0, v130, s11
	v_lshrrev_b32_e32 v130, 23, v131
	s_mov_b32 s11, exec_lo
	s_delay_alu instid0(VALU_DEP_2) | instskip(NEXT) | instid1(VALU_DEP_2)
	v_add_nc_u32_e32 v128, v128, v131
	v_xor_b32_e32 v130, 1, v130
	s_delay_alu instid0(VALU_DEP_2) | instskip(NEXT) | instid1(VALU_DEP_1)
	v_and_b32_e32 v100, 0xfffff, v128
	v_add_nc_u32_e32 v128, v100, v131
                                        ; implicit-def: $vgpr100
	s_delay_alu instid0(VALU_DEP_3)
	v_cmpx_ne_u32_e64 v129, v130
	s_xor_b32 s11, exec_lo, s11
; %bb.1201:                             ;   in Loop: Header=BB2_797 Depth=2
	s_delay_alu instid0(VALU_DEP_2) | instskip(SKIP_2) | instid1(VALU_DEP_2)
	v_cmp_lt_u32_e32 vcc_lo, 0xffffff, v128
	v_sub_nc_u32_e32 v100, v129, v130
	v_cndmask_b32_e64 v129, 0, 1, vcc_lo
	v_add_co_ci_u32_e32 v100, vcc_lo, 0, v100, vcc_lo
	s_delay_alu instid0(VALU_DEP_2)
	v_lshrrev_b32_e32 v128, v129, v128
; %bb.1202:                             ;   in Loop: Header=BB2_797 Depth=2
	s_and_not1_saveexec_b32 s11, s11
; %bb.1203:                             ;   in Loop: Header=BB2_797 Depth=2
	s_delay_alu instid0(VALU_DEP_1)
	v_bfe_u32 v100, v128, 23, 1
; %bb.1204:                             ;   in Loop: Header=BB2_797 Depth=2
	s_or_b32 exec_lo, exec_lo, s11
	v_lshrrev_b32_e32 v128, 20, v128
	s_delay_alu instid0(VALU_DEP_2) | instskip(SKIP_2) | instid1(VALU_DEP_4)
	v_cmp_gt_i32_e32 vcc_lo, 16, v100
	v_lshrrev_b32_e32 v114, 24, v114
	v_min_i32_e32 v129, 15, v100
	v_cndmask_b32_e32 v128, 7, v128, vcc_lo
	s_delay_alu instid0(VALU_DEP_3) | instskip(NEXT) | instid1(VALU_DEP_3)
	v_and_b32_e32 v114, 0x80, v114
	v_lshlrev_b32_e32 v129, 3, v129
	s_delay_alu instid0(VALU_DEP_3) | instskip(SKIP_1) | instid1(VALU_DEP_2)
	v_and_b32_e32 v130, 7, v128
	v_or_b32_e32 v100, v100, v128
	v_or3_b32 v114, v129, v114, v130
	s_delay_alu instid0(VALU_DEP_2) | instskip(NEXT) | instid1(VALU_DEP_2)
	v_cmp_ne_u32_e32 vcc_lo, 0, v100
	v_cndmask_b32_e32 v100, 0, v114, vcc_lo
.LBB2_1205:                             ;   in Loop: Header=BB2_797 Depth=2
	s_or_b32 exec_lo, exec_lo, s27
.LBB2_1206:                             ;   in Loop: Header=BB2_797 Depth=2
	s_delay_alu instid0(SALU_CYCLE_1) | instskip(SKIP_3) | instid1(VALU_DEP_1)
	s_or_b32 exec_lo, exec_lo, s26
	v_lshrrev_b16 v128, 8, v101
	s_mov_b32 s11, 0
	s_mov_b32 s27, exec_lo
                                        ; implicit-def: $sgpr26
	v_cmpx_lt_i16_e64 0x7f, v128
	s_xor_b32 s27, exec_lo, s27
	s_cbranch_execnz .LBB2_1420
; %bb.1207:                             ;   in Loop: Header=BB2_797 Depth=2
	s_or_saveexec_b32 s27, s27
	v_mov_b32_e32 v114, s26
	s_xor_b32 exec_lo, exec_lo, s27
	s_cbranch_execnz .LBB2_1423
.LBB2_1208:                             ;   in Loop: Header=BB2_797 Depth=2
	s_or_b32 exec_lo, exec_lo, s27
	s_and_saveexec_b32 s26, s11
	s_cbranch_execz .LBB2_1210
.LBB2_1209:                             ;   in Loop: Header=BB2_797 Depth=2
	v_and_b32_e32 v114, 0xffff, v128
	v_lshlrev_b32_e32 v128, 24, v128
	s_delay_alu instid0(VALU_DEP_2) | instskip(NEXT) | instid1(VALU_DEP_2)
	v_and_b32_e32 v129, 7, v114
	v_and_b32_e32 v128, 0x80000000, v128
	s_delay_alu instid0(VALU_DEP_2) | instskip(NEXT) | instid1(VALU_DEP_1)
	v_clz_i32_u32_e32 v130, v129
	v_min_u32_e32 v130, 32, v130
	s_delay_alu instid0(VALU_DEP_1) | instskip(SKIP_1) | instid1(VALU_DEP_2)
	v_subrev_nc_u32_e32 v131, 28, v130
	v_sub_nc_u32_e32 v130, 29, v130
	v_lshlrev_b32_e32 v131, v131, v114
	v_bfe_u32 v114, v114, 3, 4
	s_delay_alu instid0(VALU_DEP_1) | instskip(NEXT) | instid1(VALU_DEP_3)
	v_cmp_eq_u32_e32 vcc_lo, 0, v114
	v_dual_cndmask_b32 v114, v114, v130 :: v_dual_and_b32 v131, 7, v131
	s_delay_alu instid0(VALU_DEP_1) | instskip(NEXT) | instid1(VALU_DEP_2)
	v_cndmask_b32_e32 v129, v129, v131, vcc_lo
	v_lshl_add_u32 v114, v114, 23, 0x3b800000
	s_delay_alu instid0(VALU_DEP_2) | instskip(NEXT) | instid1(VALU_DEP_1)
	v_lshlrev_b32_e32 v129, 20, v129
	v_or3_b32 v114, v128, v114, v129
.LBB2_1210:                             ;   in Loop: Header=BB2_797 Depth=2
	s_or_b32 exec_lo, exec_lo, s26
	v_lshrrev_b16 v128, 8, v13
	s_mov_b32 s11, 0
	s_mov_b32 s27, exec_lo
                                        ; implicit-def: $sgpr26
	s_delay_alu instid0(VALU_DEP_1)
	v_cmpx_lt_i16_e64 0x7f, v128
	s_xor_b32 s27, exec_lo, s27
	s_cbranch_execnz .LBB2_1424
; %bb.1211:                             ;   in Loop: Header=BB2_797 Depth=2
	s_or_saveexec_b32 s27, s27
	v_mov_b32_e32 v129, s26
	s_xor_b32 exec_lo, exec_lo, s27
	s_cbranch_execnz .LBB2_1427
.LBB2_1212:                             ;   in Loop: Header=BB2_797 Depth=2
	s_or_b32 exec_lo, exec_lo, s27
	s_and_saveexec_b32 s26, s11
	s_cbranch_execz .LBB2_1214
.LBB2_1213:                             ;   in Loop: Header=BB2_797 Depth=2
	v_and_b32_e32 v129, 0xffff, v128
	v_lshlrev_b32_e32 v128, 24, v128
	s_delay_alu instid0(VALU_DEP_2) | instskip(NEXT) | instid1(VALU_DEP_2)
	v_and_b32_e32 v130, 7, v129
	v_and_b32_e32 v128, 0x80000000, v128
	s_delay_alu instid0(VALU_DEP_2) | instskip(NEXT) | instid1(VALU_DEP_1)
	v_clz_i32_u32_e32 v131, v130
	v_min_u32_e32 v131, 32, v131
	s_delay_alu instid0(VALU_DEP_1) | instskip(SKIP_1) | instid1(VALU_DEP_2)
	v_subrev_nc_u32_e32 v132, 28, v131
	v_sub_nc_u32_e32 v131, 29, v131
	v_lshlrev_b32_e32 v132, v132, v129
	v_bfe_u32 v129, v129, 3, 4
	s_delay_alu instid0(VALU_DEP_2) | instskip(NEXT) | instid1(VALU_DEP_2)
	v_and_b32_e32 v132, 7, v132
	v_cmp_eq_u32_e32 vcc_lo, 0, v129
	s_delay_alu instid0(VALU_DEP_2) | instskip(NEXT) | instid1(VALU_DEP_1)
	v_dual_cndmask_b32 v129, v129, v131 :: v_dual_cndmask_b32 v130, v130, v132
	v_lshl_add_u32 v129, v129, 23, 0x3b800000
	s_delay_alu instid0(VALU_DEP_2) | instskip(NEXT) | instid1(VALU_DEP_1)
	v_lshlrev_b32_e32 v130, 20, v130
	v_or3_b32 v129, v128, v129, v130
.LBB2_1214:                             ;   in Loop: Header=BB2_797 Depth=2
	s_or_b32 exec_lo, exec_lo, s26
	s_delay_alu instid0(VALU_DEP_1) | instskip(NEXT) | instid1(VALU_DEP_1)
	v_add_f32_e32 v128, v114, v129
	v_and_b32_e32 v114, 0x7f800000, v128
	s_delay_alu instid0(VALU_DEP_1)
	v_cmp_ne_u32_e32 vcc_lo, 0x7f800000, v114
	v_mov_b32_e32 v114, 0x8000
	s_and_saveexec_b32 s26, vcc_lo
	s_cbranch_execz .LBB2_1222
; %bb.1215:                             ;   in Loop: Header=BB2_797 Depth=2
	v_mov_b32_e32 v114, 0
	s_mov_b32 s27, exec_lo
	v_cmpx_ne_u32_e32 0, v128
	s_cbranch_execz .LBB2_1221
; %bb.1216:                             ;   in Loop: Header=BB2_797 Depth=2
	v_bfe_u32 v114, v128, 23, 8
	s_delay_alu instid0(VALU_DEP_1) | instskip(SKIP_1) | instid1(VALU_DEP_2)
	v_sub_nc_u32_e32 v130, 0x78, v114
	v_cmp_gt_u32_e32 vcc_lo, 0x79, v114
	v_dual_cndmask_b32 v130, 0, v130 :: v_dual_and_b32 v129, 0x7fffff, v128
	s_delay_alu instid0(VALU_DEP_1) | instskip(SKIP_2) | instid1(VALU_DEP_4)
	v_or_b32_e32 v131, 0x800000, v129
	v_cmp_eq_u32_e32 vcc_lo, 0, v114
	v_add_nc_u32_e32 v114, 0xffffff89, v114
	v_cndmask_b32_e64 v130, v130, 0x77, vcc_lo
	s_delay_alu instid0(VALU_DEP_4) | instskip(NEXT) | instid1(VALU_DEP_3)
	v_cndmask_b32_e32 v129, v131, v129, vcc_lo
	v_cndmask_b32_e64 v114, v114, 0xffffff8a, vcc_lo
	s_delay_alu instid0(VALU_DEP_3) | instskip(NEXT) | instid1(VALU_DEP_3)
	v_lshl_add_u32 v131, 0x100000, v130, -1
	v_lshrrev_b32_e32 v132, v130, v129
	v_lshlrev_b32_e64 v134, v130, 0x80000
	s_delay_alu instid0(VALU_DEP_4) | instskip(NEXT) | instid1(VALU_DEP_4)
	v_add_nc_u32_e32 v130, v130, v114
	v_and_b32_e32 v129, v131, v129
	s_delay_alu instid0(VALU_DEP_4) | instskip(NEXT) | instid1(VALU_DEP_2)
	v_bfe_u32 v133, v132, 20, 1
	v_cmp_eq_u32_e64 s11, v129, v134
	s_delay_alu instid0(VALU_DEP_2) | instskip(NEXT) | instid1(VALU_DEP_1)
	v_add_nc_u32_e32 v131, -1, v133
	v_cndmask_b32_e64 v129, 0, v131, s11
	v_lshrrev_b32_e32 v131, 23, v132
	s_mov_b32 s11, exec_lo
	s_delay_alu instid0(VALU_DEP_2) | instskip(NEXT) | instid1(VALU_DEP_2)
	v_add_nc_u32_e32 v129, v129, v132
	v_xor_b32_e32 v131, 1, v131
	s_delay_alu instid0(VALU_DEP_2) | instskip(NEXT) | instid1(VALU_DEP_1)
	v_and_b32_e32 v114, 0xfffff, v129
	v_add_nc_u32_e32 v129, v114, v132
                                        ; implicit-def: $vgpr114
	s_delay_alu instid0(VALU_DEP_3)
	v_cmpx_ne_u32_e64 v130, v131
	s_xor_b32 s11, exec_lo, s11
; %bb.1217:                             ;   in Loop: Header=BB2_797 Depth=2
	s_delay_alu instid0(VALU_DEP_2) | instskip(SKIP_2) | instid1(VALU_DEP_2)
	v_cmp_lt_u32_e32 vcc_lo, 0xffffff, v129
	v_sub_nc_u32_e32 v114, v130, v131
	v_cndmask_b32_e64 v130, 0, 1, vcc_lo
	v_add_co_ci_u32_e32 v114, vcc_lo, 0, v114, vcc_lo
	s_delay_alu instid0(VALU_DEP_2)
	v_lshrrev_b32_e32 v129, v130, v129
; %bb.1218:                             ;   in Loop: Header=BB2_797 Depth=2
	s_and_not1_saveexec_b32 s11, s11
; %bb.1219:                             ;   in Loop: Header=BB2_797 Depth=2
	s_delay_alu instid0(VALU_DEP_1)
	v_bfe_u32 v114, v129, 23, 1
; %bb.1220:                             ;   in Loop: Header=BB2_797 Depth=2
	s_or_b32 exec_lo, exec_lo, s11
	v_lshrrev_b32_e32 v129, 20, v129
	s_delay_alu instid0(VALU_DEP_2) | instskip(SKIP_2) | instid1(VALU_DEP_2)
	v_cmp_gt_i32_e32 vcc_lo, 16, v114
	v_min_i32_e32 v130, 15, v114
	v_lshrrev_b32_e32 v128, 24, v128
	v_dual_cndmask_b32 v129, 7, v129 :: v_dual_lshlrev_b32 v130, 3, v130
	s_delay_alu instid0(VALU_DEP_2) | instskip(NEXT) | instid1(VALU_DEP_2)
	v_and_b32_e32 v128, 0x80, v128
	v_or_b32_e32 v114, v114, v129
	s_delay_alu instid0(VALU_DEP_3) | instskip(NEXT) | instid1(VALU_DEP_2)
	v_and_b32_e32 v130, 0xf8, v130
	v_cmp_ne_u32_e32 vcc_lo, 0, v114
	v_and_b32_e32 v131, 7, v129
	s_delay_alu instid0(VALU_DEP_1) | instskip(NEXT) | instid1(VALU_DEP_1)
	v_or3_b32 v128, v128, v130, v131
	v_lshlrev_b32_e32 v128, 8, v128
	s_delay_alu instid0(VALU_DEP_1)
	v_cndmask_b32_e32 v114, 0, v128, vcc_lo
.LBB2_1221:                             ;   in Loop: Header=BB2_797 Depth=2
	s_or_b32 exec_lo, exec_lo, s27
.LBB2_1222:                             ;   in Loop: Header=BB2_797 Depth=2
	s_delay_alu instid0(SALU_CYCLE_1) | instskip(SKIP_3) | instid1(VALU_DEP_1)
	s_or_b32 exec_lo, exec_lo, s26
	v_or_b32_e32 v103, v103, v99
	s_mov_b32 s11, 0
	s_mov_b32 s27, exec_lo
                                        ; implicit-def: $sgpr26
	v_and_b32_e32 v128, 0xff, v103
	s_delay_alu instid0(VALU_DEP_1)
	v_cmpx_lt_i16_e64 0x7f, v128
	s_xor_b32 s27, exec_lo, s27
	s_cbranch_execnz .LBB2_1428
; %bb.1223:                             ;   in Loop: Header=BB2_797 Depth=2
	s_or_saveexec_b32 s27, s27
	v_mov_b32_e32 v99, s26
	s_xor_b32 exec_lo, exec_lo, s27
	s_cbranch_execnz .LBB2_1431
.LBB2_1224:                             ;   in Loop: Header=BB2_797 Depth=2
	s_or_b32 exec_lo, exec_lo, s27
	v_lshl_or_b32 v101, v103, 16, v101
	s_and_saveexec_b32 s26, s11
	s_cbranch_execz .LBB2_1226
.LBB2_1225:                             ;   in Loop: Header=BB2_797 Depth=2
	s_delay_alu instid0(VALU_DEP_1) | instskip(SKIP_1) | instid1(VALU_DEP_2)
	v_bfe_u32 v99, v101, 16, 3
	v_lshrrev_b32_e32 v128, 16, v101
	v_clz_i32_u32_e32 v103, v99
	s_delay_alu instid0(VALU_DEP_1) | instskip(NEXT) | instid1(VALU_DEP_1)
	v_min_u32_e32 v103, 32, v103
	v_subrev_nc_u32_e32 v129, 28, v103
	v_sub_nc_u32_e32 v103, 29, v103
	s_delay_alu instid0(VALU_DEP_2) | instskip(SKIP_1) | instid1(VALU_DEP_1)
	v_lshlrev_b32_e32 v128, v129, v128
	v_bfe_u32 v129, v101, 19, 4
	v_cmp_eq_u32_e32 vcc_lo, 0, v129
	s_delay_alu instid0(VALU_DEP_3) | instskip(NEXT) | instid1(VALU_DEP_1)
	v_dual_cndmask_b32 v103, v129, v103 :: v_dual_and_b32 v128, 7, v128
	v_dual_cndmask_b32 v99, v99, v128 :: v_dual_lshlrev_b32 v130, 8, v101
	s_delay_alu instid0(VALU_DEP_2) | instskip(NEXT) | instid1(VALU_DEP_2)
	v_lshl_add_u32 v103, v103, 23, 0x3b800000
	v_and_b32_e32 v128, 0x80000000, v130
	s_delay_alu instid0(VALU_DEP_3) | instskip(NEXT) | instid1(VALU_DEP_1)
	v_lshlrev_b32_e32 v99, 20, v99
	v_or3_b32 v99, v128, v103, v99
.LBB2_1226:                             ;   in Loop: Header=BB2_797 Depth=2
	s_or_b32 exec_lo, exec_lo, s26
	v_lshrrev_b32_e32 v103, 16, v13
	s_mov_b32 s11, 0
	s_mov_b32 s27, exec_lo
                                        ; implicit-def: $sgpr26
	s_delay_alu instid0(VALU_DEP_1) | instskip(NEXT) | instid1(VALU_DEP_1)
	v_and_b32_e32 v129, 0xff, v103
	v_cmpx_lt_i16_e64 0x7f, v129
	s_xor_b32 s27, exec_lo, s27
	s_cbranch_execnz .LBB2_1432
; %bb.1227:                             ;   in Loop: Header=BB2_797 Depth=2
	s_or_saveexec_b32 s27, s27
	v_mov_b32_e32 v128, s26
	s_xor_b32 exec_lo, exec_lo, s27
	s_cbranch_execnz .LBB2_1435
.LBB2_1228:                             ;   in Loop: Header=BB2_797 Depth=2
	s_or_b32 exec_lo, exec_lo, s27
	s_and_saveexec_b32 s26, s11
	s_cbranch_execz .LBB2_1230
.LBB2_1229:                             ;   in Loop: Header=BB2_797 Depth=2
	v_bfe_u32 v128, v13, 16, 3
	v_lshlrev_b32_e32 v131, 8, v13
	s_delay_alu instid0(VALU_DEP_2) | instskip(NEXT) | instid1(VALU_DEP_1)
	v_clz_i32_u32_e32 v129, v128
	v_min_u32_e32 v129, 32, v129
	s_delay_alu instid0(VALU_DEP_1) | instskip(SKIP_1) | instid1(VALU_DEP_2)
	v_subrev_nc_u32_e32 v130, 28, v129
	v_sub_nc_u32_e32 v129, 29, v129
	v_lshlrev_b32_e32 v103, v130, v103
	v_bfe_u32 v130, v13, 19, 4
	s_delay_alu instid0(VALU_DEP_2) | instskip(NEXT) | instid1(VALU_DEP_2)
	v_and_b32_e32 v103, 7, v103
	v_cmp_eq_u32_e32 vcc_lo, 0, v130
	v_cndmask_b32_e32 v129, v130, v129, vcc_lo
	s_delay_alu instid0(VALU_DEP_3) | instskip(SKIP_1) | instid1(VALU_DEP_3)
	v_cndmask_b32_e32 v103, v128, v103, vcc_lo
	v_and_b32_e32 v128, 0x80000000, v131
	v_lshl_add_u32 v129, v129, 23, 0x3b800000
	s_delay_alu instid0(VALU_DEP_3) | instskip(NEXT) | instid1(VALU_DEP_1)
	v_lshlrev_b32_e32 v103, 20, v103
	v_or3_b32 v128, v128, v129, v103
.LBB2_1230:                             ;   in Loop: Header=BB2_797 Depth=2
	s_or_b32 exec_lo, exec_lo, s26
	s_delay_alu instid0(VALU_DEP_1) | instskip(NEXT) | instid1(VALU_DEP_1)
	v_add_f32_e32 v103, v99, v128
	v_and_b32_e32 v99, 0x7f800000, v103
	s_delay_alu instid0(VALU_DEP_1)
	v_cmp_ne_u32_e32 vcc_lo, 0x7f800000, v99
	v_mov_b32_e32 v99, 0x80
	s_and_saveexec_b32 s26, vcc_lo
	s_cbranch_execz .LBB2_1238
; %bb.1231:                             ;   in Loop: Header=BB2_797 Depth=2
	v_mov_b32_e32 v99, 0
	s_mov_b32 s27, exec_lo
	v_cmpx_ne_u32_e32 0, v103
	s_cbranch_execz .LBB2_1237
; %bb.1232:                             ;   in Loop: Header=BB2_797 Depth=2
	v_bfe_u32 v99, v103, 23, 8
	s_delay_alu instid0(VALU_DEP_1) | instskip(SKIP_1) | instid1(VALU_DEP_2)
	v_sub_nc_u32_e32 v129, 0x78, v99
	v_cmp_gt_u32_e32 vcc_lo, 0x79, v99
	v_dual_cndmask_b32 v129, 0, v129 :: v_dual_and_b32 v128, 0x7fffff, v103
	s_delay_alu instid0(VALU_DEP_1) | instskip(SKIP_2) | instid1(VALU_DEP_4)
	v_or_b32_e32 v130, 0x800000, v128
	v_cmp_eq_u32_e32 vcc_lo, 0, v99
	v_add_nc_u32_e32 v99, 0xffffff89, v99
	v_cndmask_b32_e64 v129, v129, 0x77, vcc_lo
	s_delay_alu instid0(VALU_DEP_4) | instskip(NEXT) | instid1(VALU_DEP_3)
	v_cndmask_b32_e32 v128, v130, v128, vcc_lo
	v_cndmask_b32_e64 v99, v99, 0xffffff8a, vcc_lo
	s_delay_alu instid0(VALU_DEP_3) | instskip(NEXT) | instid1(VALU_DEP_3)
	v_lshl_add_u32 v130, 0x100000, v129, -1
	v_lshrrev_b32_e32 v131, v129, v128
	v_lshlrev_b32_e64 v133, v129, 0x80000
	s_delay_alu instid0(VALU_DEP_4) | instskip(NEXT) | instid1(VALU_DEP_4)
	v_add_nc_u32_e32 v129, v129, v99
	v_and_b32_e32 v128, v130, v128
	s_delay_alu instid0(VALU_DEP_4) | instskip(NEXT) | instid1(VALU_DEP_2)
	v_bfe_u32 v132, v131, 20, 1
	v_cmp_eq_u32_e64 s11, v128, v133
	s_delay_alu instid0(VALU_DEP_2) | instskip(NEXT) | instid1(VALU_DEP_1)
	v_add_nc_u32_e32 v130, -1, v132
	v_cndmask_b32_e64 v128, 0, v130, s11
	v_lshrrev_b32_e32 v130, 23, v131
	s_mov_b32 s11, exec_lo
	s_delay_alu instid0(VALU_DEP_2) | instskip(NEXT) | instid1(VALU_DEP_2)
	v_add_nc_u32_e32 v128, v128, v131
	v_xor_b32_e32 v130, 1, v130
	s_delay_alu instid0(VALU_DEP_2) | instskip(NEXT) | instid1(VALU_DEP_1)
	v_and_b32_e32 v99, 0xfffff, v128
	v_add_nc_u32_e32 v128, v99, v131
                                        ; implicit-def: $vgpr99
	s_delay_alu instid0(VALU_DEP_3)
	v_cmpx_ne_u32_e64 v129, v130
	s_xor_b32 s11, exec_lo, s11
; %bb.1233:                             ;   in Loop: Header=BB2_797 Depth=2
	s_delay_alu instid0(VALU_DEP_2) | instskip(SKIP_2) | instid1(VALU_DEP_2)
	v_cmp_lt_u32_e32 vcc_lo, 0xffffff, v128
	v_sub_nc_u32_e32 v99, v129, v130
	v_cndmask_b32_e64 v129, 0, 1, vcc_lo
	v_add_co_ci_u32_e32 v99, vcc_lo, 0, v99, vcc_lo
	s_delay_alu instid0(VALU_DEP_2)
	v_lshrrev_b32_e32 v128, v129, v128
; %bb.1234:                             ;   in Loop: Header=BB2_797 Depth=2
	s_and_not1_saveexec_b32 s11, s11
; %bb.1235:                             ;   in Loop: Header=BB2_797 Depth=2
	s_delay_alu instid0(VALU_DEP_1)
	v_bfe_u32 v99, v128, 23, 1
; %bb.1236:                             ;   in Loop: Header=BB2_797 Depth=2
	s_or_b32 exec_lo, exec_lo, s11
	v_lshrrev_b32_e32 v128, 20, v128
	s_delay_alu instid0(VALU_DEP_2) | instskip(SKIP_2) | instid1(VALU_DEP_2)
	v_cmp_gt_i32_e32 vcc_lo, 16, v99
	v_min_i32_e32 v129, 15, v99
	v_lshrrev_b32_e32 v103, 24, v103
	v_dual_cndmask_b32 v128, 7, v128 :: v_dual_lshlrev_b32 v129, 3, v129
	s_delay_alu instid0(VALU_DEP_2) | instskip(NEXT) | instid1(VALU_DEP_2)
	v_and_b32_e32 v103, 0x80, v103
	v_or_b32_e32 v99, v99, v128
	s_delay_alu instid0(VALU_DEP_3) | instskip(NEXT) | instid1(VALU_DEP_2)
	v_and_b32_e32 v129, 0xf8, v129
	v_cmp_ne_u32_e32 vcc_lo, 0, v99
	v_and_b32_e32 v130, 7, v128
	s_delay_alu instid0(VALU_DEP_1) | instskip(NEXT) | instid1(VALU_DEP_1)
	v_or3_b32 v103, v129, v103, v130
	v_cndmask_b32_e32 v99, 0, v103, vcc_lo
.LBB2_1237:                             ;   in Loop: Header=BB2_797 Depth=2
	s_or_b32 exec_lo, exec_lo, s27
.LBB2_1238:                             ;   in Loop: Header=BB2_797 Depth=2
	s_delay_alu instid0(SALU_CYCLE_1) | instskip(SKIP_3) | instid1(VALU_DEP_1)
	s_or_b32 exec_lo, exec_lo, s26
	v_lshrrev_b32_e32 v128, 24, v101
	s_mov_b32 s11, 0
	s_mov_b32 s27, exec_lo
                                        ; implicit-def: $sgpr26
	v_cmpx_lt_i16_e64 0x7f, v128
	s_xor_b32 s27, exec_lo, s27
	s_cbranch_execnz .LBB2_1436
; %bb.1239:                             ;   in Loop: Header=BB2_797 Depth=2
	s_or_saveexec_b32 s27, s27
	v_mov_b32_e32 v103, s26
	s_xor_b32 exec_lo, exec_lo, s27
	s_cbranch_execnz .LBB2_1439
.LBB2_1240:                             ;   in Loop: Header=BB2_797 Depth=2
	s_or_b32 exec_lo, exec_lo, s27
	s_and_saveexec_b32 s26, s11
	s_cbranch_execz .LBB2_1242
.LBB2_1241:                             ;   in Loop: Header=BB2_797 Depth=2
	v_bfe_u32 v103, v101, 24, 3
	s_delay_alu instid0(VALU_DEP_1) | instskip(NEXT) | instid1(VALU_DEP_1)
	v_clz_i32_u32_e32 v129, v103
	v_min_u32_e32 v129, 32, v129
	s_delay_alu instid0(VALU_DEP_1) | instskip(SKIP_1) | instid1(VALU_DEP_2)
	v_subrev_nc_u32_e32 v130, 28, v129
	v_sub_nc_u32_e32 v129, 29, v129
	v_lshlrev_b32_e32 v128, v130, v128
	v_bfe_u32 v130, v101, 27, 4
	v_and_b32_e32 v101, 0x80000000, v101
	s_delay_alu instid0(VALU_DEP_2) | instskip(NEXT) | instid1(VALU_DEP_4)
	v_cmp_eq_u32_e32 vcc_lo, 0, v130
	v_dual_cndmask_b32 v129, v130, v129 :: v_dual_and_b32 v128, 7, v128
	s_delay_alu instid0(VALU_DEP_1) | instskip(NEXT) | instid1(VALU_DEP_2)
	v_cndmask_b32_e32 v103, v103, v128, vcc_lo
	v_lshl_add_u32 v128, v129, 23, 0x3b800000
	s_delay_alu instid0(VALU_DEP_2) | instskip(NEXT) | instid1(VALU_DEP_1)
	v_lshlrev_b32_e32 v103, 20, v103
	v_or3_b32 v103, v101, v128, v103
.LBB2_1242:                             ;   in Loop: Header=BB2_797 Depth=2
	s_or_b32 exec_lo, exec_lo, s26
	v_lshrrev_b32_e32 v101, 24, v13
	s_mov_b32 s11, 0
	s_mov_b32 s27, exec_lo
                                        ; implicit-def: $sgpr26
	s_delay_alu instid0(VALU_DEP_1)
	v_cmpx_lt_i16_e32 0x7f, v101
	s_xor_b32 s27, exec_lo, s27
	s_cbranch_execnz .LBB2_1440
; %bb.1243:                             ;   in Loop: Header=BB2_797 Depth=2
	s_or_saveexec_b32 s27, s27
	v_mov_b32_e32 v128, s26
	s_xor_b32 exec_lo, exec_lo, s27
	s_cbranch_execnz .LBB2_1443
.LBB2_1244:                             ;   in Loop: Header=BB2_797 Depth=2
	s_or_b32 exec_lo, exec_lo, s27
	s_and_saveexec_b32 s26, s11
	s_cbranch_execz .LBB2_1246
.LBB2_1245:                             ;   in Loop: Header=BB2_797 Depth=2
	v_bfe_u32 v128, v13, 24, 3
	s_delay_alu instid0(VALU_DEP_1) | instskip(NEXT) | instid1(VALU_DEP_1)
	v_clz_i32_u32_e32 v129, v128
	v_min_u32_e32 v129, 32, v129
	s_delay_alu instid0(VALU_DEP_1) | instskip(SKIP_1) | instid1(VALU_DEP_2)
	v_subrev_nc_u32_e32 v130, 28, v129
	v_sub_nc_u32_e32 v129, 29, v129
	v_lshlrev_b32_e32 v101, v130, v101
	v_bfe_u32 v130, v13, 27, 4
	v_and_b32_e32 v13, 0x80000000, v13
	s_delay_alu instid0(VALU_DEP_3) | instskip(NEXT) | instid1(VALU_DEP_3)
	v_and_b32_e32 v101, 7, v101
	v_cmp_eq_u32_e32 vcc_lo, 0, v130
	v_cndmask_b32_e32 v129, v130, v129, vcc_lo
	s_delay_alu instid0(VALU_DEP_3) | instskip(NEXT) | instid1(VALU_DEP_2)
	v_cndmask_b32_e32 v101, v128, v101, vcc_lo
	v_lshl_add_u32 v128, v129, 23, 0x3b800000
	s_delay_alu instid0(VALU_DEP_2) | instskip(NEXT) | instid1(VALU_DEP_1)
	v_lshlrev_b32_e32 v101, 20, v101
	v_or3_b32 v128, v13, v128, v101
.LBB2_1246:                             ;   in Loop: Header=BB2_797 Depth=2
	s_or_b32 exec_lo, exec_lo, s26
	s_delay_alu instid0(VALU_DEP_1) | instskip(NEXT) | instid1(VALU_DEP_1)
	v_add_f32_e32 v13, v103, v128
	v_and_b32_e32 v101, 0x7f800000, v13
	s_delay_alu instid0(VALU_DEP_1)
	v_cmp_ne_u32_e32 vcc_lo, 0x7f800000, v101
	v_mov_b32_e32 v101, 0x8000
	s_and_saveexec_b32 s26, vcc_lo
	s_cbranch_execz .LBB2_796
; %bb.1247:                             ;   in Loop: Header=BB2_797 Depth=2
	v_mov_b32_e32 v101, 0
	s_mov_b32 s27, exec_lo
	v_cmpx_ne_u32_e32 0, v13
	s_cbranch_execz .LBB2_795
; %bb.1248:                             ;   in Loop: Header=BB2_797 Depth=2
	v_bfe_u32 v101, v13, 23, 8
	s_delay_alu instid0(VALU_DEP_1) | instskip(SKIP_1) | instid1(VALU_DEP_2)
	v_sub_nc_u32_e32 v128, 0x78, v101
	v_cmp_gt_u32_e32 vcc_lo, 0x79, v101
	v_dual_cndmask_b32 v128, 0, v128 :: v_dual_and_b32 v103, 0x7fffff, v13
	s_delay_alu instid0(VALU_DEP_1) | instskip(SKIP_2) | instid1(VALU_DEP_4)
	v_or_b32_e32 v129, 0x800000, v103
	v_cmp_eq_u32_e32 vcc_lo, 0, v101
	v_add_nc_u32_e32 v101, 0xffffff89, v101
	v_cndmask_b32_e64 v128, v128, 0x77, vcc_lo
	s_delay_alu instid0(VALU_DEP_2) | instskip(SKIP_1) | instid1(VALU_DEP_3)
	v_cndmask_b32_e64 v101, v101, 0xffffff8a, vcc_lo
	v_cndmask_b32_e32 v103, v129, v103, vcc_lo
	v_lshl_add_u32 v129, 0x100000, v128, -1
	v_lshlrev_b32_e64 v132, v128, 0x80000
	s_delay_alu instid0(VALU_DEP_3) | instskip(SKIP_1) | instid1(VALU_DEP_4)
	v_lshrrev_b32_e32 v130, v128, v103
	v_add_nc_u32_e32 v128, v128, v101
	v_and_b32_e32 v103, v129, v103
	s_delay_alu instid0(VALU_DEP_3) | instskip(NEXT) | instid1(VALU_DEP_2)
	v_bfe_u32 v131, v130, 20, 1
	v_cmp_eq_u32_e64 s11, v103, v132
	s_delay_alu instid0(VALU_DEP_2) | instskip(NEXT) | instid1(VALU_DEP_1)
	v_add_nc_u32_e32 v129, -1, v131
	v_cndmask_b32_e64 v103, 0, v129, s11
	v_lshrrev_b32_e32 v129, 23, v130
	s_mov_b32 s11, exec_lo
	s_delay_alu instid0(VALU_DEP_2) | instskip(NEXT) | instid1(VALU_DEP_2)
	v_add_nc_u32_e32 v103, v103, v130
	v_xor_b32_e32 v129, 1, v129
	s_delay_alu instid0(VALU_DEP_2) | instskip(NEXT) | instid1(VALU_DEP_1)
	v_and_b32_e32 v101, 0xfffff, v103
	v_add_nc_u32_e32 v103, v101, v130
                                        ; implicit-def: $vgpr101
	s_delay_alu instid0(VALU_DEP_3)
	v_cmpx_ne_u32_e64 v128, v129
	s_xor_b32 s11, exec_lo, s11
; %bb.1249:                             ;   in Loop: Header=BB2_797 Depth=2
	s_delay_alu instid0(VALU_DEP_2) | instskip(SKIP_2) | instid1(VALU_DEP_2)
	v_cmp_lt_u32_e32 vcc_lo, 0xffffff, v103
	v_sub_nc_u32_e32 v101, v128, v129
	v_cndmask_b32_e64 v128, 0, 1, vcc_lo
	v_add_co_ci_u32_e32 v101, vcc_lo, 0, v101, vcc_lo
	s_delay_alu instid0(VALU_DEP_2)
	v_lshrrev_b32_e32 v103, v128, v103
; %bb.1250:                             ;   in Loop: Header=BB2_797 Depth=2
	s_and_not1_saveexec_b32 s11, s11
	s_cbranch_execz .LBB2_794
; %bb.1251:                             ;   in Loop: Header=BB2_797 Depth=2
	s_delay_alu instid0(VALU_DEP_1)
	v_bfe_u32 v101, v103, 23, 1
	s_branch .LBB2_794
.LBB2_1252:                             ;   in Loop: Header=BB2_797 Depth=2
	s_mov_b32 s11, -1
	s_mov_b32 s29, exec_lo
                                        ; implicit-def: $sgpr27
	v_cmpx_eq_u16_e32 0x80, v99
; %bb.1253:                             ;   in Loop: Header=BB2_797 Depth=2
	s_mov_b32 s27, 0x7f800001
	s_xor_b32 s11, exec_lo, -1
; %bb.1254:                             ;   in Loop: Header=BB2_797 Depth=2
	s_or_b32 exec_lo, exec_lo, s29
	s_delay_alu instid0(SALU_CYCLE_1)
	s_and_b32 s11, s11, exec_lo
                                        ; implicit-def: $vgpr99
	s_or_saveexec_b32 s28, s28
	v_mov_b32_e32 v98, s27
	s_xor_b32 exec_lo, exec_lo, s28
	s_cbranch_execz .LBB2_808
.LBB2_1255:                             ;   in Loop: Header=BB2_797 Depth=2
	v_cmp_ne_u16_e32 vcc_lo, 0, v99
	v_mov_b32_e32 v98, 0
	s_and_not1_b32 s11, s11, exec_lo
	s_and_b32 s27, vcc_lo, exec_lo
	s_delay_alu instid0(SALU_CYCLE_1)
	s_or_b32 s11, s11, s27
	s_or_b32 exec_lo, exec_lo, s28
	s_and_saveexec_b32 s27, s11
	s_cbranch_execnz .LBB2_809
	s_branch .LBB2_810
.LBB2_1256:                             ;   in Loop: Header=BB2_797 Depth=2
	s_mov_b32 s11, -1
	s_mov_b32 s29, exec_lo
                                        ; implicit-def: $sgpr27
	v_cmpx_eq_u16_e32 0x80, v99
; %bb.1257:                             ;   in Loop: Header=BB2_797 Depth=2
	s_mov_b32 s27, 0x7f800001
	s_xor_b32 s11, exec_lo, -1
; %bb.1258:                             ;   in Loop: Header=BB2_797 Depth=2
	s_or_b32 exec_lo, exec_lo, s29
	s_delay_alu instid0(SALU_CYCLE_1)
	s_and_b32 s11, s11, exec_lo
	s_or_saveexec_b32 s28, s28
	v_mov_b32_e32 v100, s27
	s_xor_b32 exec_lo, exec_lo, s28
	s_cbranch_execz .LBB2_820
.LBB2_1259:                             ;   in Loop: Header=BB2_797 Depth=2
	v_cmp_ne_u16_e32 vcc_lo, 0, v99
	v_mov_b32_e32 v100, 0
	s_and_not1_b32 s11, s11, exec_lo
	s_and_b32 s27, vcc_lo, exec_lo
	s_delay_alu instid0(SALU_CYCLE_1)
	s_or_b32 s11, s11, s27
	s_or_b32 exec_lo, exec_lo, s28
	s_and_saveexec_b32 s27, s11
	s_cbranch_execnz .LBB2_821
	s_branch .LBB2_822
.LBB2_1260:                             ;   in Loop: Header=BB2_797 Depth=2
	s_mov_b32 s11, -1
	s_mov_b32 s29, exec_lo
                                        ; implicit-def: $sgpr27
	v_cmpx_eq_u16_e32 0x80, v101
; %bb.1261:                             ;   in Loop: Header=BB2_797 Depth=2
	s_mov_b32 s27, 0x7f800001
	s_xor_b32 s11, exec_lo, -1
; %bb.1262:                             ;   in Loop: Header=BB2_797 Depth=2
	s_or_b32 exec_lo, exec_lo, s29
	s_delay_alu instid0(SALU_CYCLE_1)
	s_and_b32 s11, s11, exec_lo
                                        ; implicit-def: $vgpr101
	s_or_saveexec_b32 s28, s28
	v_mov_b32_e32 v100, s27
	s_xor_b32 exec_lo, exec_lo, s28
	s_cbranch_execz .LBB2_832
.LBB2_1263:                             ;   in Loop: Header=BB2_797 Depth=2
	v_cmp_ne_u16_e32 vcc_lo, 0, v101
	v_mov_b32_e32 v100, 0
	s_and_not1_b32 s11, s11, exec_lo
	s_and_b32 s27, vcc_lo, exec_lo
	s_delay_alu instid0(SALU_CYCLE_1)
	s_or_b32 s11, s11, s27
	s_or_b32 exec_lo, exec_lo, s28
	s_and_saveexec_b32 s27, s11
	s_cbranch_execnz .LBB2_833
	s_branch .LBB2_834
.LBB2_1264:                             ;   in Loop: Header=BB2_797 Depth=2
	s_mov_b32 s11, -1
	s_mov_b32 s29, exec_lo
                                        ; implicit-def: $sgpr27
	v_cmpx_eq_u16_e32 0x80, v99
; %bb.1265:                             ;   in Loop: Header=BB2_797 Depth=2
	s_mov_b32 s27, 0x7f800001
	s_xor_b32 s11, exec_lo, -1
; %bb.1266:                             ;   in Loop: Header=BB2_797 Depth=2
	s_or_b32 exec_lo, exec_lo, s29
	s_delay_alu instid0(SALU_CYCLE_1)
	s_and_b32 s11, s11, exec_lo
	s_or_saveexec_b32 s28, s28
	v_mov_b32_e32 v100, s27
	s_xor_b32 exec_lo, exec_lo, s28
	s_cbranch_execz .LBB2_844
.LBB2_1267:                             ;   in Loop: Header=BB2_797 Depth=2
	v_cmp_ne_u16_e32 vcc_lo, 0, v99
	v_mov_b32_e32 v100, 0
	s_and_not1_b32 s11, s11, exec_lo
	s_and_b32 s27, vcc_lo, exec_lo
	s_delay_alu instid0(SALU_CYCLE_1)
	s_or_b32 s11, s11, s27
	s_or_b32 exec_lo, exec_lo, s28
	s_and_saveexec_b32 s27, s11
	s_cbranch_execnz .LBB2_845
	s_branch .LBB2_846
.LBB2_1268:                             ;   in Loop: Header=BB2_797 Depth=2
	s_mov_b32 s11, -1
	s_mov_b32 s29, exec_lo
                                        ; implicit-def: $sgpr27
	v_cmpx_eq_u16_e32 0x80, v99
; %bb.1269:                             ;   in Loop: Header=BB2_797 Depth=2
	s_mov_b32 s27, 0x7f800001
	s_xor_b32 s11, exec_lo, -1
; %bb.1270:                             ;   in Loop: Header=BB2_797 Depth=2
	s_or_b32 exec_lo, exec_lo, s29
	s_delay_alu instid0(SALU_CYCLE_1)
	s_and_b32 s11, s11, exec_lo
                                        ; implicit-def: $vgpr99
	s_or_saveexec_b32 s28, s28
	v_mov_b32_e32 v10, s27
	s_xor_b32 exec_lo, exec_lo, s28
	s_cbranch_execz .LBB2_856
.LBB2_1271:                             ;   in Loop: Header=BB2_797 Depth=2
	v_cmp_ne_u16_e32 vcc_lo, 0, v99
	v_mov_b32_e32 v10, 0
	s_and_not1_b32 s11, s11, exec_lo
	s_and_b32 s27, vcc_lo, exec_lo
	s_delay_alu instid0(SALU_CYCLE_1)
	s_or_b32 s11, s11, s27
	s_or_b32 exec_lo, exec_lo, s28
	s_and_saveexec_b32 s27, s11
	s_cbranch_execnz .LBB2_857
	s_branch .LBB2_858
.LBB2_1272:                             ;   in Loop: Header=BB2_797 Depth=2
	s_mov_b32 s11, -1
	s_mov_b32 s29, exec_lo
                                        ; implicit-def: $sgpr27
	v_cmpx_eq_u16_e32 0x80, v10
; %bb.1273:                             ;   in Loop: Header=BB2_797 Depth=2
	s_mov_b32 s27, 0x7f800001
	s_xor_b32 s11, exec_lo, -1
; %bb.1274:                             ;   in Loop: Header=BB2_797 Depth=2
	s_or_b32 exec_lo, exec_lo, s29
	s_delay_alu instid0(SALU_CYCLE_1)
	s_and_b32 s11, s11, exec_lo
	s_or_saveexec_b32 s28, s28
	v_mov_b32_e32 v99, s27
	s_xor_b32 exec_lo, exec_lo, s28
	s_cbranch_execz .LBB2_868
.LBB2_1275:                             ;   in Loop: Header=BB2_797 Depth=2
	v_cmp_ne_u16_e32 vcc_lo, 0, v10
	v_mov_b32_e32 v99, 0
	s_and_not1_b32 s11, s11, exec_lo
	s_and_b32 s27, vcc_lo, exec_lo
	s_delay_alu instid0(SALU_CYCLE_1)
	s_or_b32 s11, s11, s27
	s_or_b32 exec_lo, exec_lo, s28
	s_and_saveexec_b32 s27, s11
	s_cbranch_execnz .LBB2_869
	s_branch .LBB2_870
.LBB2_1276:                             ;   in Loop: Header=BB2_797 Depth=2
	s_mov_b32 s11, -1
	s_mov_b32 s29, exec_lo
                                        ; implicit-def: $sgpr27
	v_cmpx_eq_u16_e32 0x80, v100
; %bb.1277:                             ;   in Loop: Header=BB2_797 Depth=2
	s_mov_b32 s27, 0x7f800001
	s_xor_b32 s11, exec_lo, -1
; %bb.1278:                             ;   in Loop: Header=BB2_797 Depth=2
	s_or_b32 exec_lo, exec_lo, s29
	s_delay_alu instid0(SALU_CYCLE_1)
	s_and_b32 s11, s11, exec_lo
                                        ; implicit-def: $vgpr100
	s_or_saveexec_b32 s28, s28
	v_mov_b32_e32 v99, s27
	s_xor_b32 exec_lo, exec_lo, s28
	s_cbranch_execz .LBB2_880
.LBB2_1279:                             ;   in Loop: Header=BB2_797 Depth=2
	v_cmp_ne_u16_e32 vcc_lo, 0, v100
	v_mov_b32_e32 v99, 0
	s_and_not1_b32 s11, s11, exec_lo
	s_and_b32 s27, vcc_lo, exec_lo
	s_delay_alu instid0(SALU_CYCLE_1)
	s_or_b32 s11, s11, s27
	s_or_b32 exec_lo, exec_lo, s28
	s_and_saveexec_b32 s27, s11
	s_cbranch_execnz .LBB2_881
	s_branch .LBB2_882
.LBB2_1280:                             ;   in Loop: Header=BB2_797 Depth=2
	s_mov_b32 s11, -1
	s_mov_b32 s29, exec_lo
                                        ; implicit-def: $sgpr27
	v_cmpx_eq_u16_e32 0x80, v10
; %bb.1281:                             ;   in Loop: Header=BB2_797 Depth=2
	s_mov_b32 s27, 0x7f800001
	s_xor_b32 s11, exec_lo, -1
; %bb.1282:                             ;   in Loop: Header=BB2_797 Depth=2
	s_or_b32 exec_lo, exec_lo, s29
	s_delay_alu instid0(SALU_CYCLE_1)
	s_and_b32 s11, s11, exec_lo
	s_or_saveexec_b32 s28, s28
	v_mov_b32_e32 v99, s27
	s_xor_b32 exec_lo, exec_lo, s28
	s_cbranch_execz .LBB2_892
.LBB2_1283:                             ;   in Loop: Header=BB2_797 Depth=2
	v_cmp_ne_u16_e32 vcc_lo, 0, v10
	v_mov_b32_e32 v99, 0
	s_and_not1_b32 s11, s11, exec_lo
	s_and_b32 s27, vcc_lo, exec_lo
	s_delay_alu instid0(SALU_CYCLE_1)
	s_or_b32 s11, s11, s27
	s_or_b32 exec_lo, exec_lo, s28
	s_and_saveexec_b32 s27, s11
	s_cbranch_execnz .LBB2_893
	s_branch .LBB2_894
.LBB2_1284:                             ;   in Loop: Header=BB2_797 Depth=2
	s_mov_b32 s11, -1
	s_mov_b32 s29, exec_lo
                                        ; implicit-def: $sgpr27
	v_cmpx_eq_u16_e32 0x80, v11
; %bb.1285:                             ;   in Loop: Header=BB2_797 Depth=2
	s_mov_b32 s27, 0x7f800001
	s_xor_b32 s11, exec_lo, -1
; %bb.1286:                             ;   in Loop: Header=BB2_797 Depth=2
	s_or_b32 exec_lo, exec_lo, s29
	s_delay_alu instid0(SALU_CYCLE_1)
	s_and_b32 s11, s11, exec_lo
                                        ; implicit-def: $vgpr11
	s_or_saveexec_b32 s28, s28
	v_mov_b32_e32 v10, s27
	s_xor_b32 exec_lo, exec_lo, s28
	s_cbranch_execz .LBB2_904
.LBB2_1287:                             ;   in Loop: Header=BB2_797 Depth=2
	v_cmp_ne_u16_e32 vcc_lo, 0, v11
	v_mov_b32_e32 v10, 0
	s_and_not1_b32 s11, s11, exec_lo
	s_and_b32 s27, vcc_lo, exec_lo
	s_delay_alu instid0(SALU_CYCLE_1)
	s_or_b32 s11, s11, s27
	s_or_b32 exec_lo, exec_lo, s28
	s_and_saveexec_b32 s27, s11
	s_cbranch_execnz .LBB2_905
	s_branch .LBB2_906
.LBB2_1288:                             ;   in Loop: Header=BB2_797 Depth=2
	s_mov_b32 s11, -1
	s_mov_b32 s29, exec_lo
                                        ; implicit-def: $sgpr27
	v_cmpx_eq_u16_e32 0x80, v10
; %bb.1289:                             ;   in Loop: Header=BB2_797 Depth=2
	s_mov_b32 s27, 0x7f800001
	s_xor_b32 s11, exec_lo, -1
; %bb.1290:                             ;   in Loop: Header=BB2_797 Depth=2
	s_or_b32 exec_lo, exec_lo, s29
	s_delay_alu instid0(SALU_CYCLE_1)
	s_and_b32 s11, s11, exec_lo
	s_or_saveexec_b32 s28, s28
	v_mov_b32_e32 v11, s27
	s_xor_b32 exec_lo, exec_lo, s28
	s_cbranch_execz .LBB2_916
.LBB2_1291:                             ;   in Loop: Header=BB2_797 Depth=2
	v_cmp_ne_u16_e32 vcc_lo, 0, v10
	v_mov_b32_e32 v11, 0
	s_and_not1_b32 s11, s11, exec_lo
	s_and_b32 s27, vcc_lo, exec_lo
	s_delay_alu instid0(SALU_CYCLE_1)
	s_or_b32 s11, s11, s27
	s_or_b32 exec_lo, exec_lo, s28
	s_and_saveexec_b32 s27, s11
	s_cbranch_execnz .LBB2_917
	s_branch .LBB2_918
.LBB2_1292:                             ;   in Loop: Header=BB2_797 Depth=2
	s_mov_b32 s11, -1
	s_mov_b32 s29, exec_lo
                                        ; implicit-def: $sgpr27
	v_cmpx_eq_u16_e32 0x80, v99
; %bb.1293:                             ;   in Loop: Header=BB2_797 Depth=2
	s_mov_b32 s27, 0x7f800001
	s_xor_b32 s11, exec_lo, -1
; %bb.1294:                             ;   in Loop: Header=BB2_797 Depth=2
	s_or_b32 exec_lo, exec_lo, s29
	s_delay_alu instid0(SALU_CYCLE_1)
	s_and_b32 s11, s11, exec_lo
                                        ; implicit-def: $vgpr99
	s_or_saveexec_b32 s28, s28
	v_mov_b32_e32 v11, s27
	s_xor_b32 exec_lo, exec_lo, s28
	s_cbranch_execz .LBB2_928
.LBB2_1295:                             ;   in Loop: Header=BB2_797 Depth=2
	v_cmp_ne_u16_e32 vcc_lo, 0, v99
	v_mov_b32_e32 v11, 0
	s_and_not1_b32 s11, s11, exec_lo
	s_and_b32 s27, vcc_lo, exec_lo
	s_delay_alu instid0(SALU_CYCLE_1)
	s_or_b32 s11, s11, s27
	s_or_b32 exec_lo, exec_lo, s28
	s_and_saveexec_b32 s27, s11
	s_cbranch_execnz .LBB2_929
	s_branch .LBB2_930
.LBB2_1296:                             ;   in Loop: Header=BB2_797 Depth=2
	s_mov_b32 s11, -1
	s_mov_b32 s29, exec_lo
                                        ; implicit-def: $sgpr27
	v_cmpx_eq_u16_e32 0x80, v10
; %bb.1297:                             ;   in Loop: Header=BB2_797 Depth=2
	s_mov_b32 s27, 0x7f800001
	s_xor_b32 s11, exec_lo, -1
; %bb.1298:                             ;   in Loop: Header=BB2_797 Depth=2
	s_or_b32 exec_lo, exec_lo, s29
	s_delay_alu instid0(SALU_CYCLE_1)
	s_and_b32 s11, s11, exec_lo
	s_or_saveexec_b32 s28, s28
	v_mov_b32_e32 v11, s27
	s_xor_b32 exec_lo, exec_lo, s28
	s_cbranch_execz .LBB2_940
.LBB2_1299:                             ;   in Loop: Header=BB2_797 Depth=2
	v_cmp_ne_u16_e32 vcc_lo, 0, v10
	v_mov_b32_e32 v11, 0
	s_and_not1_b32 s11, s11, exec_lo
	s_and_b32 s27, vcc_lo, exec_lo
	s_delay_alu instid0(SALU_CYCLE_1)
	s_or_b32 s11, s11, s27
	s_or_b32 exec_lo, exec_lo, s28
	s_and_saveexec_b32 s27, s11
	s_cbranch_execnz .LBB2_941
	s_branch .LBB2_942
.LBB2_1300:                             ;   in Loop: Header=BB2_797 Depth=2
	s_mov_b32 s11, -1
	s_mov_b32 s29, exec_lo
                                        ; implicit-def: $sgpr27
	v_cmpx_eq_u16_e32 0x80, v11
; %bb.1301:                             ;   in Loop: Header=BB2_797 Depth=2
	s_mov_b32 s27, 0x7f800001
	s_xor_b32 s11, exec_lo, -1
; %bb.1302:                             ;   in Loop: Header=BB2_797 Depth=2
	s_or_b32 exec_lo, exec_lo, s29
	s_delay_alu instid0(SALU_CYCLE_1)
	s_and_b32 s11, s11, exec_lo
                                        ; implicit-def: $vgpr11
	s_or_saveexec_b32 s28, s28
	v_mov_b32_e32 v10, s27
	s_xor_b32 exec_lo, exec_lo, s28
	s_cbranch_execz .LBB2_952
.LBB2_1303:                             ;   in Loop: Header=BB2_797 Depth=2
	v_cmp_ne_u16_e32 vcc_lo, 0, v11
	v_mov_b32_e32 v10, 0
	s_and_not1_b32 s11, s11, exec_lo
	s_and_b32 s27, vcc_lo, exec_lo
	s_delay_alu instid0(SALU_CYCLE_1)
	s_or_b32 s11, s11, s27
	s_or_b32 exec_lo, exec_lo, s28
	s_and_saveexec_b32 s27, s11
	s_cbranch_execnz .LBB2_953
	s_branch .LBB2_954
.LBB2_1304:                             ;   in Loop: Header=BB2_797 Depth=2
	s_mov_b32 s11, -1
	s_mov_b32 s29, exec_lo
                                        ; implicit-def: $sgpr27
	v_cmpx_eq_u16_e32 0x80, v10
; %bb.1305:                             ;   in Loop: Header=BB2_797 Depth=2
	s_mov_b32 s27, 0x7f800001
	s_xor_b32 s11, exec_lo, -1
; %bb.1306:                             ;   in Loop: Header=BB2_797 Depth=2
	s_or_b32 exec_lo, exec_lo, s29
	s_delay_alu instid0(SALU_CYCLE_1)
	s_and_b32 s11, s11, exec_lo
	s_or_saveexec_b32 s28, s28
	v_mov_b32_e32 v11, s27
	s_xor_b32 exec_lo, exec_lo, s28
	s_cbranch_execz .LBB2_964
.LBB2_1307:                             ;   in Loop: Header=BB2_797 Depth=2
	v_cmp_ne_u16_e32 vcc_lo, 0, v10
	v_mov_b32_e32 v11, 0
	s_and_not1_b32 s11, s11, exec_lo
	s_and_b32 s27, vcc_lo, exec_lo
	s_delay_alu instid0(SALU_CYCLE_1)
	s_or_b32 s11, s11, s27
	s_or_b32 exec_lo, exec_lo, s28
	s_and_saveexec_b32 s27, s11
	s_cbranch_execnz .LBB2_965
	s_branch .LBB2_966
.LBB2_1308:                             ;   in Loop: Header=BB2_797 Depth=2
	s_mov_b32 s11, -1
	s_mov_b32 s29, exec_lo
                                        ; implicit-def: $sgpr27
	v_cmpx_eq_u16_e32 0x80, v12
; %bb.1309:                             ;   in Loop: Header=BB2_797 Depth=2
	s_mov_b32 s27, 0x7f800001
	s_xor_b32 s11, exec_lo, -1
; %bb.1310:                             ;   in Loop: Header=BB2_797 Depth=2
	s_or_b32 exec_lo, exec_lo, s29
	s_delay_alu instid0(SALU_CYCLE_1)
	s_and_b32 s11, s11, exec_lo
                                        ; implicit-def: $vgpr12
	s_or_saveexec_b32 s28, s28
	v_mov_b32_e32 v11, s27
	s_xor_b32 exec_lo, exec_lo, s28
	s_cbranch_execz .LBB2_976
.LBB2_1311:                             ;   in Loop: Header=BB2_797 Depth=2
	v_cmp_ne_u16_e32 vcc_lo, 0, v12
	v_mov_b32_e32 v11, 0
	s_and_not1_b32 s11, s11, exec_lo
	s_and_b32 s27, vcc_lo, exec_lo
	s_delay_alu instid0(SALU_CYCLE_1)
	s_or_b32 s11, s11, s27
	s_or_b32 exec_lo, exec_lo, s28
	s_and_saveexec_b32 s27, s11
	s_cbranch_execnz .LBB2_977
	s_branch .LBB2_978
.LBB2_1312:                             ;   in Loop: Header=BB2_797 Depth=2
	s_mov_b32 s11, -1
	s_mov_b32 s29, exec_lo
                                        ; implicit-def: $sgpr27
	v_cmpx_eq_u16_e32 0x80, v10
; %bb.1313:                             ;   in Loop: Header=BB2_797 Depth=2
	s_mov_b32 s27, 0x7f800001
	s_xor_b32 s11, exec_lo, -1
; %bb.1314:                             ;   in Loop: Header=BB2_797 Depth=2
	s_or_b32 exec_lo, exec_lo, s29
	s_delay_alu instid0(SALU_CYCLE_1)
	s_and_b32 s11, s11, exec_lo
	s_or_saveexec_b32 s28, s28
	v_mov_b32_e32 v11, s27
	s_xor_b32 exec_lo, exec_lo, s28
	s_cbranch_execz .LBB2_988
.LBB2_1315:                             ;   in Loop: Header=BB2_797 Depth=2
	v_cmp_ne_u16_e32 vcc_lo, 0, v10
	v_mov_b32_e32 v11, 0
	s_and_not1_b32 s11, s11, exec_lo
	s_and_b32 s27, vcc_lo, exec_lo
	s_delay_alu instid0(SALU_CYCLE_1)
	s_or_b32 s11, s11, s27
	s_or_b32 exec_lo, exec_lo, s28
	s_and_saveexec_b32 s27, s11
	s_cbranch_execnz .LBB2_989
	s_branch .LBB2_990
.LBB2_1316:                             ;   in Loop: Header=BB2_797 Depth=2
	s_mov_b32 s11, -1
	s_mov_b32 s28, exec_lo
                                        ; implicit-def: $sgpr26
	v_cmpx_eq_u16_e64 0x80, v131
; %bb.1317:                             ;   in Loop: Header=BB2_797 Depth=2
	s_mov_b32 s26, 0x7f800001
	s_xor_b32 s11, exec_lo, -1
; %bb.1318:                             ;   in Loop: Header=BB2_797 Depth=2
	s_or_b32 exec_lo, exec_lo, s28
	s_delay_alu instid0(SALU_CYCLE_1)
	s_and_b32 s11, s11, exec_lo
                                        ; implicit-def: $vgpr131
	s_or_saveexec_b32 s27, s27
	v_mov_b32_e32 v130, s26
	s_xor_b32 exec_lo, exec_lo, s27
	s_cbranch_execz .LBB2_1000
.LBB2_1319:                             ;   in Loop: Header=BB2_797 Depth=2
	v_cmp_ne_u16_e64 vcc_lo, 0, v131
	v_mov_b32_e32 v130, 0
	s_and_not1_b32 s11, s11, exec_lo
	s_delay_alu instid0(VALU_DEP_2) | instskip(NEXT) | instid1(SALU_CYCLE_1)
	s_and_b32 s26, vcc_lo, exec_lo
	s_or_b32 s11, s11, s26
	s_or_b32 exec_lo, exec_lo, s27
	s_and_saveexec_b32 s26, s11
	s_cbranch_execnz .LBB2_1001
	s_branch .LBB2_1002
.LBB2_1320:                             ;   in Loop: Header=BB2_797 Depth=2
	s_mov_b32 s11, -1
	s_mov_b32 s28, exec_lo
                                        ; implicit-def: $sgpr26
	v_cmpx_eq_u16_e64 0x80, v131
; %bb.1321:                             ;   in Loop: Header=BB2_797 Depth=2
	s_mov_b32 s26, 0x7f800001
	s_xor_b32 s11, exec_lo, -1
; %bb.1322:                             ;   in Loop: Header=BB2_797 Depth=2
	s_or_b32 exec_lo, exec_lo, s28
	s_delay_alu instid0(SALU_CYCLE_1)
	s_and_b32 s11, s11, exec_lo
                                        ; implicit-def: $vgpr131
	s_or_saveexec_b32 s27, s27
	v_mov_b32_e32 v98, s26
	s_xor_b32 exec_lo, exec_lo, s27
	s_cbranch_execz .LBB2_1004
.LBB2_1323:                             ;   in Loop: Header=BB2_797 Depth=2
	v_cmp_ne_u16_e64 vcc_lo, 0, v131
	v_mov_b32_e32 v98, 0
	s_and_not1_b32 s11, s11, exec_lo
	s_delay_alu instid0(VALU_DEP_2) | instskip(NEXT) | instid1(SALU_CYCLE_1)
	s_and_b32 s26, vcc_lo, exec_lo
	s_or_b32 s11, s11, s26
	s_or_b32 exec_lo, exec_lo, s27
	s_and_saveexec_b32 s26, s11
	s_cbranch_execnz .LBB2_1005
	s_branch .LBB2_1006
.LBB2_1324:                             ;   in Loop: Header=BB2_797 Depth=2
	s_mov_b32 s11, -1
	s_mov_b32 s28, exec_lo
                                        ; implicit-def: $sgpr26
	v_cmpx_eq_u16_e64 0x80, v131
; %bb.1325:                             ;   in Loop: Header=BB2_797 Depth=2
	s_mov_b32 s26, 0x7f800001
	s_xor_b32 s11, exec_lo, -1
; %bb.1326:                             ;   in Loop: Header=BB2_797 Depth=2
	s_or_b32 exec_lo, exec_lo, s28
	s_delay_alu instid0(SALU_CYCLE_1)
	s_and_b32 s11, s11, exec_lo
                                        ; implicit-def: $vgpr131
	s_or_saveexec_b32 s27, s27
	v_mov_b32_e32 v130, s26
	s_xor_b32 exec_lo, exec_lo, s27
	s_cbranch_execz .LBB2_1016
.LBB2_1327:                             ;   in Loop: Header=BB2_797 Depth=2
	v_cmp_ne_u16_e64 vcc_lo, 0, v131
	v_mov_b32_e32 v130, 0
	s_and_not1_b32 s11, s11, exec_lo
	s_delay_alu instid0(VALU_DEP_2) | instskip(NEXT) | instid1(SALU_CYCLE_1)
	s_and_b32 s26, vcc_lo, exec_lo
	s_or_b32 s11, s11, s26
	s_or_b32 exec_lo, exec_lo, s27
	s_and_saveexec_b32 s26, s11
	s_cbranch_execnz .LBB2_1017
	s_branch .LBB2_1018
.LBB2_1328:                             ;   in Loop: Header=BB2_797 Depth=2
	s_mov_b32 s11, -1
	s_mov_b32 s28, exec_lo
                                        ; implicit-def: $sgpr26
	v_cmpx_eq_u16_e32 0x80, v102
; %bb.1329:                             ;   in Loop: Header=BB2_797 Depth=2
	s_mov_b32 s26, 0x7f800001
	s_xor_b32 s11, exec_lo, -1
; %bb.1330:                             ;   in Loop: Header=BB2_797 Depth=2
	s_or_b32 exec_lo, exec_lo, s28
	s_delay_alu instid0(SALU_CYCLE_1)
	s_and_b32 s11, s11, exec_lo
	s_or_saveexec_b32 s27, s27
	v_mov_b32_e32 v131, s26
	s_xor_b32 exec_lo, exec_lo, s27
	s_cbranch_execz .LBB2_1020
.LBB2_1331:                             ;   in Loop: Header=BB2_797 Depth=2
	v_cmp_ne_u16_e32 vcc_lo, 0, v102
	v_mov_b32_e32 v131, 0
	s_and_not1_b32 s11, s11, exec_lo
	s_and_b32 s26, vcc_lo, exec_lo
	s_delay_alu instid0(SALU_CYCLE_1)
	s_or_b32 s11, s11, s26
	s_or_b32 exec_lo, exec_lo, s27
	s_and_saveexec_b32 s26, s11
	s_cbranch_execnz .LBB2_1021
	s_branch .LBB2_1022
.LBB2_1332:                             ;   in Loop: Header=BB2_797 Depth=2
	s_mov_b32 s11, -1
	s_mov_b32 s28, exec_lo
                                        ; implicit-def: $sgpr26
	v_cmpx_eq_u16_e64 0x80, v131
; %bb.1333:                             ;   in Loop: Header=BB2_797 Depth=2
	s_mov_b32 s26, 0x7f800001
	s_xor_b32 s11, exec_lo, -1
; %bb.1334:                             ;   in Loop: Header=BB2_797 Depth=2
	s_or_b32 exec_lo, exec_lo, s28
	s_delay_alu instid0(SALU_CYCLE_1)
	s_and_b32 s11, s11, exec_lo
                                        ; implicit-def: $vgpr131
	s_or_saveexec_b32 s27, s27
	v_mov_b32_e32 v130, s26
	s_xor_b32 exec_lo, exec_lo, s27
	s_cbranch_execz .LBB2_1032
.LBB2_1335:                             ;   in Loop: Header=BB2_797 Depth=2
	v_cmp_ne_u16_e64 vcc_lo, 0, v131
	v_mov_b32_e32 v130, 0
	s_and_not1_b32 s11, s11, exec_lo
	s_delay_alu instid0(VALU_DEP_2) | instskip(NEXT) | instid1(SALU_CYCLE_1)
	s_and_b32 s26, vcc_lo, exec_lo
	s_or_b32 s11, s11, s26
	s_or_b32 exec_lo, exec_lo, s27
	s_and_saveexec_b32 s26, s11
	s_cbranch_execnz .LBB2_1033
	s_branch .LBB2_1034
.LBB2_1336:                             ;   in Loop: Header=BB2_797 Depth=2
	s_mov_b32 s11, -1
	s_mov_b32 s28, exec_lo
                                        ; implicit-def: $sgpr26
	v_cmpx_eq_u16_e64 0x80, v132
; %bb.1337:                             ;   in Loop: Header=BB2_797 Depth=2
	s_mov_b32 s26, 0x7f800001
	s_xor_b32 s11, exec_lo, -1
; %bb.1338:                             ;   in Loop: Header=BB2_797 Depth=2
	s_or_b32 exec_lo, exec_lo, s28
	s_delay_alu instid0(SALU_CYCLE_1)
	s_and_b32 s11, s11, exec_lo
                                        ; implicit-def: $vgpr132
	s_or_saveexec_b32 s27, s27
	v_mov_b32_e32 v131, s26
	s_xor_b32 exec_lo, exec_lo, s27
	s_cbranch_execz .LBB2_1036
.LBB2_1339:                             ;   in Loop: Header=BB2_797 Depth=2
	v_cmp_ne_u16_e64 vcc_lo, 0, v132
	v_mov_b32_e32 v131, 0
	s_and_not1_b32 s11, s11, exec_lo
	s_delay_alu instid0(VALU_DEP_2) | instskip(NEXT) | instid1(SALU_CYCLE_1)
	s_and_b32 s26, vcc_lo, exec_lo
	s_or_b32 s11, s11, s26
	s_or_b32 exec_lo, exec_lo, s27
	s_and_saveexec_b32 s26, s11
	s_cbranch_execnz .LBB2_1037
	s_branch .LBB2_1038
.LBB2_1340:                             ;   in Loop: Header=BB2_797 Depth=2
	s_mov_b32 s11, -1
	s_mov_b32 s28, exec_lo
                                        ; implicit-def: $sgpr26
	v_cmpx_eq_u16_e64 0x80, v131
; %bb.1341:                             ;   in Loop: Header=BB2_797 Depth=2
	s_mov_b32 s26, 0x7f800001
	s_xor_b32 s11, exec_lo, -1
; %bb.1342:                             ;   in Loop: Header=BB2_797 Depth=2
	s_or_b32 exec_lo, exec_lo, s28
	s_delay_alu instid0(SALU_CYCLE_1)
	s_and_b32 s11, s11, exec_lo
	s_or_saveexec_b32 s27, s27
	v_mov_b32_e32 v130, s26
	s_xor_b32 exec_lo, exec_lo, s27
	s_cbranch_execz .LBB2_1048
.LBB2_1343:                             ;   in Loop: Header=BB2_797 Depth=2
	v_cmp_ne_u16_e64 vcc_lo, 0, v131
	v_mov_b32_e32 v130, 0
	s_and_not1_b32 s11, s11, exec_lo
	s_delay_alu instid0(VALU_DEP_2) | instskip(NEXT) | instid1(SALU_CYCLE_1)
	s_and_b32 s26, vcc_lo, exec_lo
	s_or_b32 s11, s11, s26
	s_or_b32 exec_lo, exec_lo, s27
	s_and_saveexec_b32 s26, s11
	s_cbranch_execnz .LBB2_1049
	s_branch .LBB2_1050
.LBB2_1344:                             ;   in Loop: Header=BB2_797 Depth=2
	s_mov_b32 s11, -1
	s_mov_b32 s28, exec_lo
                                        ; implicit-def: $sgpr26
	v_cmpx_eq_u16_e32 0x80, v119
; %bb.1345:                             ;   in Loop: Header=BB2_797 Depth=2
	s_mov_b32 s26, 0x7f800001
	s_xor_b32 s11, exec_lo, -1
; %bb.1346:                             ;   in Loop: Header=BB2_797 Depth=2
	s_or_b32 exec_lo, exec_lo, s28
	s_delay_alu instid0(SALU_CYCLE_1)
	s_and_b32 s11, s11, exec_lo
	s_or_saveexec_b32 s27, s27
	v_mov_b32_e32 v131, s26
	s_xor_b32 exec_lo, exec_lo, s27
	s_cbranch_execz .LBB2_1052
.LBB2_1347:                             ;   in Loop: Header=BB2_797 Depth=2
	v_cmp_ne_u16_e32 vcc_lo, 0, v119
	v_mov_b32_e32 v131, 0
	s_and_not1_b32 s11, s11, exec_lo
	s_and_b32 s26, vcc_lo, exec_lo
	s_delay_alu instid0(SALU_CYCLE_1)
	s_or_b32 s11, s11, s26
	s_or_b32 exec_lo, exec_lo, s27
	s_and_saveexec_b32 s26, s11
	s_cbranch_execnz .LBB2_1053
	s_branch .LBB2_1054
.LBB2_1348:                             ;   in Loop: Header=BB2_797 Depth=2
	s_mov_b32 s11, -1
	s_mov_b32 s28, exec_lo
                                        ; implicit-def: $sgpr26
	v_cmpx_eq_u16_e32 0x80, v119
; %bb.1349:                             ;   in Loop: Header=BB2_797 Depth=2
	s_mov_b32 s26, 0x7f800001
	s_xor_b32 s11, exec_lo, -1
; %bb.1350:                             ;   in Loop: Header=BB2_797 Depth=2
	s_or_b32 exec_lo, exec_lo, s28
	s_delay_alu instid0(SALU_CYCLE_1)
	s_and_b32 s11, s11, exec_lo
                                        ; implicit-def: $vgpr119
	s_or_saveexec_b32 s27, s27
	v_mov_b32_e32 v118, s26
	s_xor_b32 exec_lo, exec_lo, s27
	s_cbranch_execz .LBB2_1064
.LBB2_1351:                             ;   in Loop: Header=BB2_797 Depth=2
	v_cmp_ne_u16_e32 vcc_lo, 0, v119
	v_mov_b32_e32 v118, 0
	s_and_not1_b32 s11, s11, exec_lo
	s_and_b32 s26, vcc_lo, exec_lo
	s_delay_alu instid0(SALU_CYCLE_1)
	s_or_b32 s11, s11, s26
	s_or_b32 exec_lo, exec_lo, s27
	s_and_saveexec_b32 s26, s11
	s_cbranch_execnz .LBB2_1065
	s_branch .LBB2_1066
.LBB2_1352:                             ;   in Loop: Header=BB2_797 Depth=2
	s_mov_b32 s11, -1
	s_mov_b32 s28, exec_lo
                                        ; implicit-def: $sgpr26
	v_cmpx_eq_u16_e64 0x80, v130
; %bb.1353:                             ;   in Loop: Header=BB2_797 Depth=2
	s_mov_b32 s26, 0x7f800001
	s_xor_b32 s11, exec_lo, -1
; %bb.1354:                             ;   in Loop: Header=BB2_797 Depth=2
	s_or_b32 exec_lo, exec_lo, s28
	s_delay_alu instid0(SALU_CYCLE_1)
	s_and_b32 s11, s11, exec_lo
                                        ; implicit-def: $vgpr130
	s_or_saveexec_b32 s27, s27
	v_mov_b32_e32 v119, s26
	s_xor_b32 exec_lo, exec_lo, s27
	s_cbranch_execz .LBB2_1068
.LBB2_1355:                             ;   in Loop: Header=BB2_797 Depth=2
	v_cmp_ne_u16_e64 vcc_lo, 0, v130
	v_mov_b32_e32 v119, 0
	s_and_not1_b32 s11, s11, exec_lo
	s_delay_alu instid0(VALU_DEP_2) | instskip(NEXT) | instid1(SALU_CYCLE_1)
	s_and_b32 s26, vcc_lo, exec_lo
	s_or_b32 s11, s11, s26
	s_or_b32 exec_lo, exec_lo, s27
	s_and_saveexec_b32 s26, s11
	s_cbranch_execnz .LBB2_1069
	s_branch .LBB2_1070
.LBB2_1356:                             ;   in Loop: Header=BB2_797 Depth=2
	s_mov_b32 s11, -1
	s_mov_b32 s28, exec_lo
                                        ; implicit-def: $sgpr26
	v_cmpx_eq_u16_e64 0x80, v130
; %bb.1357:                             ;   in Loop: Header=BB2_797 Depth=2
	s_mov_b32 s26, 0x7f800001
	s_xor_b32 s11, exec_lo, -1
; %bb.1358:                             ;   in Loop: Header=BB2_797 Depth=2
	s_or_b32 exec_lo, exec_lo, s28
	s_delay_alu instid0(SALU_CYCLE_1)
	s_and_b32 s11, s11, exec_lo
	s_or_saveexec_b32 s27, s27
	v_mov_b32_e32 v119, s26
	s_xor_b32 exec_lo, exec_lo, s27
	s_cbranch_execz .LBB2_1080
.LBB2_1359:                             ;   in Loop: Header=BB2_797 Depth=2
	v_cmp_ne_u16_e64 vcc_lo, 0, v130
	v_mov_b32_e32 v119, 0
	s_and_not1_b32 s11, s11, exec_lo
	s_delay_alu instid0(VALU_DEP_2) | instskip(NEXT) | instid1(SALU_CYCLE_1)
	s_and_b32 s26, vcc_lo, exec_lo
	s_or_b32 s11, s11, s26
	s_or_b32 exec_lo, exec_lo, s27
	s_and_saveexec_b32 s26, s11
	s_cbranch_execnz .LBB2_1081
	s_branch .LBB2_1082
.LBB2_1360:                             ;   in Loop: Header=BB2_797 Depth=2
	s_mov_b32 s11, -1
	s_mov_b32 s28, exec_lo
                                        ; implicit-def: $sgpr26
	v_cmpx_eq_u16_e64 0x80, v130
; %bb.1361:                             ;   in Loop: Header=BB2_797 Depth=2
	s_mov_b32 s26, 0x7f800001
	s_xor_b32 s11, exec_lo, -1
; %bb.1362:                             ;   in Loop: Header=BB2_797 Depth=2
	s_or_b32 exec_lo, exec_lo, s28
	s_delay_alu instid0(SALU_CYCLE_1)
	s_and_b32 s11, s11, exec_lo
	s_or_saveexec_b32 s27, s27
	v_mov_b32_e32 v131, s26
	s_xor_b32 exec_lo, exec_lo, s27
	s_cbranch_execz .LBB2_1084
.LBB2_1363:                             ;   in Loop: Header=BB2_797 Depth=2
	v_cmp_ne_u16_e64 vcc_lo, 0, v130
	v_mov_b32_e32 v131, 0
	s_and_not1_b32 s11, s11, exec_lo
	s_delay_alu instid0(VALU_DEP_2) | instskip(NEXT) | instid1(SALU_CYCLE_1)
	s_and_b32 s26, vcc_lo, exec_lo
	s_or_b32 s11, s11, s26
	s_or_b32 exec_lo, exec_lo, s27
	s_and_saveexec_b32 s26, s11
	s_cbranch_execnz .LBB2_1085
	s_branch .LBB2_1086
.LBB2_1364:                             ;   in Loop: Header=BB2_797 Depth=2
	s_mov_b32 s11, -1
	s_mov_b32 s28, exec_lo
                                        ; implicit-def: $sgpr26
	v_cmpx_eq_u16_e64 0x80, v130
; %bb.1365:                             ;   in Loop: Header=BB2_797 Depth=2
	s_mov_b32 s26, 0x7f800001
	s_xor_b32 s11, exec_lo, -1
; %bb.1366:                             ;   in Loop: Header=BB2_797 Depth=2
	s_or_b32 exec_lo, exec_lo, s28
	s_delay_alu instid0(SALU_CYCLE_1)
	s_and_b32 s11, s11, exec_lo
                                        ; implicit-def: $vgpr130
	s_or_saveexec_b32 s27, s27
	v_mov_b32_e32 v117, s26
	s_xor_b32 exec_lo, exec_lo, s27
	s_cbranch_execz .LBB2_1096
.LBB2_1367:                             ;   in Loop: Header=BB2_797 Depth=2
	v_cmp_ne_u16_e64 vcc_lo, 0, v130
	v_mov_b32_e32 v117, 0
	s_and_not1_b32 s11, s11, exec_lo
	s_delay_alu instid0(VALU_DEP_2) | instskip(NEXT) | instid1(SALU_CYCLE_1)
	s_and_b32 s26, vcc_lo, exec_lo
	s_or_b32 s11, s11, s26
	s_or_b32 exec_lo, exec_lo, s27
	v_lshl_or_b32 v128, v128, 16, v129
	s_and_saveexec_b32 s26, s11
	s_cbranch_execnz .LBB2_1097
	s_branch .LBB2_1098
.LBB2_1368:                             ;   in Loop: Header=BB2_797 Depth=2
	s_mov_b32 s11, -1
	s_mov_b32 s28, exec_lo
                                        ; implicit-def: $sgpr26
	v_cmpx_eq_u16_e64 0x80, v131
; %bb.1369:                             ;   in Loop: Header=BB2_797 Depth=2
	s_mov_b32 s26, 0x7f800001
	s_xor_b32 s11, exec_lo, -1
; %bb.1370:                             ;   in Loop: Header=BB2_797 Depth=2
	s_or_b32 exec_lo, exec_lo, s28
	s_delay_alu instid0(SALU_CYCLE_1)
	s_and_b32 s11, s11, exec_lo
                                        ; implicit-def: $vgpr131
	s_or_saveexec_b32 s27, s27
	v_mov_b32_e32 v130, s26
	s_xor_b32 exec_lo, exec_lo, s27
	s_cbranch_execz .LBB2_1100
.LBB2_1371:                             ;   in Loop: Header=BB2_797 Depth=2
	v_cmp_ne_u16_e64 vcc_lo, 0, v131
	v_mov_b32_e32 v130, 0
	s_and_not1_b32 s11, s11, exec_lo
	s_delay_alu instid0(VALU_DEP_2) | instskip(NEXT) | instid1(SALU_CYCLE_1)
	s_and_b32 s26, vcc_lo, exec_lo
	s_or_b32 s11, s11, s26
	s_or_b32 exec_lo, exec_lo, s27
	s_and_saveexec_b32 s26, s11
	s_cbranch_execnz .LBB2_1101
	s_branch .LBB2_1102
.LBB2_1372:                             ;   in Loop: Header=BB2_797 Depth=2
	s_mov_b32 s11, -1
	s_mov_b32 s28, exec_lo
                                        ; implicit-def: $sgpr26
	v_cmpx_eq_u16_e64 0x80, v130
; %bb.1373:                             ;   in Loop: Header=BB2_797 Depth=2
	s_mov_b32 s26, 0x7f800001
	s_xor_b32 s11, exec_lo, -1
; %bb.1374:                             ;   in Loop: Header=BB2_797 Depth=2
	s_or_b32 exec_lo, exec_lo, s28
	s_delay_alu instid0(SALU_CYCLE_1)
	s_and_b32 s11, s11, exec_lo
	s_or_saveexec_b32 s27, s27
	v_mov_b32_e32 v129, s26
	s_xor_b32 exec_lo, exec_lo, s27
	s_cbranch_execz .LBB2_1112
.LBB2_1375:                             ;   in Loop: Header=BB2_797 Depth=2
	v_cmp_ne_u16_e64 vcc_lo, 0, v130
	v_mov_b32_e32 v129, 0
	s_and_not1_b32 s11, s11, exec_lo
	s_delay_alu instid0(VALU_DEP_2) | instskip(NEXT) | instid1(SALU_CYCLE_1)
	s_and_b32 s26, vcc_lo, exec_lo
	s_or_b32 s11, s11, s26
	s_or_b32 exec_lo, exec_lo, s27
	s_and_saveexec_b32 s26, s11
	s_cbranch_execnz .LBB2_1113
	s_branch .LBB2_1114
.LBB2_1376:                             ;   in Loop: Header=BB2_797 Depth=2
	s_mov_b32 s11, -1
	s_mov_b32 s28, exec_lo
                                        ; implicit-def: $sgpr26
	v_cmpx_eq_u16_e64 0x80, v128
; %bb.1377:                             ;   in Loop: Header=BB2_797 Depth=2
	s_mov_b32 s26, 0x7f800001
	s_xor_b32 s11, exec_lo, -1
; %bb.1378:                             ;   in Loop: Header=BB2_797 Depth=2
	s_or_b32 exec_lo, exec_lo, s28
	s_delay_alu instid0(SALU_CYCLE_1)
	s_and_b32 s11, s11, exec_lo
	s_or_saveexec_b32 s27, s27
	v_mov_b32_e32 v130, s26
	s_xor_b32 exec_lo, exec_lo, s27
	s_cbranch_execz .LBB2_1116
.LBB2_1379:                             ;   in Loop: Header=BB2_797 Depth=2
	v_cmp_ne_u16_e64 vcc_lo, 0, v128
	v_mov_b32_e32 v130, 0
	s_and_not1_b32 s11, s11, exec_lo
	s_delay_alu instid0(VALU_DEP_2) | instskip(NEXT) | instid1(SALU_CYCLE_1)
	s_and_b32 s26, vcc_lo, exec_lo
	s_or_b32 s11, s11, s26
	s_or_b32 exec_lo, exec_lo, s27
	s_and_saveexec_b32 s26, s11
	s_cbranch_execnz .LBB2_1117
	s_branch .LBB2_1118
.LBB2_1380:                             ;   in Loop: Header=BB2_797 Depth=2
	s_mov_b32 s11, -1
	s_mov_b32 s28, exec_lo
                                        ; implicit-def: $sgpr26
	v_cmpx_eq_u16_e64 0x80, v129
; %bb.1381:                             ;   in Loop: Header=BB2_797 Depth=2
	s_mov_b32 s26, 0x7f800001
	s_xor_b32 s11, exec_lo, -1
; %bb.1382:                             ;   in Loop: Header=BB2_797 Depth=2
	s_or_b32 exec_lo, exec_lo, s28
	s_delay_alu instid0(SALU_CYCLE_1)
	s_and_b32 s11, s11, exec_lo
                                        ; implicit-def: $vgpr129
	s_or_saveexec_b32 s27, s27
	v_mov_b32_e32 v128, s26
	s_xor_b32 exec_lo, exec_lo, s27
	s_cbranch_execz .LBB2_1128
.LBB2_1383:                             ;   in Loop: Header=BB2_797 Depth=2
	v_cmp_ne_u16_e64 vcc_lo, 0, v129
	v_mov_b32_e32 v128, 0
	s_and_not1_b32 s11, s11, exec_lo
	s_delay_alu instid0(VALU_DEP_2) | instskip(NEXT) | instid1(SALU_CYCLE_1)
	s_and_b32 s26, vcc_lo, exec_lo
	s_or_b32 s11, s11, s26
	s_or_b32 exec_lo, exec_lo, s27
	s_and_saveexec_b32 s26, s11
	s_cbranch_execnz .LBB2_1129
	s_branch .LBB2_1130
.LBB2_1384:                             ;   in Loop: Header=BB2_797 Depth=2
	s_mov_b32 s11, -1
	s_mov_b32 s28, exec_lo
                                        ; implicit-def: $sgpr26
	v_cmpx_eq_u16_e64 0x80, v129
; %bb.1385:                             ;   in Loop: Header=BB2_797 Depth=2
	s_mov_b32 s26, 0x7f800001
	s_xor_b32 s11, exec_lo, -1
; %bb.1386:                             ;   in Loop: Header=BB2_797 Depth=2
	s_or_b32 exec_lo, exec_lo, s28
	s_delay_alu instid0(SALU_CYCLE_1)
	s_and_b32 s11, s11, exec_lo
                                        ; implicit-def: $vgpr129
	s_or_saveexec_b32 s27, s27
	v_mov_b32_e32 v115, s26
	s_xor_b32 exec_lo, exec_lo, s27
	s_cbranch_execz .LBB2_1132
.LBB2_1387:                             ;   in Loop: Header=BB2_797 Depth=2
	v_cmp_ne_u16_e64 vcc_lo, 0, v129
	v_mov_b32_e32 v115, 0
	s_and_not1_b32 s11, s11, exec_lo
	s_delay_alu instid0(VALU_DEP_2) | instskip(NEXT) | instid1(SALU_CYCLE_1)
	s_and_b32 s26, vcc_lo, exec_lo
	s_or_b32 s11, s11, s26
	s_or_b32 exec_lo, exec_lo, s27
	s_and_saveexec_b32 s26, s11
	s_cbranch_execnz .LBB2_1133
	s_branch .LBB2_1134
.LBB2_1388:                             ;   in Loop: Header=BB2_797 Depth=2
	s_mov_b32 s11, -1
	s_mov_b32 s28, exec_lo
                                        ; implicit-def: $sgpr26
	v_cmpx_eq_u16_e64 0x80, v129
; %bb.1389:                             ;   in Loop: Header=BB2_797 Depth=2
	s_mov_b32 s26, 0x7f800001
	s_xor_b32 s11, exec_lo, -1
; %bb.1390:                             ;   in Loop: Header=BB2_797 Depth=2
	s_or_b32 exec_lo, exec_lo, s28
	s_delay_alu instid0(SALU_CYCLE_1)
	s_and_b32 s11, s11, exec_lo
                                        ; implicit-def: $vgpr129
	s_or_saveexec_b32 s27, s27
	v_mov_b32_e32 v128, s26
	s_xor_b32 exec_lo, exec_lo, s27
	s_cbranch_execz .LBB2_1144
.LBB2_1391:                             ;   in Loop: Header=BB2_797 Depth=2
	v_cmp_ne_u16_e64 vcc_lo, 0, v129
	v_mov_b32_e32 v128, 0
	s_and_not1_b32 s11, s11, exec_lo
	s_delay_alu instid0(VALU_DEP_2) | instskip(NEXT) | instid1(SALU_CYCLE_1)
	s_and_b32 s26, vcc_lo, exec_lo
	s_or_b32 s11, s11, s26
	s_or_b32 exec_lo, exec_lo, s27
	s_and_saveexec_b32 s26, s11
	s_cbranch_execnz .LBB2_1145
	s_branch .LBB2_1146
.LBB2_1392:                             ;   in Loop: Header=BB2_797 Depth=2
	s_mov_b32 s11, -1
	s_mov_b32 s28, exec_lo
                                        ; implicit-def: $sgpr26
	v_cmpx_eq_u16_e32 0x80, v113
; %bb.1393:                             ;   in Loop: Header=BB2_797 Depth=2
	s_mov_b32 s26, 0x7f800001
	s_xor_b32 s11, exec_lo, -1
; %bb.1394:                             ;   in Loop: Header=BB2_797 Depth=2
	s_or_b32 exec_lo, exec_lo, s28
	s_delay_alu instid0(SALU_CYCLE_1)
	s_and_b32 s11, s11, exec_lo
	s_or_saveexec_b32 s27, s27
	v_mov_b32_e32 v129, s26
	s_xor_b32 exec_lo, exec_lo, s27
	s_cbranch_execz .LBB2_1148
.LBB2_1395:                             ;   in Loop: Header=BB2_797 Depth=2
	v_cmp_ne_u16_e32 vcc_lo, 0, v113
	v_mov_b32_e32 v129, 0
	s_and_not1_b32 s11, s11, exec_lo
	s_and_b32 s26, vcc_lo, exec_lo
	s_delay_alu instid0(SALU_CYCLE_1)
	s_or_b32 s11, s11, s26
	s_or_b32 exec_lo, exec_lo, s27
	s_and_saveexec_b32 s26, s11
	s_cbranch_execnz .LBB2_1149
	s_branch .LBB2_1150
.LBB2_1396:                             ;   in Loop: Header=BB2_797 Depth=2
	s_mov_b32 s11, -1
	s_mov_b32 s28, exec_lo
                                        ; implicit-def: $sgpr26
	v_cmpx_eq_u16_e64 0x80, v129
; %bb.1397:                             ;   in Loop: Header=BB2_797 Depth=2
	s_mov_b32 s26, 0x7f800001
	s_xor_b32 s11, exec_lo, -1
; %bb.1398:                             ;   in Loop: Header=BB2_797 Depth=2
	s_or_b32 exec_lo, exec_lo, s28
	s_delay_alu instid0(SALU_CYCLE_1)
	s_and_b32 s11, s11, exec_lo
                                        ; implicit-def: $vgpr129
	s_or_saveexec_b32 s27, s27
	v_mov_b32_e32 v128, s26
	s_xor_b32 exec_lo, exec_lo, s27
	s_cbranch_execz .LBB2_1160
.LBB2_1399:                             ;   in Loop: Header=BB2_797 Depth=2
	v_cmp_ne_u16_e64 vcc_lo, 0, v129
	v_mov_b32_e32 v128, 0
	s_and_not1_b32 s11, s11, exec_lo
	s_delay_alu instid0(VALU_DEP_2) | instskip(NEXT) | instid1(SALU_CYCLE_1)
	s_and_b32 s26, vcc_lo, exec_lo
	s_or_b32 s11, s11, s26
	s_or_b32 exec_lo, exec_lo, s27
	s_and_saveexec_b32 s26, s11
	s_cbranch_execnz .LBB2_1161
	s_branch .LBB2_1162
.LBB2_1400:                             ;   in Loop: Header=BB2_797 Depth=2
	s_mov_b32 s11, -1
	s_mov_b32 s28, exec_lo
                                        ; implicit-def: $sgpr26
	v_cmpx_eq_u16_e64 0x80, v130
; %bb.1401:                             ;   in Loop: Header=BB2_797 Depth=2
	s_mov_b32 s26, 0x7f800001
	s_xor_b32 s11, exec_lo, -1
; %bb.1402:                             ;   in Loop: Header=BB2_797 Depth=2
	s_or_b32 exec_lo, exec_lo, s28
	s_delay_alu instid0(SALU_CYCLE_1)
	s_and_b32 s11, s11, exec_lo
                                        ; implicit-def: $vgpr130
	s_or_saveexec_b32 s27, s27
	v_mov_b32_e32 v129, s26
	s_xor_b32 exec_lo, exec_lo, s27
	s_cbranch_execz .LBB2_1164
.LBB2_1403:                             ;   in Loop: Header=BB2_797 Depth=2
	v_cmp_ne_u16_e64 vcc_lo, 0, v130
	v_mov_b32_e32 v129, 0
	s_and_not1_b32 s11, s11, exec_lo
	s_delay_alu instid0(VALU_DEP_2) | instskip(NEXT) | instid1(SALU_CYCLE_1)
	s_and_b32 s26, vcc_lo, exec_lo
	s_or_b32 s11, s11, s26
	s_or_b32 exec_lo, exec_lo, s27
	s_and_saveexec_b32 s26, s11
	s_cbranch_execnz .LBB2_1165
	s_branch .LBB2_1166
.LBB2_1404:                             ;   in Loop: Header=BB2_797 Depth=2
	s_mov_b32 s11, -1
	s_mov_b32 s28, exec_lo
                                        ; implicit-def: $sgpr26
	v_cmpx_eq_u16_e64 0x80, v129
; %bb.1405:                             ;   in Loop: Header=BB2_797 Depth=2
	s_mov_b32 s26, 0x7f800001
	s_xor_b32 s11, exec_lo, -1
; %bb.1406:                             ;   in Loop: Header=BB2_797 Depth=2
	s_or_b32 exec_lo, exec_lo, s28
	s_delay_alu instid0(SALU_CYCLE_1)
	s_and_b32 s11, s11, exec_lo
	s_or_saveexec_b32 s27, s27
	v_mov_b32_e32 v128, s26
	s_xor_b32 exec_lo, exec_lo, s27
	s_cbranch_execz .LBB2_1176
.LBB2_1407:                             ;   in Loop: Header=BB2_797 Depth=2
	v_cmp_ne_u16_e64 vcc_lo, 0, v129
	v_mov_b32_e32 v128, 0
	s_and_not1_b32 s11, s11, exec_lo
	s_delay_alu instid0(VALU_DEP_2) | instskip(NEXT) | instid1(SALU_CYCLE_1)
	s_and_b32 s26, vcc_lo, exec_lo
	s_or_b32 s11, s11, s26
	s_or_b32 exec_lo, exec_lo, s27
	s_and_saveexec_b32 s26, s11
	s_cbranch_execnz .LBB2_1177
	s_branch .LBB2_1178
.LBB2_1408:                             ;   in Loop: Header=BB2_797 Depth=2
	s_mov_b32 s11, -1
	s_mov_b32 s28, exec_lo
                                        ; implicit-def: $sgpr26
	v_cmpx_eq_u16_e32 0x80, v101
; %bb.1409:                             ;   in Loop: Header=BB2_797 Depth=2
	s_mov_b32 s26, 0x7f800001
	s_xor_b32 s11, exec_lo, -1
; %bb.1410:                             ;   in Loop: Header=BB2_797 Depth=2
	s_or_b32 exec_lo, exec_lo, s28
	s_delay_alu instid0(SALU_CYCLE_1)
	s_and_b32 s11, s11, exec_lo
	s_or_saveexec_b32 s27, s27
	v_mov_b32_e32 v129, s26
	s_xor_b32 exec_lo, exec_lo, s27
	s_cbranch_execz .LBB2_1180
.LBB2_1411:                             ;   in Loop: Header=BB2_797 Depth=2
	v_cmp_ne_u16_e32 vcc_lo, 0, v101
	v_mov_b32_e32 v129, 0
	s_and_not1_b32 s11, s11, exec_lo
	s_and_b32 s26, vcc_lo, exec_lo
	s_delay_alu instid0(SALU_CYCLE_1)
	s_or_b32 s11, s11, s26
	s_or_b32 exec_lo, exec_lo, s27
	s_and_saveexec_b32 s26, s11
	s_cbranch_execnz .LBB2_1181
	s_branch .LBB2_1182
.LBB2_1412:                             ;   in Loop: Header=BB2_797 Depth=2
	s_mov_b32 s11, -1
	s_mov_b32 s28, exec_lo
                                        ; implicit-def: $sgpr26
	v_cmpx_eq_u16_e32 0x80, v114
; %bb.1413:                             ;   in Loop: Header=BB2_797 Depth=2
	s_mov_b32 s26, 0x7f800001
	s_xor_b32 s11, exec_lo, -1
; %bb.1414:                             ;   in Loop: Header=BB2_797 Depth=2
	s_or_b32 exec_lo, exec_lo, s28
	s_delay_alu instid0(SALU_CYCLE_1)
	s_and_b32 s11, s11, exec_lo
                                        ; implicit-def: $vgpr114
	s_or_saveexec_b32 s27, s27
	v_mov_b32_e32 v100, s26
	s_xor_b32 exec_lo, exec_lo, s27
	s_cbranch_execz .LBB2_1192
.LBB2_1415:                             ;   in Loop: Header=BB2_797 Depth=2
	v_cmp_ne_u16_e32 vcc_lo, 0, v114
	v_mov_b32_e32 v100, 0
	s_and_not1_b32 s11, s11, exec_lo
	s_and_b32 s26, vcc_lo, exec_lo
	s_delay_alu instid0(SALU_CYCLE_1)
	s_or_b32 s11, s11, s26
	s_or_b32 exec_lo, exec_lo, s27
	s_and_saveexec_b32 s26, s11
	s_cbranch_execnz .LBB2_1193
	s_branch .LBB2_1194
.LBB2_1416:                             ;   in Loop: Header=BB2_797 Depth=2
	s_mov_b32 s11, -1
	s_mov_b32 s28, exec_lo
                                        ; implicit-def: $sgpr26
	v_cmpx_eq_u16_e64 0x80, v128
; %bb.1417:                             ;   in Loop: Header=BB2_797 Depth=2
	s_mov_b32 s26, 0x7f800001
	s_xor_b32 s11, exec_lo, -1
; %bb.1418:                             ;   in Loop: Header=BB2_797 Depth=2
	s_or_b32 exec_lo, exec_lo, s28
	s_delay_alu instid0(SALU_CYCLE_1)
	s_and_b32 s11, s11, exec_lo
                                        ; implicit-def: $vgpr128
	s_or_saveexec_b32 s27, s27
	v_mov_b32_e32 v114, s26
	s_xor_b32 exec_lo, exec_lo, s27
	s_cbranch_execz .LBB2_1196
.LBB2_1419:                             ;   in Loop: Header=BB2_797 Depth=2
	v_cmp_ne_u16_e64 vcc_lo, 0, v128
	v_mov_b32_e32 v114, 0
	s_and_not1_b32 s11, s11, exec_lo
	s_delay_alu instid0(VALU_DEP_2) | instskip(NEXT) | instid1(SALU_CYCLE_1)
	s_and_b32 s26, vcc_lo, exec_lo
	s_or_b32 s11, s11, s26
	s_or_b32 exec_lo, exec_lo, s27
	s_and_saveexec_b32 s26, s11
	s_cbranch_execnz .LBB2_1197
	s_branch .LBB2_1198
.LBB2_1420:                             ;   in Loop: Header=BB2_797 Depth=2
	s_mov_b32 s11, -1
	s_mov_b32 s28, exec_lo
                                        ; implicit-def: $sgpr26
	v_cmpx_eq_u16_e64 0x80, v128
; %bb.1421:                             ;   in Loop: Header=BB2_797 Depth=2
	s_mov_b32 s26, 0x7f800001
	s_xor_b32 s11, exec_lo, -1
; %bb.1422:                             ;   in Loop: Header=BB2_797 Depth=2
	s_or_b32 exec_lo, exec_lo, s28
	s_delay_alu instid0(SALU_CYCLE_1)
	s_and_b32 s11, s11, exec_lo
	s_or_saveexec_b32 s27, s27
	v_mov_b32_e32 v114, s26
	s_xor_b32 exec_lo, exec_lo, s27
	s_cbranch_execz .LBB2_1208
.LBB2_1423:                             ;   in Loop: Header=BB2_797 Depth=2
	v_cmp_ne_u16_e64 vcc_lo, 0, v128
	v_mov_b32_e32 v114, 0
	s_and_not1_b32 s11, s11, exec_lo
	s_delay_alu instid0(VALU_DEP_2) | instskip(NEXT) | instid1(SALU_CYCLE_1)
	s_and_b32 s26, vcc_lo, exec_lo
	s_or_b32 s11, s11, s26
	s_or_b32 exec_lo, exec_lo, s27
	s_and_saveexec_b32 s26, s11
	s_cbranch_execnz .LBB2_1209
	s_branch .LBB2_1210
.LBB2_1424:                             ;   in Loop: Header=BB2_797 Depth=2
	s_mov_b32 s11, -1
	s_mov_b32 s28, exec_lo
                                        ; implicit-def: $sgpr26
	v_cmpx_eq_u16_e64 0x80, v128
; %bb.1425:                             ;   in Loop: Header=BB2_797 Depth=2
	s_mov_b32 s26, 0x7f800001
	s_xor_b32 s11, exec_lo, -1
; %bb.1426:                             ;   in Loop: Header=BB2_797 Depth=2
	s_or_b32 exec_lo, exec_lo, s28
	s_delay_alu instid0(SALU_CYCLE_1)
	s_and_b32 s11, s11, exec_lo
	s_or_saveexec_b32 s27, s27
	v_mov_b32_e32 v129, s26
	s_xor_b32 exec_lo, exec_lo, s27
	s_cbranch_execz .LBB2_1212
.LBB2_1427:                             ;   in Loop: Header=BB2_797 Depth=2
	v_cmp_ne_u16_e64 vcc_lo, 0, v128
	v_mov_b32_e32 v129, 0
	s_and_not1_b32 s11, s11, exec_lo
	s_delay_alu instid0(VALU_DEP_2) | instskip(NEXT) | instid1(SALU_CYCLE_1)
	s_and_b32 s26, vcc_lo, exec_lo
	s_or_b32 s11, s11, s26
	s_or_b32 exec_lo, exec_lo, s27
	s_and_saveexec_b32 s26, s11
	s_cbranch_execnz .LBB2_1213
	s_branch .LBB2_1214
.LBB2_1428:                             ;   in Loop: Header=BB2_797 Depth=2
	s_mov_b32 s11, -1
	s_mov_b32 s28, exec_lo
                                        ; implicit-def: $sgpr26
	v_cmpx_eq_u16_e64 0x80, v128
; %bb.1429:                             ;   in Loop: Header=BB2_797 Depth=2
	s_mov_b32 s26, 0x7f800001
	s_xor_b32 s11, exec_lo, -1
; %bb.1430:                             ;   in Loop: Header=BB2_797 Depth=2
	s_or_b32 exec_lo, exec_lo, s28
	s_delay_alu instid0(SALU_CYCLE_1)
	s_and_b32 s11, s11, exec_lo
                                        ; implicit-def: $vgpr128
	s_or_saveexec_b32 s27, s27
	v_mov_b32_e32 v99, s26
	s_xor_b32 exec_lo, exec_lo, s27
	s_cbranch_execz .LBB2_1224
.LBB2_1431:                             ;   in Loop: Header=BB2_797 Depth=2
	v_cmp_ne_u16_e64 vcc_lo, 0, v128
	v_mov_b32_e32 v99, 0
	s_and_not1_b32 s11, s11, exec_lo
	s_delay_alu instid0(VALU_DEP_2) | instskip(NEXT) | instid1(SALU_CYCLE_1)
	s_and_b32 s26, vcc_lo, exec_lo
	s_or_b32 s11, s11, s26
	s_or_b32 exec_lo, exec_lo, s27
	v_lshl_or_b32 v101, v103, 16, v101
	s_and_saveexec_b32 s26, s11
	s_cbranch_execnz .LBB2_1225
	s_branch .LBB2_1226
.LBB2_1432:                             ;   in Loop: Header=BB2_797 Depth=2
	s_mov_b32 s11, -1
	s_mov_b32 s28, exec_lo
                                        ; implicit-def: $sgpr26
	v_cmpx_eq_u16_e64 0x80, v129
; %bb.1433:                             ;   in Loop: Header=BB2_797 Depth=2
	s_mov_b32 s26, 0x7f800001
	s_xor_b32 s11, exec_lo, -1
; %bb.1434:                             ;   in Loop: Header=BB2_797 Depth=2
	s_or_b32 exec_lo, exec_lo, s28
	s_delay_alu instid0(SALU_CYCLE_1)
	s_and_b32 s11, s11, exec_lo
                                        ; implicit-def: $vgpr129
	s_or_saveexec_b32 s27, s27
	v_mov_b32_e32 v128, s26
	s_xor_b32 exec_lo, exec_lo, s27
	s_cbranch_execz .LBB2_1228
.LBB2_1435:                             ;   in Loop: Header=BB2_797 Depth=2
	v_cmp_ne_u16_e64 vcc_lo, 0, v129
	v_mov_b32_e32 v128, 0
	s_and_not1_b32 s11, s11, exec_lo
	s_delay_alu instid0(VALU_DEP_2) | instskip(NEXT) | instid1(SALU_CYCLE_1)
	s_and_b32 s26, vcc_lo, exec_lo
	s_or_b32 s11, s11, s26
	s_or_b32 exec_lo, exec_lo, s27
	s_and_saveexec_b32 s26, s11
	s_cbranch_execnz .LBB2_1229
	s_branch .LBB2_1230
.LBB2_1436:                             ;   in Loop: Header=BB2_797 Depth=2
	s_mov_b32 s11, -1
	s_mov_b32 s28, exec_lo
                                        ; implicit-def: $sgpr26
	v_cmpx_eq_u16_e64 0x80, v128
; %bb.1437:                             ;   in Loop: Header=BB2_797 Depth=2
	s_mov_b32 s26, 0x7f800001
	s_xor_b32 s11, exec_lo, -1
; %bb.1438:                             ;   in Loop: Header=BB2_797 Depth=2
	s_or_b32 exec_lo, exec_lo, s28
	s_delay_alu instid0(SALU_CYCLE_1)
	s_and_b32 s11, s11, exec_lo
	s_or_saveexec_b32 s27, s27
	v_mov_b32_e32 v103, s26
	s_xor_b32 exec_lo, exec_lo, s27
	s_cbranch_execz .LBB2_1240
.LBB2_1439:                             ;   in Loop: Header=BB2_797 Depth=2
	v_cmp_ne_u16_e64 vcc_lo, 0, v128
	v_mov_b32_e32 v103, 0
	s_and_not1_b32 s11, s11, exec_lo
	s_delay_alu instid0(VALU_DEP_2) | instskip(NEXT) | instid1(SALU_CYCLE_1)
	s_and_b32 s26, vcc_lo, exec_lo
	s_or_b32 s11, s11, s26
	s_or_b32 exec_lo, exec_lo, s27
	s_and_saveexec_b32 s26, s11
	s_cbranch_execnz .LBB2_1241
	s_branch .LBB2_1242
.LBB2_1440:                             ;   in Loop: Header=BB2_797 Depth=2
	s_mov_b32 s11, -1
	s_mov_b32 s28, exec_lo
                                        ; implicit-def: $sgpr26
	v_cmpx_eq_u16_e32 0x80, v101
; %bb.1441:                             ;   in Loop: Header=BB2_797 Depth=2
	s_mov_b32 s26, 0x7f800001
	s_xor_b32 s11, exec_lo, -1
; %bb.1442:                             ;   in Loop: Header=BB2_797 Depth=2
	s_or_b32 exec_lo, exec_lo, s28
	s_delay_alu instid0(SALU_CYCLE_1)
	s_and_b32 s11, s11, exec_lo
	s_or_saveexec_b32 s27, s27
	v_mov_b32_e32 v128, s26
	s_xor_b32 exec_lo, exec_lo, s27
	s_cbranch_execz .LBB2_1244
.LBB2_1443:                             ;   in Loop: Header=BB2_797 Depth=2
	v_cmp_ne_u16_e32 vcc_lo, 0, v101
	v_mov_b32_e32 v128, 0
	s_and_not1_b32 s11, s11, exec_lo
	s_and_b32 s26, vcc_lo, exec_lo
	s_delay_alu instid0(SALU_CYCLE_1)
	s_or_b32 s11, s11, s26
	s_or_b32 exec_lo, exec_lo, s27
	s_and_saveexec_b32 s26, s11
	s_cbranch_execnz .LBB2_1245
	s_branch .LBB2_1246
.LBB2_1444:                             ;   in Loop: Header=BB2_53 Depth=1
	s_or_b32 exec_lo, exec_lo, s24
.LBB2_1445:                             ;   in Loop: Header=BB2_53 Depth=1
	s_delay_alu instid0(SALU_CYCLE_1) | instskip(SKIP_3) | instid1(VALU_DEP_1)
	s_or_b32 exec_lo, exec_lo, s23
	v_cmp_lt_i32_e32 vcc_lo, 0, v86
	s_mov_b32 s23, exec_lo
	v_cndmask_b32_e32 v10, 0, v53, vcc_lo
	v_sub_nc_u32_e32 v10, v10, v86
	s_delay_alu instid0(VALU_DEP_1)
	v_lshl_add_u32 v50, v10, 5, v87
.LBB2_1446:                             ;   in Loop: Header=BB2_53 Depth=1
	s_or_b32 exec_lo, exec_lo, s12
.LBB2_1447:                             ;   in Loop: Header=BB2_53 Depth=1
	s_and_saveexec_b32 s12, s23
	s_cbranch_execz .LBB2_1838
; %bb.1448:                             ;   in Loop: Header=BB2_53 Depth=1
	s_delay_alu instid0(VALU_DEP_1) | instskip(SKIP_2) | instid1(VALU_DEP_2)
	v_ashrrev_i32_e32 v10, 31, v50
	v_lshrrev_b32_e32 v11, 8, v85
	s_mov_b32 s23, exec_lo
	v_lshrrev_b32_e32 v10, 27, v10
	s_delay_alu instid0(VALU_DEP_1) | instskip(NEXT) | instid1(VALU_DEP_1)
	v_add_nc_u32_e32 v10, v50, v10
	v_ashrrev_i32_e32 v51, 5, v10
	s_delay_alu instid0(VALU_DEP_1) | instskip(NEXT) | instid1(VALU_DEP_1)
	v_sub_nc_u32_e32 v86, v11, v51
	v_cmpx_lt_i32_e32 0, v86
	s_cbranch_execz .LBB2_1783
; %bb.1449:                             ;   in Loop: Header=BB2_53 Depth=1
	s_cbranch_execz .LBB2_1450
; %bb.5323:
	s_getpc_b64 s[34:35]
.Lpost_getpc35:
	s_add_u32 s34, s34, (.LBB2_5149-.Lpost_getpc35)&4294967295
	s_addc_u32 s35, s35, (.LBB2_5149-.Lpost_getpc35)>>32
	s_setpc_b64 s[34:35]
.LBB2_1450:                             ;   in Loop: Header=BB2_53 Depth=1
	ds_load_b128 v[96:99], v0
	ds_load_b64 v[12:13], v0
	v_and_b32_e32 v10, 0xffffffe0, v10
	v_lshlrev_b32_e32 v11, 8, v51
	s_mov_b32 s24, 0
	s_delay_alu instid0(VALU_DEP_2) | instskip(NEXT) | instid1(VALU_DEP_1)
	v_sub_nc_u32_e32 v10, v50, v10
	v_add3_u32 v38, v84, v10, v11
	s_delay_alu instid0(VALU_DEP_1) | instskip(SKIP_2) | instid1(VALU_DEP_2)
	v_ashrrev_i32_e32 v39, 31, v38
	s_waitcnt lgkmcnt(1)
	v_add_co_u32 v10, vcc_lo, v96, v38
	v_add_co_ci_u32_e32 v11, vcc_lo, v97, v39, vcc_lo
	s_waitcnt lgkmcnt(0)
	v_add_co_u32 v48, vcc_lo, 0xe0, v12
	v_add_co_ci_u32_e32 v49, vcc_lo, 0, v13, vcc_lo
	v_add_co_u32 v12, vcc_lo, v98, v38
	v_add_co_ci_u32_e32 v13, vcc_lo, v99, v39, vcc_lo
	s_delay_alu instid0(VALU_DEP_4) | instskip(NEXT) | instid1(VALU_DEP_4)
	v_add_co_u32 v38, vcc_lo, v48, v38
	v_add_co_ci_u32_e32 v39, vcc_lo, v49, v39, vcc_lo
.LBB2_1451:                             ;   Parent Loop BB2_53 Depth=1
                                        ; =>  This Inner Loop Header: Depth=2
	s_cbranch_execz .LBB2_1452
; %bb.5325:
	s_getpc_b64 s[34:35]
.Lpost_getpc36:
	s_add_u32 s34, s34, (.LBB2_5151-.Lpost_getpc36)&4294967295
	s_addc_u32 s35, s35, (.LBB2_5151-.Lpost_getpc36)>>32
	s_setpc_b64 s[34:35]
.LBB2_1452:                             ;   in Loop: Header=BB2_1451 Depth=2
	ds_load_b64 v[48:49], v0
	s_waitcnt lgkmcnt(0)
	v_and_b32_e32 v49, 0xff, v48
	v_readfirstlane_b32 s11, v48
	s_delay_alu instid0(VALU_DEP_2)
	v_cmp_gt_i16_e32 vcc_lo, 0x80, v49
	s_cbranch_vccnz .LBB2_1456
; %bb.1453:                             ;   in Loop: Header=BB2_1451 Depth=2
	v_cmp_eq_u16_e32 vcc_lo, 0x80, v49
	s_mov_b32 s25, -1
                                        ; implicit-def: $sgpr26
	s_cbranch_vccz .LBB2_1455
; %bb.1454:                             ;   in Loop: Header=BB2_1451 Depth=2
	s_mov_b32 s25, 0
	s_mov_b32 s26, 0x7f800001
.LBB2_1455:                             ;   in Loop: Header=BB2_1451 Depth=2
	s_mov_b32 s27, 0
	s_branch .LBB2_1457
.LBB2_1456:                             ;   in Loop: Header=BB2_1451 Depth=2
	s_mov_b32 s27, -1
	s_mov_b32 s25, 0
                                        ; implicit-def: $sgpr26
.LBB2_1457:                             ;   in Loop: Header=BB2_1451 Depth=2
	s_and_b32 vcc_lo, exec_lo, s27
	s_cbranch_vccz .LBB2_1459
; %bb.1458:                             ;   in Loop: Header=BB2_1451 Depth=2
	v_cmp_ne_u16_e64 s25, 0, v49
	s_mov_b32 s26, 0
.LBB2_1459:                             ;   in Loop: Header=BB2_1451 Depth=2
	s_delay_alu instid0(SALU_CYCLE_1) | instskip(NEXT) | instid1(VALU_DEP_2)
	v_mov_b32_e32 v49, s26
	s_and_not1_b32 vcc_lo, exec_lo, s25
	s_cbranch_vccnz .LBB2_1461
; %bb.1460:                             ;   in Loop: Header=BB2_1451 Depth=2
	s_and_b32 s25, s11, 7
	s_bfe_u32 s27, s11, 0x40003
	s_clz_i32_u32 s26, s25
	v_lshlrev_b32_e32 v48, 24, v48
	s_min_u32 s26, s26, 32
	s_delay_alu instid0(SALU_CYCLE_1)
	s_sub_i32 s28, s26, 28
	s_sub_i32 s26, 29, s26
	s_lshl_b32 s11, s11, s28
	v_and_b32_e32 v48, 0x80000000, v48
	s_and_b32 s11, s11, 7
	s_cmp_eq_u32 s27, 0
	s_cselect_b32 s26, s26, s27
	s_cselect_b32 s11, s11, s25
	s_lshl_b32 s25, s26, 23
	s_lshl_b32 s11, s11, 20
	s_add_i32 s25, s25, 0x3b800000
	s_delay_alu instid0(SALU_CYCLE_1) | instskip(NEXT) | instid1(VALU_DEP_1)
	v_or_b32_e32 v48, s25, v48
	v_or_b32_e32 v49, s11, v48
.LBB2_1461:                             ;   in Loop: Header=BB2_1451 Depth=2
	flat_load_u8 v48, v[10:11] slc dlc
	s_mov_b32 s11, 0
	s_mov_b32 s26, exec_lo
                                        ; implicit-def: $sgpr25
	s_waitcnt vmcnt(0) lgkmcnt(0)
	v_cmpx_lt_i16_e32 0x7f, v48
	s_xor_b32 s26, exec_lo, s26
	s_cbranch_execnz .LBB2_1686
; %bb.1462:                             ;   in Loop: Header=BB2_1451 Depth=2
	s_or_saveexec_b32 s26, s26
	v_mov_b32_e32 v87, s25
	s_xor_b32 exec_lo, exec_lo, s26
	s_cbranch_execnz .LBB2_1689
.LBB2_1463:                             ;   in Loop: Header=BB2_1451 Depth=2
	s_or_b32 exec_lo, exec_lo, s26
	s_and_saveexec_b32 s25, s11
	s_cbranch_execz .LBB2_1465
.LBB2_1464:                             ;   in Loop: Header=BB2_1451 Depth=2
	v_and_b32_e32 v87, 0xffff, v48
	v_lshlrev_b32_e32 v48, 24, v48
	s_delay_alu instid0(VALU_DEP_2) | instskip(NEXT) | instid1(VALU_DEP_2)
	v_and_b32_e32 v96, 7, v87
	v_and_b32_e32 v48, 0x80000000, v48
	s_delay_alu instid0(VALU_DEP_2) | instskip(NEXT) | instid1(VALU_DEP_1)
	v_clz_i32_u32_e32 v97, v96
	v_min_u32_e32 v97, 32, v97
	s_delay_alu instid0(VALU_DEP_1) | instskip(SKIP_1) | instid1(VALU_DEP_2)
	v_subrev_nc_u32_e32 v98, 28, v97
	v_sub_nc_u32_e32 v97, 29, v97
	v_lshlrev_b32_e32 v98, v98, v87
	v_bfe_u32 v87, v87, 3, 4
	s_delay_alu instid0(VALU_DEP_2) | instskip(NEXT) | instid1(VALU_DEP_2)
	v_and_b32_e32 v98, 7, v98
	v_cmp_eq_u32_e32 vcc_lo, 0, v87
	s_delay_alu instid0(VALU_DEP_2) | instskip(NEXT) | instid1(VALU_DEP_1)
	v_dual_cndmask_b32 v87, v87, v97 :: v_dual_cndmask_b32 v96, v96, v98
	v_lshl_add_u32 v87, v87, 23, 0x3b800000
	s_delay_alu instid0(VALU_DEP_2) | instskip(NEXT) | instid1(VALU_DEP_1)
	v_lshlrev_b32_e32 v96, 20, v96
	v_or3_b32 v87, v48, v87, v96
.LBB2_1465:                             ;   in Loop: Header=BB2_1451 Depth=2
	s_or_b32 exec_lo, exec_lo, s25
	s_delay_alu instid0(VALU_DEP_1) | instskip(NEXT) | instid1(VALU_DEP_1)
	v_mul_f32_e32 v48, v49, v87
	v_and_b32_e32 v87, 0x7f800000, v48
	s_delay_alu instid0(VALU_DEP_1)
	v_cmp_ne_u32_e32 vcc_lo, 0x7f800000, v87
	v_mov_b32_e32 v87, 0x80
	s_and_saveexec_b32 s25, vcc_lo
	s_cbranch_execz .LBB2_1473
; %bb.1466:                             ;   in Loop: Header=BB2_1451 Depth=2
	v_mov_b32_e32 v87, 0
	s_mov_b32 s26, exec_lo
	v_cmpx_ne_u32_e32 0, v48
	s_cbranch_execz .LBB2_1472
; %bb.1467:                             ;   in Loop: Header=BB2_1451 Depth=2
	v_bfe_u32 v87, v48, 23, 8
	s_delay_alu instid0(VALU_DEP_1) | instskip(SKIP_1) | instid1(VALU_DEP_2)
	v_sub_nc_u32_e32 v97, 0x78, v87
	v_cmp_gt_u32_e32 vcc_lo, 0x79, v87
	v_dual_cndmask_b32 v97, 0, v97 :: v_dual_and_b32 v96, 0x7fffff, v48
	s_delay_alu instid0(VALU_DEP_1) | instskip(SKIP_2) | instid1(VALU_DEP_4)
	v_or_b32_e32 v98, 0x800000, v96
	v_cmp_eq_u32_e32 vcc_lo, 0, v87
	v_add_nc_u32_e32 v87, 0xffffff89, v87
	v_cndmask_b32_e64 v97, v97, 0x77, vcc_lo
	s_delay_alu instid0(VALU_DEP_4) | instskip(NEXT) | instid1(VALU_DEP_3)
	v_cndmask_b32_e32 v96, v98, v96, vcc_lo
	v_cndmask_b32_e64 v87, v87, 0xffffff8a, vcc_lo
	s_delay_alu instid0(VALU_DEP_3) | instskip(NEXT) | instid1(VALU_DEP_3)
	v_lshl_add_u32 v98, 0x100000, v97, -1
	v_lshrrev_b32_e32 v99, v97, v96
	v_lshlrev_b32_e64 v101, v97, 0x80000
	s_delay_alu instid0(VALU_DEP_4) | instskip(NEXT) | instid1(VALU_DEP_4)
	v_add_nc_u32_e32 v97, v97, v87
	v_and_b32_e32 v96, v98, v96
	s_delay_alu instid0(VALU_DEP_4) | instskip(NEXT) | instid1(VALU_DEP_2)
	v_bfe_u32 v100, v99, 20, 1
	v_cmp_eq_u32_e64 s11, v96, v101
	s_delay_alu instid0(VALU_DEP_2) | instskip(NEXT) | instid1(VALU_DEP_1)
	v_add_nc_u32_e32 v98, -1, v100
	v_cndmask_b32_e64 v96, 0, v98, s11
	v_lshrrev_b32_e32 v98, 23, v99
	s_mov_b32 s11, exec_lo
	s_delay_alu instid0(VALU_DEP_2) | instskip(NEXT) | instid1(VALU_DEP_2)
	v_add_nc_u32_e32 v96, v96, v99
	v_xor_b32_e32 v98, 1, v98
	s_delay_alu instid0(VALU_DEP_2) | instskip(NEXT) | instid1(VALU_DEP_1)
	v_and_b32_e32 v87, 0xfffff, v96
	v_add_nc_u32_e32 v96, v87, v99
                                        ; implicit-def: $vgpr87
	s_delay_alu instid0(VALU_DEP_3)
	v_cmpx_ne_u32_e64 v97, v98
	s_xor_b32 s11, exec_lo, s11
; %bb.1468:                             ;   in Loop: Header=BB2_1451 Depth=2
	s_delay_alu instid0(VALU_DEP_2) | instskip(SKIP_2) | instid1(VALU_DEP_2)
	v_cmp_lt_u32_e32 vcc_lo, 0xffffff, v96
	v_sub_nc_u32_e32 v87, v97, v98
	v_cndmask_b32_e64 v97, 0, 1, vcc_lo
	v_add_co_ci_u32_e32 v87, vcc_lo, 0, v87, vcc_lo
	s_delay_alu instid0(VALU_DEP_2)
	v_lshrrev_b32_e32 v96, v97, v96
; %bb.1469:                             ;   in Loop: Header=BB2_1451 Depth=2
	s_and_not1_saveexec_b32 s11, s11
; %bb.1470:                             ;   in Loop: Header=BB2_1451 Depth=2
	s_delay_alu instid0(VALU_DEP_1)
	v_bfe_u32 v87, v96, 23, 1
; %bb.1471:                             ;   in Loop: Header=BB2_1451 Depth=2
	s_or_b32 exec_lo, exec_lo, s11
	v_lshrrev_b32_e32 v96, 20, v96
	s_delay_alu instid0(VALU_DEP_2) | instskip(SKIP_2) | instid1(VALU_DEP_4)
	v_cmp_gt_i32_e32 vcc_lo, 16, v87
	v_lshrrev_b32_e32 v48, 24, v48
	v_min_i32_e32 v97, 15, v87
	v_cndmask_b32_e32 v96, 7, v96, vcc_lo
	s_delay_alu instid0(VALU_DEP_3) | instskip(NEXT) | instid1(VALU_DEP_3)
	v_and_b32_e32 v48, 0x80, v48
	v_lshlrev_b32_e32 v97, 3, v97
	s_delay_alu instid0(VALU_DEP_3) | instskip(SKIP_1) | instid1(VALU_DEP_2)
	v_and_b32_e32 v98, 7, v96
	v_or_b32_e32 v87, v87, v96
	v_or3_b32 v48, v97, v48, v98
	s_delay_alu instid0(VALU_DEP_2) | instskip(NEXT) | instid1(VALU_DEP_2)
	v_cmp_ne_u32_e32 vcc_lo, 0, v87
	v_cndmask_b32_e32 v87, 0, v48, vcc_lo
.LBB2_1472:                             ;   in Loop: Header=BB2_1451 Depth=2
	s_or_b32 exec_lo, exec_lo, s26
.LBB2_1473:                             ;   in Loop: Header=BB2_1451 Depth=2
	s_delay_alu instid0(SALU_CYCLE_1)
	s_or_b32 exec_lo, exec_lo, s25
	flat_load_u8 v48, v[10:11] offset:32 slc dlc
	s_mov_b32 s11, 0
	s_mov_b32 s26, exec_lo
                                        ; implicit-def: $sgpr25
	s_waitcnt vmcnt(0) lgkmcnt(0)
	v_cmpx_lt_i16_e32 0x7f, v48
	s_xor_b32 s26, exec_lo, s26
	s_cbranch_execnz .LBB2_1690
; %bb.1474:                             ;   in Loop: Header=BB2_1451 Depth=2
	s_or_saveexec_b32 s26, s26
	v_mov_b32_e32 v96, s25
	s_xor_b32 exec_lo, exec_lo, s26
	s_cbranch_execnz .LBB2_1693
.LBB2_1475:                             ;   in Loop: Header=BB2_1451 Depth=2
	s_or_b32 exec_lo, exec_lo, s26
	s_and_saveexec_b32 s25, s11
	s_cbranch_execz .LBB2_1477
.LBB2_1476:                             ;   in Loop: Header=BB2_1451 Depth=2
	v_and_b32_e32 v96, 0xffff, v48
	v_lshlrev_b32_e32 v48, 24, v48
	s_delay_alu instid0(VALU_DEP_2) | instskip(NEXT) | instid1(VALU_DEP_2)
	v_and_b32_e32 v97, 7, v96
	v_and_b32_e32 v48, 0x80000000, v48
	s_delay_alu instid0(VALU_DEP_2) | instskip(NEXT) | instid1(VALU_DEP_1)
	v_clz_i32_u32_e32 v98, v97
	v_min_u32_e32 v98, 32, v98
	s_delay_alu instid0(VALU_DEP_1) | instskip(SKIP_1) | instid1(VALU_DEP_2)
	v_subrev_nc_u32_e32 v99, 28, v98
	v_sub_nc_u32_e32 v98, 29, v98
	v_lshlrev_b32_e32 v99, v99, v96
	v_bfe_u32 v96, v96, 3, 4
	s_delay_alu instid0(VALU_DEP_2) | instskip(NEXT) | instid1(VALU_DEP_2)
	v_and_b32_e32 v99, 7, v99
	v_cmp_eq_u32_e32 vcc_lo, 0, v96
	s_delay_alu instid0(VALU_DEP_2) | instskip(NEXT) | instid1(VALU_DEP_1)
	v_dual_cndmask_b32 v96, v96, v98 :: v_dual_cndmask_b32 v97, v97, v99
	v_lshl_add_u32 v96, v96, 23, 0x3b800000
	s_delay_alu instid0(VALU_DEP_2) | instskip(NEXT) | instid1(VALU_DEP_1)
	v_lshlrev_b32_e32 v97, 20, v97
	v_or3_b32 v96, v48, v96, v97
.LBB2_1477:                             ;   in Loop: Header=BB2_1451 Depth=2
	s_or_b32 exec_lo, exec_lo, s25
	s_delay_alu instid0(VALU_DEP_1) | instskip(SKIP_2) | instid1(VALU_DEP_2)
	v_mul_f32_e32 v48, v49, v96
	v_mov_b32_e32 v100, 0x80
	s_mov_b32 s25, exec_lo
	v_and_b32_e32 v96, 0x7f800000, v48
	s_delay_alu instid0(VALU_DEP_1)
	v_cmpx_ne_u32_e32 0x7f800000, v96
	s_cbranch_execz .LBB2_1485
; %bb.1478:                             ;   in Loop: Header=BB2_1451 Depth=2
	v_mov_b32_e32 v100, 0
	s_mov_b32 s26, exec_lo
	v_cmpx_ne_u32_e32 0, v48
	s_cbranch_execz .LBB2_1484
; %bb.1479:                             ;   in Loop: Header=BB2_1451 Depth=2
	v_bfe_u32 v96, v48, 23, 8
	s_delay_alu instid0(VALU_DEP_1) | instskip(SKIP_1) | instid1(VALU_DEP_2)
	v_sub_nc_u32_e32 v98, 0x78, v96
	v_cmp_gt_u32_e32 vcc_lo, 0x79, v96
	v_dual_cndmask_b32 v98, 0, v98 :: v_dual_and_b32 v97, 0x7fffff, v48
	s_delay_alu instid0(VALU_DEP_1) | instskip(SKIP_2) | instid1(VALU_DEP_4)
	v_or_b32_e32 v99, 0x800000, v97
	v_cmp_eq_u32_e32 vcc_lo, 0, v96
	v_add_nc_u32_e32 v96, 0xffffff89, v96
	v_cndmask_b32_e64 v98, v98, 0x77, vcc_lo
	s_delay_alu instid0(VALU_DEP_4) | instskip(NEXT) | instid1(VALU_DEP_3)
	v_cndmask_b32_e32 v97, v99, v97, vcc_lo
	v_cndmask_b32_e64 v96, v96, 0xffffff8a, vcc_lo
	s_delay_alu instid0(VALU_DEP_3) | instskip(NEXT) | instid1(VALU_DEP_3)
	v_lshl_add_u32 v99, 0x100000, v98, -1
	v_lshrrev_b32_e32 v100, v98, v97
	v_lshlrev_b32_e64 v102, v98, 0x80000
	s_delay_alu instid0(VALU_DEP_4) | instskip(NEXT) | instid1(VALU_DEP_4)
	v_add_nc_u32_e32 v98, v98, v96
	v_and_b32_e32 v97, v99, v97
	s_delay_alu instid0(VALU_DEP_4) | instskip(NEXT) | instid1(VALU_DEP_2)
	v_bfe_u32 v101, v100, 20, 1
	v_cmp_eq_u32_e64 s11, v97, v102
	s_delay_alu instid0(VALU_DEP_2) | instskip(NEXT) | instid1(VALU_DEP_1)
	v_add_nc_u32_e32 v99, -1, v101
	v_cndmask_b32_e64 v97, 0, v99, s11
	v_lshrrev_b32_e32 v99, 23, v100
	s_mov_b32 s11, exec_lo
	s_delay_alu instid0(VALU_DEP_2) | instskip(NEXT) | instid1(VALU_DEP_2)
	v_add_nc_u32_e32 v97, v97, v100
	v_xor_b32_e32 v99, 1, v99
	s_delay_alu instid0(VALU_DEP_2) | instskip(NEXT) | instid1(VALU_DEP_1)
	v_and_b32_e32 v96, 0xfffff, v97
	v_add_nc_u32_e32 v97, v96, v100
                                        ; implicit-def: $vgpr96
	s_delay_alu instid0(VALU_DEP_3)
	v_cmpx_ne_u32_e64 v98, v99
	s_xor_b32 s11, exec_lo, s11
; %bb.1480:                             ;   in Loop: Header=BB2_1451 Depth=2
	s_delay_alu instid0(VALU_DEP_2) | instskip(SKIP_2) | instid1(VALU_DEP_2)
	v_cmp_lt_u32_e32 vcc_lo, 0xffffff, v97
	v_sub_nc_u32_e32 v96, v98, v99
	v_cndmask_b32_e64 v98, 0, 1, vcc_lo
	v_add_co_ci_u32_e32 v96, vcc_lo, 0, v96, vcc_lo
	s_delay_alu instid0(VALU_DEP_2)
	v_lshrrev_b32_e32 v97, v98, v97
; %bb.1481:                             ;   in Loop: Header=BB2_1451 Depth=2
	s_and_not1_saveexec_b32 s11, s11
; %bb.1482:                             ;   in Loop: Header=BB2_1451 Depth=2
	s_delay_alu instid0(VALU_DEP_1)
	v_bfe_u32 v96, v97, 23, 1
; %bb.1483:                             ;   in Loop: Header=BB2_1451 Depth=2
	s_or_b32 exec_lo, exec_lo, s11
	v_lshrrev_b32_e32 v97, 20, v97
	s_delay_alu instid0(VALU_DEP_2) | instskip(SKIP_2) | instid1(VALU_DEP_2)
	v_cmp_gt_i32_e32 vcc_lo, 16, v96
	v_lshrrev_b32_e32 v48, 24, v48
	v_min_i32_e32 v98, 15, v96
	v_dual_cndmask_b32 v97, 7, v97 :: v_dual_and_b32 v48, 0x80, v48
	s_delay_alu instid0(VALU_DEP_2) | instskip(NEXT) | instid1(VALU_DEP_2)
	v_lshlrev_b32_e32 v98, 3, v98
	v_or_b32_e32 v96, v96, v97
	s_delay_alu instid0(VALU_DEP_1) | instskip(SKIP_1) | instid1(VALU_DEP_1)
	v_cmp_ne_u32_e32 vcc_lo, 0, v96
	v_and_b32_e32 v99, 7, v97
	v_or3_b32 v48, v98, v48, v99
	s_delay_alu instid0(VALU_DEP_1)
	v_cndmask_b32_e32 v100, 0, v48, vcc_lo
.LBB2_1484:                             ;   in Loop: Header=BB2_1451 Depth=2
	s_or_b32 exec_lo, exec_lo, s26
.LBB2_1485:                             ;   in Loop: Header=BB2_1451 Depth=2
	s_delay_alu instid0(SALU_CYCLE_1)
	s_or_b32 exec_lo, exec_lo, s25
	flat_load_u8 v48, v[10:11] offset:64 slc dlc
	s_mov_b32 s11, 0
	s_mov_b32 s26, exec_lo
                                        ; implicit-def: $sgpr25
	s_waitcnt vmcnt(0) lgkmcnt(0)
	v_cmpx_lt_i16_e32 0x7f, v48
	s_xor_b32 s26, exec_lo, s26
	s_cbranch_execnz .LBB2_1694
; %bb.1486:                             ;   in Loop: Header=BB2_1451 Depth=2
	s_or_saveexec_b32 s26, s26
	v_mov_b32_e32 v96, s25
	s_xor_b32 exec_lo, exec_lo, s26
	s_cbranch_execnz .LBB2_1697
.LBB2_1487:                             ;   in Loop: Header=BB2_1451 Depth=2
	s_or_b32 exec_lo, exec_lo, s26
	s_and_saveexec_b32 s25, s11
	s_cbranch_execz .LBB2_1489
.LBB2_1488:                             ;   in Loop: Header=BB2_1451 Depth=2
	v_and_b32_e32 v96, 0xffff, v48
	v_lshlrev_b32_e32 v48, 24, v48
	s_delay_alu instid0(VALU_DEP_2) | instskip(NEXT) | instid1(VALU_DEP_2)
	v_and_b32_e32 v97, 7, v96
	v_and_b32_e32 v48, 0x80000000, v48
	s_delay_alu instid0(VALU_DEP_2) | instskip(NEXT) | instid1(VALU_DEP_1)
	v_clz_i32_u32_e32 v98, v97
	v_min_u32_e32 v98, 32, v98
	s_delay_alu instid0(VALU_DEP_1) | instskip(SKIP_1) | instid1(VALU_DEP_2)
	v_subrev_nc_u32_e32 v99, 28, v98
	v_sub_nc_u32_e32 v98, 29, v98
	v_lshlrev_b32_e32 v99, v99, v96
	v_bfe_u32 v96, v96, 3, 4
	s_delay_alu instid0(VALU_DEP_2) | instskip(NEXT) | instid1(VALU_DEP_2)
	v_and_b32_e32 v99, 7, v99
	v_cmp_eq_u32_e32 vcc_lo, 0, v96
	s_delay_alu instid0(VALU_DEP_2) | instskip(NEXT) | instid1(VALU_DEP_1)
	v_dual_cndmask_b32 v96, v96, v98 :: v_dual_cndmask_b32 v97, v97, v99
	v_lshl_add_u32 v96, v96, 23, 0x3b800000
	s_delay_alu instid0(VALU_DEP_2) | instskip(NEXT) | instid1(VALU_DEP_1)
	v_lshlrev_b32_e32 v97, 20, v97
	v_or3_b32 v96, v48, v96, v97
.LBB2_1489:                             ;   in Loop: Header=BB2_1451 Depth=2
	s_or_b32 exec_lo, exec_lo, s25
	s_delay_alu instid0(VALU_DEP_1) | instskip(SKIP_2) | instid1(VALU_DEP_2)
	v_mul_f32_e32 v48, v49, v96
	v_mov_b32_e32 v102, 0x80
	s_mov_b32 s25, exec_lo
	v_and_b32_e32 v96, 0x7f800000, v48
	s_delay_alu instid0(VALU_DEP_1)
	v_cmpx_ne_u32_e32 0x7f800000, v96
	s_cbranch_execz .LBB2_1497
; %bb.1490:                             ;   in Loop: Header=BB2_1451 Depth=2
	v_mov_b32_e32 v102, 0
	s_mov_b32 s26, exec_lo
	v_cmpx_ne_u32_e32 0, v48
	s_cbranch_execz .LBB2_1496
; %bb.1491:                             ;   in Loop: Header=BB2_1451 Depth=2
	v_bfe_u32 v96, v48, 23, 8
	s_delay_alu instid0(VALU_DEP_1) | instskip(SKIP_1) | instid1(VALU_DEP_2)
	v_sub_nc_u32_e32 v98, 0x78, v96
	v_cmp_gt_u32_e32 vcc_lo, 0x79, v96
	v_dual_cndmask_b32 v98, 0, v98 :: v_dual_and_b32 v97, 0x7fffff, v48
	s_delay_alu instid0(VALU_DEP_1) | instskip(SKIP_2) | instid1(VALU_DEP_4)
	v_or_b32_e32 v99, 0x800000, v97
	v_cmp_eq_u32_e32 vcc_lo, 0, v96
	v_add_nc_u32_e32 v96, 0xffffff89, v96
	v_cndmask_b32_e64 v98, v98, 0x77, vcc_lo
	s_delay_alu instid0(VALU_DEP_4) | instskip(NEXT) | instid1(VALU_DEP_3)
	v_cndmask_b32_e32 v97, v99, v97, vcc_lo
	v_cndmask_b32_e64 v96, v96, 0xffffff8a, vcc_lo
	s_delay_alu instid0(VALU_DEP_3) | instskip(NEXT) | instid1(VALU_DEP_3)
	v_lshl_add_u32 v99, 0x100000, v98, -1
	v_lshrrev_b32_e32 v101, v98, v97
	v_lshlrev_b32_e64 v103, v98, 0x80000
	s_delay_alu instid0(VALU_DEP_4) | instskip(NEXT) | instid1(VALU_DEP_4)
	v_add_nc_u32_e32 v98, v98, v96
	v_and_b32_e32 v97, v99, v97
	s_delay_alu instid0(VALU_DEP_4) | instskip(NEXT) | instid1(VALU_DEP_2)
	v_bfe_u32 v102, v101, 20, 1
	v_cmp_eq_u32_e64 s11, v97, v103
	s_delay_alu instid0(VALU_DEP_2) | instskip(NEXT) | instid1(VALU_DEP_1)
	v_add_nc_u32_e32 v99, -1, v102
	v_cndmask_b32_e64 v97, 0, v99, s11
	v_lshrrev_b32_e32 v99, 23, v101
	s_mov_b32 s11, exec_lo
	s_delay_alu instid0(VALU_DEP_2) | instskip(NEXT) | instid1(VALU_DEP_2)
	v_add_nc_u32_e32 v97, v97, v101
	v_xor_b32_e32 v99, 1, v99
	s_delay_alu instid0(VALU_DEP_2) | instskip(NEXT) | instid1(VALU_DEP_1)
	v_and_b32_e32 v96, 0xfffff, v97
	v_add_nc_u32_e32 v97, v96, v101
                                        ; implicit-def: $vgpr96
	s_delay_alu instid0(VALU_DEP_3)
	v_cmpx_ne_u32_e64 v98, v99
	s_xor_b32 s11, exec_lo, s11
; %bb.1492:                             ;   in Loop: Header=BB2_1451 Depth=2
	s_delay_alu instid0(VALU_DEP_2) | instskip(SKIP_2) | instid1(VALU_DEP_2)
	v_cmp_lt_u32_e32 vcc_lo, 0xffffff, v97
	v_sub_nc_u32_e32 v96, v98, v99
	v_cndmask_b32_e64 v98, 0, 1, vcc_lo
	v_add_co_ci_u32_e32 v96, vcc_lo, 0, v96, vcc_lo
	s_delay_alu instid0(VALU_DEP_2)
	v_lshrrev_b32_e32 v97, v98, v97
; %bb.1493:                             ;   in Loop: Header=BB2_1451 Depth=2
	s_and_not1_saveexec_b32 s11, s11
; %bb.1494:                             ;   in Loop: Header=BB2_1451 Depth=2
	s_delay_alu instid0(VALU_DEP_1)
	v_bfe_u32 v96, v97, 23, 1
; %bb.1495:                             ;   in Loop: Header=BB2_1451 Depth=2
	s_or_b32 exec_lo, exec_lo, s11
	v_lshrrev_b32_e32 v97, 20, v97
	s_delay_alu instid0(VALU_DEP_2) | instskip(SKIP_2) | instid1(VALU_DEP_2)
	v_cmp_gt_i32_e32 vcc_lo, 16, v96
	v_lshrrev_b32_e32 v48, 24, v48
	v_min_i32_e32 v98, 15, v96
	v_dual_cndmask_b32 v97, 7, v97 :: v_dual_and_b32 v48, 0x80, v48
	s_delay_alu instid0(VALU_DEP_2) | instskip(NEXT) | instid1(VALU_DEP_2)
	v_lshlrev_b32_e32 v98, 3, v98
	v_or_b32_e32 v96, v96, v97
	s_delay_alu instid0(VALU_DEP_1) | instskip(SKIP_1) | instid1(VALU_DEP_1)
	v_cmp_ne_u32_e32 vcc_lo, 0, v96
	v_and_b32_e32 v99, 7, v97
	v_or3_b32 v48, v98, v48, v99
	s_delay_alu instid0(VALU_DEP_1)
	v_cndmask_b32_e32 v102, 0, v48, vcc_lo
.LBB2_1496:                             ;   in Loop: Header=BB2_1451 Depth=2
	s_or_b32 exec_lo, exec_lo, s26
.LBB2_1497:                             ;   in Loop: Header=BB2_1451 Depth=2
	s_delay_alu instid0(SALU_CYCLE_1)
	s_or_b32 exec_lo, exec_lo, s25
	flat_load_u8 v48, v[10:11] offset:96 slc dlc
	s_mov_b32 s11, 0
	s_mov_b32 s26, exec_lo
                                        ; implicit-def: $sgpr25
	s_waitcnt vmcnt(0) lgkmcnt(0)
	v_cmpx_lt_i16_e32 0x7f, v48
	s_xor_b32 s26, exec_lo, s26
	s_cbranch_execnz .LBB2_1698
; %bb.1498:                             ;   in Loop: Header=BB2_1451 Depth=2
	s_or_saveexec_b32 s26, s26
	v_mov_b32_e32 v96, s25
	s_xor_b32 exec_lo, exec_lo, s26
	s_cbranch_execnz .LBB2_1701
.LBB2_1499:                             ;   in Loop: Header=BB2_1451 Depth=2
	s_or_b32 exec_lo, exec_lo, s26
	s_and_saveexec_b32 s25, s11
	s_cbranch_execz .LBB2_1501
.LBB2_1500:                             ;   in Loop: Header=BB2_1451 Depth=2
	v_and_b32_e32 v96, 0xffff, v48
	v_lshlrev_b32_e32 v48, 24, v48
	s_delay_alu instid0(VALU_DEP_2) | instskip(NEXT) | instid1(VALU_DEP_2)
	v_and_b32_e32 v97, 7, v96
	v_and_b32_e32 v48, 0x80000000, v48
	s_delay_alu instid0(VALU_DEP_2) | instskip(NEXT) | instid1(VALU_DEP_1)
	v_clz_i32_u32_e32 v98, v97
	v_min_u32_e32 v98, 32, v98
	s_delay_alu instid0(VALU_DEP_1) | instskip(SKIP_1) | instid1(VALU_DEP_2)
	v_subrev_nc_u32_e32 v99, 28, v98
	v_sub_nc_u32_e32 v98, 29, v98
	v_lshlrev_b32_e32 v99, v99, v96
	v_bfe_u32 v96, v96, 3, 4
	s_delay_alu instid0(VALU_DEP_2) | instskip(NEXT) | instid1(VALU_DEP_2)
	v_and_b32_e32 v99, 7, v99
	v_cmp_eq_u32_e32 vcc_lo, 0, v96
	s_delay_alu instid0(VALU_DEP_2) | instskip(NEXT) | instid1(VALU_DEP_1)
	v_dual_cndmask_b32 v96, v96, v98 :: v_dual_cndmask_b32 v97, v97, v99
	v_lshl_add_u32 v96, v96, 23, 0x3b800000
	s_delay_alu instid0(VALU_DEP_2) | instskip(NEXT) | instid1(VALU_DEP_1)
	v_lshlrev_b32_e32 v97, 20, v97
	v_or3_b32 v96, v48, v96, v97
.LBB2_1501:                             ;   in Loop: Header=BB2_1451 Depth=2
	s_or_b32 exec_lo, exec_lo, s25
	s_delay_alu instid0(VALU_DEP_1) | instskip(SKIP_1) | instid1(VALU_DEP_1)
	v_dual_mul_f32 v48, v49, v96 :: v_dual_mov_b32 v101, 0x80
	s_mov_b32 s25, exec_lo
	v_and_b32_e32 v96, 0x7f800000, v48
	s_delay_alu instid0(VALU_DEP_1)
	v_cmpx_ne_u32_e32 0x7f800000, v96
	s_cbranch_execz .LBB2_1509
; %bb.1502:                             ;   in Loop: Header=BB2_1451 Depth=2
	v_mov_b32_e32 v101, 0
	s_mov_b32 s26, exec_lo
	v_cmpx_ne_u32_e32 0, v48
	s_cbranch_execz .LBB2_1508
; %bb.1503:                             ;   in Loop: Header=BB2_1451 Depth=2
	v_bfe_u32 v96, v48, 23, 8
	s_delay_alu instid0(VALU_DEP_1) | instskip(SKIP_1) | instid1(VALU_DEP_2)
	v_sub_nc_u32_e32 v98, 0x78, v96
	v_cmp_gt_u32_e32 vcc_lo, 0x79, v96
	v_dual_cndmask_b32 v98, 0, v98 :: v_dual_and_b32 v97, 0x7fffff, v48
	s_delay_alu instid0(VALU_DEP_1) | instskip(SKIP_2) | instid1(VALU_DEP_4)
	v_or_b32_e32 v99, 0x800000, v97
	v_cmp_eq_u32_e32 vcc_lo, 0, v96
	v_add_nc_u32_e32 v96, 0xffffff89, v96
	v_cndmask_b32_e64 v98, v98, 0x77, vcc_lo
	s_delay_alu instid0(VALU_DEP_4) | instskip(NEXT) | instid1(VALU_DEP_3)
	v_cndmask_b32_e32 v97, v99, v97, vcc_lo
	v_cndmask_b32_e64 v96, v96, 0xffffff8a, vcc_lo
	s_delay_alu instid0(VALU_DEP_3) | instskip(NEXT) | instid1(VALU_DEP_3)
	v_lshl_add_u32 v99, 0x100000, v98, -1
	v_lshrrev_b32_e32 v101, v98, v97
	v_lshlrev_b32_e64 v112, v98, 0x80000
	s_delay_alu instid0(VALU_DEP_4) | instskip(NEXT) | instid1(VALU_DEP_4)
	v_add_nc_u32_e32 v98, v98, v96
	v_and_b32_e32 v97, v99, v97
	s_delay_alu instid0(VALU_DEP_4) | instskip(NEXT) | instid1(VALU_DEP_2)
	v_bfe_u32 v103, v101, 20, 1
	v_cmp_eq_u32_e64 s11, v97, v112
	s_delay_alu instid0(VALU_DEP_2) | instskip(NEXT) | instid1(VALU_DEP_1)
	v_add_nc_u32_e32 v99, -1, v103
	v_cndmask_b32_e64 v97, 0, v99, s11
	v_lshrrev_b32_e32 v99, 23, v101
	s_mov_b32 s11, exec_lo
	s_delay_alu instid0(VALU_DEP_2) | instskip(NEXT) | instid1(VALU_DEP_2)
	v_add_nc_u32_e32 v97, v97, v101
	v_xor_b32_e32 v99, 1, v99
	s_delay_alu instid0(VALU_DEP_2) | instskip(NEXT) | instid1(VALU_DEP_1)
	v_and_b32_e32 v96, 0xfffff, v97
	v_add_nc_u32_e32 v97, v96, v101
                                        ; implicit-def: $vgpr96
	s_delay_alu instid0(VALU_DEP_3)
	v_cmpx_ne_u32_e64 v98, v99
	s_xor_b32 s11, exec_lo, s11
; %bb.1504:                             ;   in Loop: Header=BB2_1451 Depth=2
	s_delay_alu instid0(VALU_DEP_2) | instskip(SKIP_2) | instid1(VALU_DEP_2)
	v_cmp_lt_u32_e32 vcc_lo, 0xffffff, v97
	v_sub_nc_u32_e32 v96, v98, v99
	v_cndmask_b32_e64 v98, 0, 1, vcc_lo
	v_add_co_ci_u32_e32 v96, vcc_lo, 0, v96, vcc_lo
	s_delay_alu instid0(VALU_DEP_2)
	v_lshrrev_b32_e32 v97, v98, v97
; %bb.1505:                             ;   in Loop: Header=BB2_1451 Depth=2
	s_and_not1_saveexec_b32 s11, s11
; %bb.1506:                             ;   in Loop: Header=BB2_1451 Depth=2
	s_delay_alu instid0(VALU_DEP_1)
	v_bfe_u32 v96, v97, 23, 1
; %bb.1507:                             ;   in Loop: Header=BB2_1451 Depth=2
	s_or_b32 exec_lo, exec_lo, s11
	v_lshrrev_b32_e32 v97, 20, v97
	s_delay_alu instid0(VALU_DEP_2) | instskip(SKIP_2) | instid1(VALU_DEP_2)
	v_cmp_gt_i32_e32 vcc_lo, 16, v96
	v_lshrrev_b32_e32 v48, 24, v48
	v_min_i32_e32 v98, 15, v96
	v_dual_cndmask_b32 v97, 7, v97 :: v_dual_and_b32 v48, 0x80, v48
	s_delay_alu instid0(VALU_DEP_1) | instskip(SKIP_1) | instid1(VALU_DEP_2)
	v_or_b32_e32 v96, v96, v97
	v_and_b32_e32 v99, 7, v97
	v_cmp_ne_u32_e32 vcc_lo, 0, v96
	v_lshlrev_b32_e32 v98, 3, v98
	s_delay_alu instid0(VALU_DEP_1) | instskip(NEXT) | instid1(VALU_DEP_1)
	v_or3_b32 v48, v98, v48, v99
	v_cndmask_b32_e32 v101, 0, v48, vcc_lo
.LBB2_1508:                             ;   in Loop: Header=BB2_1451 Depth=2
	s_or_b32 exec_lo, exec_lo, s26
.LBB2_1509:                             ;   in Loop: Header=BB2_1451 Depth=2
	s_delay_alu instid0(SALU_CYCLE_1)
	s_or_b32 exec_lo, exec_lo, s25
	flat_load_u8 v48, v[10:11] offset:128 slc dlc
	s_mov_b32 s11, 0
	s_mov_b32 s26, exec_lo
                                        ; implicit-def: $sgpr25
	s_waitcnt vmcnt(0) lgkmcnt(0)
	v_cmpx_lt_i16_e32 0x7f, v48
	s_xor_b32 s26, exec_lo, s26
	s_cbranch_execnz .LBB2_1702
; %bb.1510:                             ;   in Loop: Header=BB2_1451 Depth=2
	s_or_saveexec_b32 s26, s26
	v_mov_b32_e32 v96, s25
	s_xor_b32 exec_lo, exec_lo, s26
	s_cbranch_execnz .LBB2_1705
.LBB2_1511:                             ;   in Loop: Header=BB2_1451 Depth=2
	s_or_b32 exec_lo, exec_lo, s26
	s_and_saveexec_b32 s25, s11
	s_cbranch_execz .LBB2_1513
.LBB2_1512:                             ;   in Loop: Header=BB2_1451 Depth=2
	v_and_b32_e32 v96, 0xffff, v48
	v_lshlrev_b32_e32 v48, 24, v48
	s_delay_alu instid0(VALU_DEP_2) | instskip(NEXT) | instid1(VALU_DEP_2)
	v_and_b32_e32 v97, 7, v96
	v_and_b32_e32 v48, 0x80000000, v48
	s_delay_alu instid0(VALU_DEP_2) | instskip(NEXT) | instid1(VALU_DEP_1)
	v_clz_i32_u32_e32 v98, v97
	v_min_u32_e32 v98, 32, v98
	s_delay_alu instid0(VALU_DEP_1) | instskip(SKIP_1) | instid1(VALU_DEP_2)
	v_subrev_nc_u32_e32 v99, 28, v98
	v_sub_nc_u32_e32 v98, 29, v98
	v_lshlrev_b32_e32 v99, v99, v96
	v_bfe_u32 v96, v96, 3, 4
	s_delay_alu instid0(VALU_DEP_2) | instskip(NEXT) | instid1(VALU_DEP_2)
	v_and_b32_e32 v99, 7, v99
	v_cmp_eq_u32_e32 vcc_lo, 0, v96
	s_delay_alu instid0(VALU_DEP_2) | instskip(NEXT) | instid1(VALU_DEP_1)
	v_dual_cndmask_b32 v96, v96, v98 :: v_dual_cndmask_b32 v97, v97, v99
	v_lshl_add_u32 v96, v96, 23, 0x3b800000
	s_delay_alu instid0(VALU_DEP_2) | instskip(NEXT) | instid1(VALU_DEP_1)
	v_lshlrev_b32_e32 v97, 20, v97
	v_or3_b32 v96, v48, v96, v97
.LBB2_1513:                             ;   in Loop: Header=BB2_1451 Depth=2
	s_or_b32 exec_lo, exec_lo, s25
	s_delay_alu instid0(VALU_DEP_1) | instskip(SKIP_1) | instid1(VALU_DEP_1)
	v_dual_mul_f32 v48, v49, v96 :: v_dual_mov_b32 v99, 0x80
	s_mov_b32 s25, exec_lo
	v_and_b32_e32 v96, 0x7f800000, v48
	s_delay_alu instid0(VALU_DEP_1)
	v_cmpx_ne_u32_e32 0x7f800000, v96
	s_cbranch_execz .LBB2_1521
; %bb.1514:                             ;   in Loop: Header=BB2_1451 Depth=2
	v_mov_b32_e32 v99, 0
	s_mov_b32 s26, exec_lo
	v_cmpx_ne_u32_e32 0, v48
	s_cbranch_execz .LBB2_1520
; %bb.1515:                             ;   in Loop: Header=BB2_1451 Depth=2
	v_bfe_u32 v96, v48, 23, 8
	s_delay_alu instid0(VALU_DEP_1) | instskip(SKIP_1) | instid1(VALU_DEP_2)
	v_sub_nc_u32_e32 v98, 0x78, v96
	v_cmp_gt_u32_e32 vcc_lo, 0x79, v96
	v_dual_cndmask_b32 v98, 0, v98 :: v_dual_and_b32 v97, 0x7fffff, v48
	s_delay_alu instid0(VALU_DEP_1) | instskip(SKIP_2) | instid1(VALU_DEP_4)
	v_or_b32_e32 v99, 0x800000, v97
	v_cmp_eq_u32_e32 vcc_lo, 0, v96
	v_add_nc_u32_e32 v96, 0xffffff89, v96
	v_cndmask_b32_e64 v98, v98, 0x77, vcc_lo
	s_delay_alu instid0(VALU_DEP_4) | instskip(NEXT) | instid1(VALU_DEP_3)
	v_cndmask_b32_e32 v97, v99, v97, vcc_lo
	v_cndmask_b32_e64 v96, v96, 0xffffff8a, vcc_lo
	s_delay_alu instid0(VALU_DEP_3) | instskip(NEXT) | instid1(VALU_DEP_3)
	v_lshl_add_u32 v99, 0x100000, v98, -1
	v_lshrrev_b32_e32 v103, v98, v97
	v_lshlrev_b32_e64 v113, v98, 0x80000
	s_delay_alu instid0(VALU_DEP_4) | instskip(NEXT) | instid1(VALU_DEP_4)
	v_add_nc_u32_e32 v98, v98, v96
	v_and_b32_e32 v97, v99, v97
	s_delay_alu instid0(VALU_DEP_4) | instskip(NEXT) | instid1(VALU_DEP_2)
	v_bfe_u32 v112, v103, 20, 1
	v_cmp_eq_u32_e64 s11, v97, v113
	s_delay_alu instid0(VALU_DEP_2) | instskip(NEXT) | instid1(VALU_DEP_1)
	v_add_nc_u32_e32 v99, -1, v112
	v_cndmask_b32_e64 v97, 0, v99, s11
	v_lshrrev_b32_e32 v99, 23, v103
	s_mov_b32 s11, exec_lo
	s_delay_alu instid0(VALU_DEP_2) | instskip(NEXT) | instid1(VALU_DEP_2)
	v_add_nc_u32_e32 v97, v97, v103
	v_xor_b32_e32 v99, 1, v99
	s_delay_alu instid0(VALU_DEP_2) | instskip(NEXT) | instid1(VALU_DEP_1)
	v_and_b32_e32 v96, 0xfffff, v97
	v_add_nc_u32_e32 v97, v96, v103
                                        ; implicit-def: $vgpr96
	s_delay_alu instid0(VALU_DEP_3)
	v_cmpx_ne_u32_e64 v98, v99
	s_xor_b32 s11, exec_lo, s11
; %bb.1516:                             ;   in Loop: Header=BB2_1451 Depth=2
	s_delay_alu instid0(VALU_DEP_2) | instskip(SKIP_2) | instid1(VALU_DEP_2)
	v_cmp_lt_u32_e32 vcc_lo, 0xffffff, v97
	v_sub_nc_u32_e32 v96, v98, v99
	v_cndmask_b32_e64 v98, 0, 1, vcc_lo
	v_add_co_ci_u32_e32 v96, vcc_lo, 0, v96, vcc_lo
	s_delay_alu instid0(VALU_DEP_2)
	v_lshrrev_b32_e32 v97, v98, v97
; %bb.1517:                             ;   in Loop: Header=BB2_1451 Depth=2
	s_and_not1_saveexec_b32 s11, s11
; %bb.1518:                             ;   in Loop: Header=BB2_1451 Depth=2
	s_delay_alu instid0(VALU_DEP_1)
	v_bfe_u32 v96, v97, 23, 1
; %bb.1519:                             ;   in Loop: Header=BB2_1451 Depth=2
	s_or_b32 exec_lo, exec_lo, s11
	v_lshrrev_b32_e32 v97, 20, v97
	s_delay_alu instid0(VALU_DEP_2) | instskip(SKIP_2) | instid1(VALU_DEP_2)
	v_cmp_gt_i32_e32 vcc_lo, 16, v96
	v_lshrrev_b32_e32 v48, 24, v48
	v_min_i32_e32 v98, 15, v96
	v_dual_cndmask_b32 v97, 7, v97 :: v_dual_and_b32 v48, 0x80, v48
	s_delay_alu instid0(VALU_DEP_1) | instskip(SKIP_1) | instid1(VALU_DEP_2)
	v_or_b32_e32 v96, v96, v97
	v_and_b32_e32 v99, 7, v97
	v_cmp_ne_u32_e32 vcc_lo, 0, v96
	v_lshlrev_b32_e32 v98, 3, v98
	s_delay_alu instid0(VALU_DEP_1) | instskip(NEXT) | instid1(VALU_DEP_1)
	v_or3_b32 v48, v98, v48, v99
	v_cndmask_b32_e32 v99, 0, v48, vcc_lo
.LBB2_1520:                             ;   in Loop: Header=BB2_1451 Depth=2
	s_or_b32 exec_lo, exec_lo, s26
.LBB2_1521:                             ;   in Loop: Header=BB2_1451 Depth=2
	s_delay_alu instid0(SALU_CYCLE_1)
	s_or_b32 exec_lo, exec_lo, s25
	flat_load_u8 v48, v[10:11] offset:160 slc dlc
	s_mov_b32 s11, 0
	s_mov_b32 s26, exec_lo
                                        ; implicit-def: $sgpr25
	s_waitcnt vmcnt(0) lgkmcnt(0)
	v_cmpx_lt_i16_e32 0x7f, v48
	s_xor_b32 s26, exec_lo, s26
	s_cbranch_execnz .LBB2_1706
; %bb.1522:                             ;   in Loop: Header=BB2_1451 Depth=2
	s_or_saveexec_b32 s26, s26
	v_mov_b32_e32 v96, s25
	s_xor_b32 exec_lo, exec_lo, s26
	s_cbranch_execnz .LBB2_1709
.LBB2_1523:                             ;   in Loop: Header=BB2_1451 Depth=2
	s_or_b32 exec_lo, exec_lo, s26
	s_and_saveexec_b32 s25, s11
	s_cbranch_execz .LBB2_1525
.LBB2_1524:                             ;   in Loop: Header=BB2_1451 Depth=2
	v_and_b32_e32 v96, 0xffff, v48
	v_lshlrev_b32_e32 v48, 24, v48
	s_delay_alu instid0(VALU_DEP_2) | instskip(NEXT) | instid1(VALU_DEP_2)
	v_and_b32_e32 v97, 7, v96
	v_and_b32_e32 v48, 0x80000000, v48
	s_delay_alu instid0(VALU_DEP_2) | instskip(NEXT) | instid1(VALU_DEP_1)
	v_clz_i32_u32_e32 v98, v97
	v_min_u32_e32 v98, 32, v98
	s_delay_alu instid0(VALU_DEP_1) | instskip(SKIP_1) | instid1(VALU_DEP_2)
	v_subrev_nc_u32_e32 v103, 28, v98
	v_sub_nc_u32_e32 v98, 29, v98
	v_lshlrev_b32_e32 v103, v103, v96
	v_bfe_u32 v96, v96, 3, 4
	s_delay_alu instid0(VALU_DEP_2) | instskip(NEXT) | instid1(VALU_DEP_2)
	v_and_b32_e32 v103, 7, v103
	v_cmp_eq_u32_e32 vcc_lo, 0, v96
	s_delay_alu instid0(VALU_DEP_2) | instskip(NEXT) | instid1(VALU_DEP_1)
	v_dual_cndmask_b32 v96, v96, v98 :: v_dual_cndmask_b32 v97, v97, v103
	v_lshl_add_u32 v96, v96, 23, 0x3b800000
	s_delay_alu instid0(VALU_DEP_2) | instskip(NEXT) | instid1(VALU_DEP_1)
	v_lshlrev_b32_e32 v97, 20, v97
	v_or3_b32 v96, v48, v96, v97
.LBB2_1525:                             ;   in Loop: Header=BB2_1451 Depth=2
	s_or_b32 exec_lo, exec_lo, s25
	s_delay_alu instid0(VALU_DEP_1) | instskip(SKIP_1) | instid1(VALU_DEP_1)
	v_dual_mul_f32 v48, v49, v96 :: v_dual_mov_b32 v97, 0x80
	s_mov_b32 s25, exec_lo
	v_and_b32_e32 v96, 0x7f800000, v48
	s_delay_alu instid0(VALU_DEP_1)
	v_cmpx_ne_u32_e32 0x7f800000, v96
	s_cbranch_execz .LBB2_1533
; %bb.1526:                             ;   in Loop: Header=BB2_1451 Depth=2
	v_mov_b32_e32 v97, 0
	s_mov_b32 s26, exec_lo
	v_cmpx_ne_u32_e32 0, v48
	s_cbranch_execz .LBB2_1532
; %bb.1527:                             ;   in Loop: Header=BB2_1451 Depth=2
	v_bfe_u32 v96, v48, 23, 8
	s_delay_alu instid0(VALU_DEP_1) | instskip(SKIP_1) | instid1(VALU_DEP_2)
	v_sub_nc_u32_e32 v98, 0x78, v96
	v_cmp_gt_u32_e32 vcc_lo, 0x79, v96
	v_dual_cndmask_b32 v98, 0, v98 :: v_dual_and_b32 v97, 0x7fffff, v48
	s_delay_alu instid0(VALU_DEP_1) | instskip(SKIP_2) | instid1(VALU_DEP_4)
	v_or_b32_e32 v103, 0x800000, v97
	v_cmp_eq_u32_e32 vcc_lo, 0, v96
	v_add_nc_u32_e32 v96, 0xffffff89, v96
	v_cndmask_b32_e64 v98, v98, 0x77, vcc_lo
	s_delay_alu instid0(VALU_DEP_4) | instskip(NEXT) | instid1(VALU_DEP_3)
	v_cndmask_b32_e32 v97, v103, v97, vcc_lo
	v_cndmask_b32_e64 v96, v96, 0xffffff8a, vcc_lo
	s_delay_alu instid0(VALU_DEP_3) | instskip(NEXT) | instid1(VALU_DEP_3)
	v_lshl_add_u32 v103, 0x100000, v98, -1
	v_lshrrev_b32_e32 v112, v98, v97
	v_lshlrev_b32_e64 v114, v98, 0x80000
	s_delay_alu instid0(VALU_DEP_4) | instskip(NEXT) | instid1(VALU_DEP_4)
	v_add_nc_u32_e32 v98, v98, v96
	v_and_b32_e32 v97, v103, v97
	s_delay_alu instid0(VALU_DEP_4) | instskip(NEXT) | instid1(VALU_DEP_2)
	v_bfe_u32 v113, v112, 20, 1
	v_cmp_eq_u32_e64 s11, v97, v114
	s_delay_alu instid0(VALU_DEP_2) | instskip(NEXT) | instid1(VALU_DEP_1)
	v_add_nc_u32_e32 v103, -1, v113
	v_cndmask_b32_e64 v97, 0, v103, s11
	v_lshrrev_b32_e32 v103, 23, v112
	s_mov_b32 s11, exec_lo
	s_delay_alu instid0(VALU_DEP_2) | instskip(NEXT) | instid1(VALU_DEP_2)
	v_add_nc_u32_e32 v97, v97, v112
	v_xor_b32_e32 v103, 1, v103
	s_delay_alu instid0(VALU_DEP_2) | instskip(NEXT) | instid1(VALU_DEP_1)
	v_and_b32_e32 v96, 0xfffff, v97
	v_add_nc_u32_e32 v97, v96, v112
                                        ; implicit-def: $vgpr96
	s_delay_alu instid0(VALU_DEP_3)
	v_cmpx_ne_u32_e64 v98, v103
	s_xor_b32 s11, exec_lo, s11
; %bb.1528:                             ;   in Loop: Header=BB2_1451 Depth=2
	s_delay_alu instid0(VALU_DEP_2) | instskip(SKIP_2) | instid1(VALU_DEP_2)
	v_cmp_lt_u32_e32 vcc_lo, 0xffffff, v97
	v_sub_nc_u32_e32 v96, v98, v103
	v_cndmask_b32_e64 v98, 0, 1, vcc_lo
	v_add_co_ci_u32_e32 v96, vcc_lo, 0, v96, vcc_lo
	s_delay_alu instid0(VALU_DEP_2)
	v_lshrrev_b32_e32 v97, v98, v97
; %bb.1529:                             ;   in Loop: Header=BB2_1451 Depth=2
	s_and_not1_saveexec_b32 s11, s11
; %bb.1530:                             ;   in Loop: Header=BB2_1451 Depth=2
	s_delay_alu instid0(VALU_DEP_1)
	v_bfe_u32 v96, v97, 23, 1
; %bb.1531:                             ;   in Loop: Header=BB2_1451 Depth=2
	s_or_b32 exec_lo, exec_lo, s11
	v_lshrrev_b32_e32 v97, 20, v97
	s_delay_alu instid0(VALU_DEP_2) | instskip(SKIP_2) | instid1(VALU_DEP_2)
	v_cmp_gt_i32_e32 vcc_lo, 16, v96
	v_lshrrev_b32_e32 v48, 24, v48
	v_min_i32_e32 v98, 15, v96
	v_dual_cndmask_b32 v97, 7, v97 :: v_dual_and_b32 v48, 0x80, v48
	s_delay_alu instid0(VALU_DEP_1) | instskip(SKIP_1) | instid1(VALU_DEP_2)
	v_or_b32_e32 v96, v96, v97
	v_and_b32_e32 v103, 7, v97
	v_cmp_ne_u32_e32 vcc_lo, 0, v96
	v_lshlrev_b32_e32 v98, 3, v98
	s_delay_alu instid0(VALU_DEP_1) | instskip(NEXT) | instid1(VALU_DEP_1)
	v_or3_b32 v48, v98, v48, v103
	v_cndmask_b32_e32 v97, 0, v48, vcc_lo
.LBB2_1532:                             ;   in Loop: Header=BB2_1451 Depth=2
	s_or_b32 exec_lo, exec_lo, s26
.LBB2_1533:                             ;   in Loop: Header=BB2_1451 Depth=2
	s_delay_alu instid0(SALU_CYCLE_1)
	s_or_b32 exec_lo, exec_lo, s25
	flat_load_u8 v48, v[10:11] offset:192 slc dlc
	s_mov_b32 s11, 0
	s_mov_b32 s26, exec_lo
                                        ; implicit-def: $sgpr25
	s_waitcnt vmcnt(0) lgkmcnt(0)
	v_cmpx_lt_i16_e32 0x7f, v48
	s_xor_b32 s26, exec_lo, s26
	s_cbranch_execnz .LBB2_1710
; %bb.1534:                             ;   in Loop: Header=BB2_1451 Depth=2
	s_or_saveexec_b32 s26, s26
	v_mov_b32_e32 v96, s25
	s_xor_b32 exec_lo, exec_lo, s26
	s_cbranch_execnz .LBB2_1713
.LBB2_1535:                             ;   in Loop: Header=BB2_1451 Depth=2
	s_or_b32 exec_lo, exec_lo, s26
	s_and_saveexec_b32 s25, s11
	s_cbranch_execz .LBB2_1537
.LBB2_1536:                             ;   in Loop: Header=BB2_1451 Depth=2
	v_and_b32_e32 v96, 0xffff, v48
	v_lshlrev_b32_e32 v48, 24, v48
	s_delay_alu instid0(VALU_DEP_2) | instskip(NEXT) | instid1(VALU_DEP_2)
	v_and_b32_e32 v98, 7, v96
	v_and_b32_e32 v48, 0x80000000, v48
	s_delay_alu instid0(VALU_DEP_2) | instskip(NEXT) | instid1(VALU_DEP_1)
	v_clz_i32_u32_e32 v103, v98
	v_min_u32_e32 v103, 32, v103
	s_delay_alu instid0(VALU_DEP_1) | instskip(SKIP_1) | instid1(VALU_DEP_2)
	v_subrev_nc_u32_e32 v112, 28, v103
	v_sub_nc_u32_e32 v103, 29, v103
	v_lshlrev_b32_e32 v112, v112, v96
	v_bfe_u32 v96, v96, 3, 4
	s_delay_alu instid0(VALU_DEP_2) | instskip(NEXT) | instid1(VALU_DEP_2)
	v_and_b32_e32 v112, 7, v112
	v_cmp_eq_u32_e32 vcc_lo, 0, v96
	v_cndmask_b32_e32 v96, v96, v103, vcc_lo
	s_delay_alu instid0(VALU_DEP_3) | instskip(NEXT) | instid1(VALU_DEP_2)
	v_cndmask_b32_e32 v98, v98, v112, vcc_lo
	v_lshl_add_u32 v96, v96, 23, 0x3b800000
	s_delay_alu instid0(VALU_DEP_2) | instskip(NEXT) | instid1(VALU_DEP_1)
	v_lshlrev_b32_e32 v98, 20, v98
	v_or3_b32 v96, v48, v96, v98
.LBB2_1537:                             ;   in Loop: Header=BB2_1451 Depth=2
	s_or_b32 exec_lo, exec_lo, s25
	s_delay_alu instid0(VALU_DEP_1) | instskip(NEXT) | instid1(VALU_DEP_1)
	v_mul_f32_e32 v48, v49, v96
	v_and_b32_e32 v96, 0x7f800000, v48
	s_delay_alu instid0(VALU_DEP_1)
	v_cmp_ne_u32_e32 vcc_lo, 0x7f800000, v96
	v_mov_b32_e32 v96, 0x80
	s_and_saveexec_b32 s25, vcc_lo
	s_cbranch_execz .LBB2_1545
; %bb.1538:                             ;   in Loop: Header=BB2_1451 Depth=2
	v_mov_b32_e32 v96, 0
	s_mov_b32 s26, exec_lo
	v_cmpx_ne_u32_e32 0, v48
	s_cbranch_execz .LBB2_1544
; %bb.1539:                             ;   in Loop: Header=BB2_1451 Depth=2
	v_bfe_u32 v96, v48, 23, 8
	s_delay_alu instid0(VALU_DEP_1) | instskip(SKIP_1) | instid1(VALU_DEP_2)
	v_sub_nc_u32_e32 v103, 0x78, v96
	v_cmp_gt_u32_e32 vcc_lo, 0x79, v96
	v_dual_cndmask_b32 v103, 0, v103 :: v_dual_and_b32 v98, 0x7fffff, v48
	s_delay_alu instid0(VALU_DEP_1) | instskip(SKIP_2) | instid1(VALU_DEP_4)
	v_or_b32_e32 v112, 0x800000, v98
	v_cmp_eq_u32_e32 vcc_lo, 0, v96
	v_add_nc_u32_e32 v96, 0xffffff89, v96
	v_cndmask_b32_e64 v103, v103, 0x77, vcc_lo
	s_delay_alu instid0(VALU_DEP_2) | instskip(SKIP_1) | instid1(VALU_DEP_3)
	v_cndmask_b32_e64 v96, v96, 0xffffff8a, vcc_lo
	v_cndmask_b32_e32 v98, v112, v98, vcc_lo
	v_lshl_add_u32 v112, 0x100000, v103, -1
	v_lshlrev_b32_e64 v115, v103, 0x80000
	s_delay_alu instid0(VALU_DEP_3) | instskip(SKIP_1) | instid1(VALU_DEP_4)
	v_lshrrev_b32_e32 v113, v103, v98
	v_add_nc_u32_e32 v103, v103, v96
	v_and_b32_e32 v98, v112, v98
	s_delay_alu instid0(VALU_DEP_3) | instskip(NEXT) | instid1(VALU_DEP_2)
	v_bfe_u32 v114, v113, 20, 1
	v_cmp_eq_u32_e64 s11, v98, v115
	s_delay_alu instid0(VALU_DEP_2) | instskip(NEXT) | instid1(VALU_DEP_1)
	v_add_nc_u32_e32 v112, -1, v114
	v_cndmask_b32_e64 v98, 0, v112, s11
	v_lshrrev_b32_e32 v112, 23, v113
	s_mov_b32 s11, exec_lo
	s_delay_alu instid0(VALU_DEP_2) | instskip(NEXT) | instid1(VALU_DEP_2)
	v_add_nc_u32_e32 v98, v98, v113
	v_xor_b32_e32 v112, 1, v112
	s_delay_alu instid0(VALU_DEP_2) | instskip(NEXT) | instid1(VALU_DEP_1)
	v_and_b32_e32 v96, 0xfffff, v98
	v_add_nc_u32_e32 v98, v96, v113
                                        ; implicit-def: $vgpr96
	s_delay_alu instid0(VALU_DEP_3)
	v_cmpx_ne_u32_e64 v103, v112
	s_xor_b32 s11, exec_lo, s11
; %bb.1540:                             ;   in Loop: Header=BB2_1451 Depth=2
	s_delay_alu instid0(VALU_DEP_2) | instskip(SKIP_2) | instid1(VALU_DEP_2)
	v_cmp_lt_u32_e32 vcc_lo, 0xffffff, v98
	v_sub_nc_u32_e32 v96, v103, v112
	v_cndmask_b32_e64 v103, 0, 1, vcc_lo
	v_add_co_ci_u32_e32 v96, vcc_lo, 0, v96, vcc_lo
	s_delay_alu instid0(VALU_DEP_2)
	v_lshrrev_b32_e32 v98, v103, v98
; %bb.1541:                             ;   in Loop: Header=BB2_1451 Depth=2
	s_and_not1_saveexec_b32 s11, s11
; %bb.1542:                             ;   in Loop: Header=BB2_1451 Depth=2
	s_delay_alu instid0(VALU_DEP_1)
	v_bfe_u32 v96, v98, 23, 1
; %bb.1543:                             ;   in Loop: Header=BB2_1451 Depth=2
	s_or_b32 exec_lo, exec_lo, s11
	v_lshrrev_b32_e32 v98, 20, v98
	s_delay_alu instid0(VALU_DEP_2) | instskip(SKIP_2) | instid1(VALU_DEP_4)
	v_cmp_gt_i32_e32 vcc_lo, 16, v96
	v_lshrrev_b32_e32 v48, 24, v48
	v_min_i32_e32 v103, 15, v96
	v_cndmask_b32_e32 v98, 7, v98, vcc_lo
	s_delay_alu instid0(VALU_DEP_3) | instskip(NEXT) | instid1(VALU_DEP_3)
	v_and_b32_e32 v48, 0x80, v48
	v_lshlrev_b32_e32 v103, 3, v103
	s_delay_alu instid0(VALU_DEP_3) | instskip(SKIP_1) | instid1(VALU_DEP_2)
	v_and_b32_e32 v112, 7, v98
	v_or_b32_e32 v96, v96, v98
	v_or3_b32 v48, v103, v48, v112
	s_delay_alu instid0(VALU_DEP_2) | instskip(NEXT) | instid1(VALU_DEP_2)
	v_cmp_ne_u32_e32 vcc_lo, 0, v96
	v_cndmask_b32_e32 v96, 0, v48, vcc_lo
.LBB2_1544:                             ;   in Loop: Header=BB2_1451 Depth=2
	s_or_b32 exec_lo, exec_lo, s26
.LBB2_1545:                             ;   in Loop: Header=BB2_1451 Depth=2
	s_delay_alu instid0(SALU_CYCLE_1)
	s_or_b32 exec_lo, exec_lo, s25
	flat_load_u8 v48, v[10:11] offset:224 slc dlc
	s_mov_b32 s11, 0
	s_mov_b32 s26, exec_lo
                                        ; implicit-def: $sgpr25
	s_waitcnt vmcnt(0) lgkmcnt(0)
	v_cmpx_lt_i16_e32 0x7f, v48
	s_xor_b32 s26, exec_lo, s26
	s_cbranch_execnz .LBB2_1714
; %bb.1546:                             ;   in Loop: Header=BB2_1451 Depth=2
	s_or_saveexec_b32 s26, s26
	v_mov_b32_e32 v98, s25
	s_xor_b32 exec_lo, exec_lo, s26
	s_cbranch_execnz .LBB2_1717
.LBB2_1547:                             ;   in Loop: Header=BB2_1451 Depth=2
	s_or_b32 exec_lo, exec_lo, s26
	s_and_saveexec_b32 s25, s11
	s_cbranch_execz .LBB2_1549
.LBB2_1548:                             ;   in Loop: Header=BB2_1451 Depth=2
	v_and_b32_e32 v98, 0xffff, v48
	v_lshlrev_b32_e32 v48, 24, v48
	s_delay_alu instid0(VALU_DEP_2) | instskip(NEXT) | instid1(VALU_DEP_2)
	v_and_b32_e32 v103, 7, v98
	v_and_b32_e32 v48, 0x80000000, v48
	s_delay_alu instid0(VALU_DEP_2) | instskip(NEXT) | instid1(VALU_DEP_1)
	v_clz_i32_u32_e32 v112, v103
	v_min_u32_e32 v112, 32, v112
	s_delay_alu instid0(VALU_DEP_1) | instskip(SKIP_1) | instid1(VALU_DEP_2)
	v_subrev_nc_u32_e32 v113, 28, v112
	v_sub_nc_u32_e32 v112, 29, v112
	v_lshlrev_b32_e32 v113, v113, v98
	v_bfe_u32 v98, v98, 3, 4
	s_delay_alu instid0(VALU_DEP_2) | instskip(NEXT) | instid1(VALU_DEP_2)
	v_and_b32_e32 v113, 7, v113
	v_cmp_eq_u32_e32 vcc_lo, 0, v98
	s_delay_alu instid0(VALU_DEP_2) | instskip(NEXT) | instid1(VALU_DEP_1)
	v_dual_cndmask_b32 v98, v98, v112 :: v_dual_cndmask_b32 v103, v103, v113
	v_lshl_add_u32 v98, v98, 23, 0x3b800000
	s_delay_alu instid0(VALU_DEP_2) | instskip(NEXT) | instid1(VALU_DEP_1)
	v_lshlrev_b32_e32 v103, 20, v103
	v_or3_b32 v98, v48, v98, v103
.LBB2_1549:                             ;   in Loop: Header=BB2_1451 Depth=2
	s_or_b32 exec_lo, exec_lo, s25
	s_delay_alu instid0(VALU_DEP_1) | instskip(NEXT) | instid1(VALU_DEP_1)
	v_mul_f32_e32 v48, v49, v98
	v_and_b32_e32 v49, 0x7f800000, v48
	s_delay_alu instid0(VALU_DEP_1)
	v_cmp_ne_u32_e32 vcc_lo, 0x7f800000, v49
	v_mov_b32_e32 v49, 0x80
	s_and_saveexec_b32 s25, vcc_lo
	s_cbranch_execz .LBB2_1557
; %bb.1550:                             ;   in Loop: Header=BB2_1451 Depth=2
	v_mov_b32_e32 v49, 0
	s_mov_b32 s26, exec_lo
	v_cmpx_ne_u32_e32 0, v48
	s_cbranch_execz .LBB2_1556
; %bb.1551:                             ;   in Loop: Header=BB2_1451 Depth=2
	v_bfe_u32 v49, v48, 23, 8
	s_delay_alu instid0(VALU_DEP_1) | instskip(SKIP_1) | instid1(VALU_DEP_2)
	v_sub_nc_u32_e32 v103, 0x78, v49
	v_cmp_gt_u32_e32 vcc_lo, 0x79, v49
	v_dual_cndmask_b32 v103, 0, v103 :: v_dual_and_b32 v98, 0x7fffff, v48
	s_delay_alu instid0(VALU_DEP_1) | instskip(SKIP_2) | instid1(VALU_DEP_4)
	v_or_b32_e32 v112, 0x800000, v98
	v_cmp_eq_u32_e32 vcc_lo, 0, v49
	v_add_nc_u32_e32 v49, 0xffffff89, v49
	v_cndmask_b32_e64 v103, v103, 0x77, vcc_lo
	s_delay_alu instid0(VALU_DEP_4) | instskip(NEXT) | instid1(VALU_DEP_3)
	v_cndmask_b32_e32 v98, v112, v98, vcc_lo
	v_cndmask_b32_e64 v49, v49, 0xffffff8a, vcc_lo
	s_delay_alu instid0(VALU_DEP_3) | instskip(NEXT) | instid1(VALU_DEP_3)
	v_lshl_add_u32 v112, 0x100000, v103, -1
	v_lshrrev_b32_e32 v113, v103, v98
	v_lshlrev_b32_e64 v115, v103, 0x80000
	s_delay_alu instid0(VALU_DEP_4) | instskip(NEXT) | instid1(VALU_DEP_4)
	v_add_nc_u32_e32 v103, v103, v49
	v_and_b32_e32 v98, v112, v98
	s_delay_alu instid0(VALU_DEP_4) | instskip(NEXT) | instid1(VALU_DEP_2)
	v_bfe_u32 v114, v113, 20, 1
	v_cmp_eq_u32_e64 s11, v98, v115
	s_delay_alu instid0(VALU_DEP_2) | instskip(NEXT) | instid1(VALU_DEP_1)
	v_add_nc_u32_e32 v112, -1, v114
	v_cndmask_b32_e64 v98, 0, v112, s11
	v_lshrrev_b32_e32 v112, 23, v113
	s_mov_b32 s11, exec_lo
	s_delay_alu instid0(VALU_DEP_2) | instskip(NEXT) | instid1(VALU_DEP_2)
	v_add_nc_u32_e32 v98, v98, v113
	v_xor_b32_e32 v112, 1, v112
	s_delay_alu instid0(VALU_DEP_2) | instskip(NEXT) | instid1(VALU_DEP_1)
	v_and_b32_e32 v49, 0xfffff, v98
	v_add_nc_u32_e32 v98, v49, v113
                                        ; implicit-def: $vgpr49
	s_delay_alu instid0(VALU_DEP_3)
	v_cmpx_ne_u32_e64 v103, v112
	s_xor_b32 s11, exec_lo, s11
; %bb.1552:                             ;   in Loop: Header=BB2_1451 Depth=2
	s_delay_alu instid0(VALU_DEP_2) | instskip(SKIP_2) | instid1(VALU_DEP_2)
	v_cmp_lt_u32_e32 vcc_lo, 0xffffff, v98
	v_sub_nc_u32_e32 v49, v103, v112
	v_cndmask_b32_e64 v103, 0, 1, vcc_lo
	v_add_co_ci_u32_e32 v49, vcc_lo, 0, v49, vcc_lo
	s_delay_alu instid0(VALU_DEP_2)
	v_lshrrev_b32_e32 v98, v103, v98
; %bb.1553:                             ;   in Loop: Header=BB2_1451 Depth=2
	s_and_not1_saveexec_b32 s11, s11
; %bb.1554:                             ;   in Loop: Header=BB2_1451 Depth=2
	s_delay_alu instid0(VALU_DEP_1)
	v_bfe_u32 v49, v98, 23, 1
; %bb.1555:                             ;   in Loop: Header=BB2_1451 Depth=2
	s_or_b32 exec_lo, exec_lo, s11
	v_lshrrev_b32_e32 v98, 20, v98
	s_delay_alu instid0(VALU_DEP_2) | instskip(SKIP_2) | instid1(VALU_DEP_2)
	v_cmp_gt_i32_e32 vcc_lo, 16, v49
	v_min_i32_e32 v103, 15, v49
	v_lshrrev_b32_e32 v48, 24, v48
	v_dual_cndmask_b32 v98, 7, v98 :: v_dual_lshlrev_b32 v103, 3, v103
	s_delay_alu instid0(VALU_DEP_2) | instskip(NEXT) | instid1(VALU_DEP_2)
	v_and_b32_e32 v48, 0x80, v48
	v_or_b32_e32 v49, v49, v98
	s_delay_alu instid0(VALU_DEP_1) | instskip(SKIP_1) | instid1(VALU_DEP_1)
	v_cmp_ne_u32_e32 vcc_lo, 0, v49
	v_and_b32_e32 v112, 7, v98
	v_or3_b32 v48, v103, v48, v112
	s_delay_alu instid0(VALU_DEP_1)
	v_cndmask_b32_e32 v49, 0, v48, vcc_lo
.LBB2_1556:                             ;   in Loop: Header=BB2_1451 Depth=2
	s_or_b32 exec_lo, exec_lo, s26
.LBB2_1557:                             ;   in Loop: Header=BB2_1451 Depth=2
	s_delay_alu instid0(SALU_CYCLE_1)
	s_or_b32 exec_lo, exec_lo, s25
	s_clause 0x7
	flat_load_u8 v116, v[12:13] slc dlc
	flat_load_u8 v115, v[12:13] offset:32 slc dlc
	flat_load_u8 v114, v[12:13] offset:64 slc dlc
	;; [unrolled: 1-line block ×7, first 2 shown]
	v_and_b32_e32 v118, 0xff, v87
	s_mov_b32 s11, 0
	s_mov_b32 s26, exec_lo
                                        ; implicit-def: $sgpr25
	s_delay_alu instid0(VALU_DEP_1)
	v_cmpx_lt_i16_e32 0x7f, v118
	s_xor_b32 s26, exec_lo, s26
	s_cbranch_execnz .LBB2_1718
; %bb.1558:                             ;   in Loop: Header=BB2_1451 Depth=2
	s_or_saveexec_b32 s26, s26
	v_mov_b32_e32 v117, s25
	s_xor_b32 exec_lo, exec_lo, s26
	s_cbranch_execnz .LBB2_1721
.LBB2_1559:                             ;   in Loop: Header=BB2_1451 Depth=2
	s_or_b32 exec_lo, exec_lo, s26
	s_and_saveexec_b32 s25, s11
	s_cbranch_execz .LBB2_1561
.LBB2_1560:                             ;   in Loop: Header=BB2_1451 Depth=2
	v_lshrrev_b16 v128, 3, v87
	s_delay_alu instid0(VALU_DEP_1) | instskip(NEXT) | instid1(VALU_DEP_1)
	v_and_b32_e32 v128, 15, v128
	v_cmp_eq_u32_e32 vcc_lo, 0, v128
	v_and_b32_e32 v117, 7, v87
	s_delay_alu instid0(VALU_DEP_1) | instskip(NEXT) | instid1(VALU_DEP_1)
	v_clz_i32_u32_e32 v118, v117
	v_min_u32_e32 v118, 32, v118
	s_delay_alu instid0(VALU_DEP_1) | instskip(SKIP_1) | instid1(VALU_DEP_1)
	v_subrev_nc_u32_e32 v119, 28, v118
	v_sub_nc_u32_e32 v118, 29, v118
	v_dual_cndmask_b32 v118, v128, v118 :: v_dual_lshlrev_b32 v119, v119, v87
	v_lshlrev_b32_e32 v87, 24, v87
	s_delay_alu instid0(VALU_DEP_2) | instskip(NEXT) | instid1(VALU_DEP_3)
	v_and_b32_e32 v119, 7, v119
	v_lshl_add_u32 v118, v118, 23, 0x3b800000
	s_delay_alu instid0(VALU_DEP_3) | instskip(NEXT) | instid1(VALU_DEP_3)
	v_and_b32_e32 v87, 0x80000000, v87
	v_cndmask_b32_e32 v117, v117, v119, vcc_lo
	s_delay_alu instid0(VALU_DEP_1) | instskip(NEXT) | instid1(VALU_DEP_1)
	v_lshlrev_b32_e32 v117, 20, v117
	v_or3_b32 v117, v87, v118, v117
.LBB2_1561:                             ;   in Loop: Header=BB2_1451 Depth=2
	s_or_b32 exec_lo, exec_lo, s25
	s_waitcnt vmcnt(7) lgkmcnt(7)
	v_and_b32_e32 v118, 0xff, v116
	s_mov_b32 s11, 0
	s_mov_b32 s26, exec_lo
                                        ; implicit-def: $sgpr25
	s_delay_alu instid0(VALU_DEP_1)
	v_cmpx_lt_i16_e32 0x7f, v118
	s_xor_b32 s26, exec_lo, s26
	s_cbranch_execnz .LBB2_1722
; %bb.1562:                             ;   in Loop: Header=BB2_1451 Depth=2
	s_or_saveexec_b32 s26, s26
	v_mov_b32_e32 v87, s25
	s_xor_b32 exec_lo, exec_lo, s26
	s_cbranch_execnz .LBB2_1725
.LBB2_1563:                             ;   in Loop: Header=BB2_1451 Depth=2
	s_or_b32 exec_lo, exec_lo, s26
	s_and_saveexec_b32 s25, s11
	s_cbranch_execz .LBB2_1565
.LBB2_1564:                             ;   in Loop: Header=BB2_1451 Depth=2
	v_lshrrev_b16 v128, 3, v116
	s_delay_alu instid0(VALU_DEP_1) | instskip(NEXT) | instid1(VALU_DEP_1)
	v_and_b32_e32 v128, 15, v128
	v_cmp_eq_u32_e32 vcc_lo, 0, v128
	v_and_b32_e32 v87, 7, v116
	s_delay_alu instid0(VALU_DEP_1) | instskip(NEXT) | instid1(VALU_DEP_1)
	v_clz_i32_u32_e32 v118, v87
	v_min_u32_e32 v118, 32, v118
	s_delay_alu instid0(VALU_DEP_1) | instskip(SKIP_1) | instid1(VALU_DEP_1)
	v_subrev_nc_u32_e32 v119, 28, v118
	v_sub_nc_u32_e32 v118, 29, v118
	v_dual_cndmask_b32 v118, v128, v118 :: v_dual_lshlrev_b32 v119, v119, v116
	v_lshlrev_b32_e32 v116, 24, v116
	s_delay_alu instid0(VALU_DEP_2) | instskip(NEXT) | instid1(VALU_DEP_3)
	v_and_b32_e32 v119, 7, v119
	v_lshl_add_u32 v118, v118, 23, 0x3b800000
	s_delay_alu instid0(VALU_DEP_2) | instskip(NEXT) | instid1(VALU_DEP_1)
	v_dual_cndmask_b32 v87, v87, v119 :: v_dual_and_b32 v116, 0x80000000, v116
	v_lshlrev_b32_e32 v87, 20, v87
	s_delay_alu instid0(VALU_DEP_1)
	v_or3_b32 v87, v116, v118, v87
.LBB2_1565:                             ;   in Loop: Header=BB2_1451 Depth=2
	s_or_b32 exec_lo, exec_lo, s25
	s_delay_alu instid0(VALU_DEP_1) | instskip(NEXT) | instid1(VALU_DEP_1)
	v_add_f32_e32 v116, v117, v87
	v_and_b32_e32 v87, 0x7f800000, v116
	s_delay_alu instid0(VALU_DEP_1)
	v_cmp_ne_u32_e32 vcc_lo, 0x7f800000, v87
	v_mov_b32_e32 v87, 0x80
	s_and_saveexec_b32 s25, vcc_lo
	s_cbranch_execz .LBB2_1573
; %bb.1566:                             ;   in Loop: Header=BB2_1451 Depth=2
	v_mov_b32_e32 v87, 0
	s_mov_b32 s26, exec_lo
	v_cmpx_ne_u32_e32 0, v116
	s_cbranch_execz .LBB2_1572
; %bb.1567:                             ;   in Loop: Header=BB2_1451 Depth=2
	v_bfe_u32 v87, v116, 23, 8
	s_delay_alu instid0(VALU_DEP_1) | instskip(SKIP_1) | instid1(VALU_DEP_2)
	v_sub_nc_u32_e32 v118, 0x78, v87
	v_cmp_gt_u32_e32 vcc_lo, 0x79, v87
	v_dual_cndmask_b32 v118, 0, v118 :: v_dual_and_b32 v117, 0x7fffff, v116
	s_delay_alu instid0(VALU_DEP_1) | instskip(SKIP_2) | instid1(VALU_DEP_4)
	v_or_b32_e32 v119, 0x800000, v117
	v_cmp_eq_u32_e32 vcc_lo, 0, v87
	v_add_nc_u32_e32 v87, 0xffffff89, v87
	v_cndmask_b32_e64 v118, v118, 0x77, vcc_lo
	s_delay_alu instid0(VALU_DEP_2) | instskip(SKIP_1) | instid1(VALU_DEP_3)
	v_cndmask_b32_e64 v87, v87, 0xffffff8a, vcc_lo
	v_cndmask_b32_e32 v117, v119, v117, vcc_lo
	v_lshl_add_u32 v119, 0x100000, v118, -1
	v_lshlrev_b32_e64 v130, v118, 0x80000
	s_delay_alu instid0(VALU_DEP_3) | instskip(SKIP_1) | instid1(VALU_DEP_4)
	v_lshrrev_b32_e32 v128, v118, v117
	v_add_nc_u32_e32 v118, v118, v87
	v_and_b32_e32 v117, v119, v117
	s_delay_alu instid0(VALU_DEP_3) | instskip(NEXT) | instid1(VALU_DEP_2)
	v_bfe_u32 v129, v128, 20, 1
	v_cmp_eq_u32_e64 s11, v117, v130
	s_delay_alu instid0(VALU_DEP_2) | instskip(NEXT) | instid1(VALU_DEP_1)
	v_add_nc_u32_e32 v119, -1, v129
	v_cndmask_b32_e64 v117, 0, v119, s11
	v_lshrrev_b32_e32 v119, 23, v128
	s_mov_b32 s11, exec_lo
	s_delay_alu instid0(VALU_DEP_2) | instskip(NEXT) | instid1(VALU_DEP_2)
	v_add_nc_u32_e32 v117, v117, v128
	v_xor_b32_e32 v119, 1, v119
	s_delay_alu instid0(VALU_DEP_2) | instskip(NEXT) | instid1(VALU_DEP_1)
	v_and_b32_e32 v87, 0xfffff, v117
	v_add_nc_u32_e32 v117, v87, v128
                                        ; implicit-def: $vgpr87
	s_delay_alu instid0(VALU_DEP_3)
	v_cmpx_ne_u32_e64 v118, v119
	s_xor_b32 s11, exec_lo, s11
; %bb.1568:                             ;   in Loop: Header=BB2_1451 Depth=2
	s_delay_alu instid0(VALU_DEP_2) | instskip(SKIP_2) | instid1(VALU_DEP_2)
	v_cmp_lt_u32_e32 vcc_lo, 0xffffff, v117
	v_sub_nc_u32_e32 v87, v118, v119
	v_cndmask_b32_e64 v118, 0, 1, vcc_lo
	v_add_co_ci_u32_e32 v87, vcc_lo, 0, v87, vcc_lo
	s_delay_alu instid0(VALU_DEP_2)
	v_lshrrev_b32_e32 v117, v118, v117
; %bb.1569:                             ;   in Loop: Header=BB2_1451 Depth=2
	s_and_not1_saveexec_b32 s11, s11
; %bb.1570:                             ;   in Loop: Header=BB2_1451 Depth=2
	s_delay_alu instid0(VALU_DEP_1)
	v_bfe_u32 v87, v117, 23, 1
; %bb.1571:                             ;   in Loop: Header=BB2_1451 Depth=2
	s_or_b32 exec_lo, exec_lo, s11
	v_lshrrev_b32_e32 v117, 20, v117
	s_delay_alu instid0(VALU_DEP_2) | instskip(SKIP_2) | instid1(VALU_DEP_2)
	v_cmp_gt_i32_e32 vcc_lo, 16, v87
	v_lshrrev_b32_e32 v116, 24, v116
	v_min_i32_e32 v118, 15, v87
	v_dual_cndmask_b32 v117, 7, v117 :: v_dual_and_b32 v116, 0x80, v116
	s_delay_alu instid0(VALU_DEP_1) | instskip(SKIP_1) | instid1(VALU_DEP_2)
	v_or_b32_e32 v87, v87, v117
	v_and_b32_e32 v119, 7, v117
	v_cmp_ne_u32_e32 vcc_lo, 0, v87
	v_lshlrev_b32_e32 v118, 3, v118
	s_delay_alu instid0(VALU_DEP_1) | instskip(NEXT) | instid1(VALU_DEP_1)
	v_or3_b32 v116, v118, v116, v119
	v_cndmask_b32_e32 v87, 0, v116, vcc_lo
.LBB2_1572:                             ;   in Loop: Header=BB2_1451 Depth=2
	s_or_b32 exec_lo, exec_lo, s26
.LBB2_1573:                             ;   in Loop: Header=BB2_1451 Depth=2
	s_delay_alu instid0(SALU_CYCLE_1) | instskip(SKIP_3) | instid1(VALU_DEP_1)
	s_or_b32 exec_lo, exec_lo, s25
	v_and_b32_e32 v117, 0xff, v100
	s_mov_b32 s11, 0
	s_mov_b32 s26, exec_lo
                                        ; implicit-def: $sgpr25
	v_cmpx_lt_i16_e32 0x7f, v117
	s_xor_b32 s26, exec_lo, s26
	s_cbranch_execnz .LBB2_1726
; %bb.1574:                             ;   in Loop: Header=BB2_1451 Depth=2
	s_or_saveexec_b32 s26, s26
	v_mov_b32_e32 v116, s25
	s_xor_b32 exec_lo, exec_lo, s26
	s_cbranch_execnz .LBB2_1729
.LBB2_1575:                             ;   in Loop: Header=BB2_1451 Depth=2
	s_or_b32 exec_lo, exec_lo, s26
	s_and_saveexec_b32 s25, s11
	s_cbranch_execz .LBB2_1577
.LBB2_1576:                             ;   in Loop: Header=BB2_1451 Depth=2
	v_lshrrev_b16 v119, 3, v100
	s_delay_alu instid0(VALU_DEP_1) | instskip(NEXT) | instid1(VALU_DEP_1)
	v_and_b32_e32 v119, 15, v119
	v_cmp_eq_u32_e32 vcc_lo, 0, v119
	v_and_b32_e32 v116, 7, v100
	s_delay_alu instid0(VALU_DEP_1) | instskip(NEXT) | instid1(VALU_DEP_1)
	v_clz_i32_u32_e32 v117, v116
	v_min_u32_e32 v117, 32, v117
	s_delay_alu instid0(VALU_DEP_1) | instskip(SKIP_1) | instid1(VALU_DEP_1)
	v_subrev_nc_u32_e32 v118, 28, v117
	v_sub_nc_u32_e32 v117, 29, v117
	v_dual_cndmask_b32 v117, v119, v117 :: v_dual_lshlrev_b32 v118, v118, v100
	v_lshlrev_b32_e32 v100, 24, v100
	s_delay_alu instid0(VALU_DEP_2) | instskip(NEXT) | instid1(VALU_DEP_3)
	v_and_b32_e32 v118, 7, v118
	v_lshl_add_u32 v117, v117, 23, 0x3b800000
	s_delay_alu instid0(VALU_DEP_3) | instskip(NEXT) | instid1(VALU_DEP_3)
	v_and_b32_e32 v100, 0x80000000, v100
	v_cndmask_b32_e32 v116, v116, v118, vcc_lo
	s_delay_alu instid0(VALU_DEP_1) | instskip(NEXT) | instid1(VALU_DEP_1)
	v_lshlrev_b32_e32 v116, 20, v116
	v_or3_b32 v116, v100, v117, v116
.LBB2_1577:                             ;   in Loop: Header=BB2_1451 Depth=2
	s_or_b32 exec_lo, exec_lo, s25
	s_waitcnt vmcnt(6) lgkmcnt(6)
	v_and_b32_e32 v117, 0xff, v115
	s_mov_b32 s11, 0
	s_mov_b32 s26, exec_lo
                                        ; implicit-def: $sgpr25
	s_delay_alu instid0(VALU_DEP_1)
	v_cmpx_lt_i16_e32 0x7f, v117
	s_xor_b32 s26, exec_lo, s26
	s_cbranch_execnz .LBB2_1730
; %bb.1578:                             ;   in Loop: Header=BB2_1451 Depth=2
	s_or_saveexec_b32 s26, s26
	v_mov_b32_e32 v100, s25
	s_xor_b32 exec_lo, exec_lo, s26
	s_cbranch_execnz .LBB2_1733
.LBB2_1579:                             ;   in Loop: Header=BB2_1451 Depth=2
	s_or_b32 exec_lo, exec_lo, s26
	s_and_saveexec_b32 s25, s11
	s_cbranch_execz .LBB2_1581
.LBB2_1580:                             ;   in Loop: Header=BB2_1451 Depth=2
	v_lshrrev_b16 v119, 3, v115
	s_delay_alu instid0(VALU_DEP_1) | instskip(NEXT) | instid1(VALU_DEP_1)
	v_and_b32_e32 v119, 15, v119
	v_cmp_eq_u32_e32 vcc_lo, 0, v119
	v_and_b32_e32 v100, 7, v115
	s_delay_alu instid0(VALU_DEP_1) | instskip(NEXT) | instid1(VALU_DEP_1)
	v_clz_i32_u32_e32 v117, v100
	v_min_u32_e32 v117, 32, v117
	s_delay_alu instid0(VALU_DEP_1) | instskip(SKIP_1) | instid1(VALU_DEP_1)
	v_subrev_nc_u32_e32 v118, 28, v117
	v_sub_nc_u32_e32 v117, 29, v117
	v_dual_cndmask_b32 v117, v119, v117 :: v_dual_lshlrev_b32 v118, v118, v115
	v_lshlrev_b32_e32 v115, 24, v115
	s_delay_alu instid0(VALU_DEP_2) | instskip(NEXT) | instid1(VALU_DEP_3)
	v_and_b32_e32 v118, 7, v118
	v_lshl_add_u32 v117, v117, 23, 0x3b800000
	s_delay_alu instid0(VALU_DEP_2) | instskip(NEXT) | instid1(VALU_DEP_1)
	v_dual_cndmask_b32 v100, v100, v118 :: v_dual_and_b32 v115, 0x80000000, v115
	v_lshlrev_b32_e32 v100, 20, v100
	s_delay_alu instid0(VALU_DEP_1)
	v_or3_b32 v100, v115, v117, v100
.LBB2_1581:                             ;   in Loop: Header=BB2_1451 Depth=2
	s_or_b32 exec_lo, exec_lo, s25
	s_delay_alu instid0(VALU_DEP_1) | instskip(NEXT) | instid1(VALU_DEP_1)
	v_add_f32_e32 v115, v116, v100
	v_and_b32_e32 v100, 0x7f800000, v115
	s_delay_alu instid0(VALU_DEP_1)
	v_cmp_ne_u32_e32 vcc_lo, 0x7f800000, v100
	v_mov_b32_e32 v100, 0x80
	s_and_saveexec_b32 s25, vcc_lo
	s_cbranch_execz .LBB2_1589
; %bb.1582:                             ;   in Loop: Header=BB2_1451 Depth=2
	v_mov_b32_e32 v100, 0
	s_mov_b32 s26, exec_lo
	v_cmpx_ne_u32_e32 0, v115
	s_cbranch_execz .LBB2_1588
; %bb.1583:                             ;   in Loop: Header=BB2_1451 Depth=2
	v_bfe_u32 v100, v115, 23, 8
	s_delay_alu instid0(VALU_DEP_1) | instskip(SKIP_1) | instid1(VALU_DEP_2)
	v_sub_nc_u32_e32 v117, 0x78, v100
	v_cmp_gt_u32_e32 vcc_lo, 0x79, v100
	v_dual_cndmask_b32 v117, 0, v117 :: v_dual_and_b32 v116, 0x7fffff, v115
	s_delay_alu instid0(VALU_DEP_1) | instskip(SKIP_2) | instid1(VALU_DEP_4)
	v_or_b32_e32 v118, 0x800000, v116
	v_cmp_eq_u32_e32 vcc_lo, 0, v100
	v_add_nc_u32_e32 v100, 0xffffff89, v100
	v_cndmask_b32_e64 v117, v117, 0x77, vcc_lo
	s_delay_alu instid0(VALU_DEP_4) | instskip(NEXT) | instid1(VALU_DEP_3)
	v_cndmask_b32_e32 v116, v118, v116, vcc_lo
	v_cndmask_b32_e64 v100, v100, 0xffffff8a, vcc_lo
	s_delay_alu instid0(VALU_DEP_3) | instskip(NEXT) | instid1(VALU_DEP_3)
	v_lshl_add_u32 v118, 0x100000, v117, -1
	v_lshrrev_b32_e32 v119, v117, v116
	v_lshlrev_b32_e64 v129, v117, 0x80000
	s_delay_alu instid0(VALU_DEP_4) | instskip(NEXT) | instid1(VALU_DEP_4)
	v_add_nc_u32_e32 v117, v117, v100
	v_and_b32_e32 v116, v118, v116
	s_delay_alu instid0(VALU_DEP_4) | instskip(NEXT) | instid1(VALU_DEP_2)
	v_bfe_u32 v128, v119, 20, 1
	v_cmp_eq_u32_e64 s11, v116, v129
	s_delay_alu instid0(VALU_DEP_2) | instskip(NEXT) | instid1(VALU_DEP_1)
	v_add_nc_u32_e32 v118, -1, v128
	v_cndmask_b32_e64 v116, 0, v118, s11
	v_lshrrev_b32_e32 v118, 23, v119
	s_mov_b32 s11, exec_lo
	s_delay_alu instid0(VALU_DEP_2) | instskip(NEXT) | instid1(VALU_DEP_2)
	v_add_nc_u32_e32 v116, v116, v119
	v_xor_b32_e32 v118, 1, v118
	s_delay_alu instid0(VALU_DEP_2) | instskip(NEXT) | instid1(VALU_DEP_1)
	v_and_b32_e32 v100, 0xfffff, v116
	v_add_nc_u32_e32 v116, v100, v119
                                        ; implicit-def: $vgpr100
	s_delay_alu instid0(VALU_DEP_3)
	v_cmpx_ne_u32_e64 v117, v118
	s_xor_b32 s11, exec_lo, s11
; %bb.1584:                             ;   in Loop: Header=BB2_1451 Depth=2
	s_delay_alu instid0(VALU_DEP_2) | instskip(SKIP_2) | instid1(VALU_DEP_2)
	v_cmp_lt_u32_e32 vcc_lo, 0xffffff, v116
	v_sub_nc_u32_e32 v100, v117, v118
	v_cndmask_b32_e64 v117, 0, 1, vcc_lo
	v_add_co_ci_u32_e32 v100, vcc_lo, 0, v100, vcc_lo
	s_delay_alu instid0(VALU_DEP_2)
	v_lshrrev_b32_e32 v116, v117, v116
; %bb.1585:                             ;   in Loop: Header=BB2_1451 Depth=2
	s_and_not1_saveexec_b32 s11, s11
; %bb.1586:                             ;   in Loop: Header=BB2_1451 Depth=2
	s_delay_alu instid0(VALU_DEP_1)
	v_bfe_u32 v100, v116, 23, 1
; %bb.1587:                             ;   in Loop: Header=BB2_1451 Depth=2
	s_or_b32 exec_lo, exec_lo, s11
	v_lshrrev_b32_e32 v116, 20, v116
	s_delay_alu instid0(VALU_DEP_2) | instskip(SKIP_2) | instid1(VALU_DEP_2)
	v_cmp_gt_i32_e32 vcc_lo, 16, v100
	v_lshrrev_b32_e32 v115, 24, v115
	v_min_i32_e32 v117, 15, v100
	v_dual_cndmask_b32 v116, 7, v116 :: v_dual_and_b32 v115, 0x80, v115
	s_delay_alu instid0(VALU_DEP_1) | instskip(SKIP_1) | instid1(VALU_DEP_2)
	v_or_b32_e32 v100, v100, v116
	v_and_b32_e32 v118, 7, v116
	v_cmp_ne_u32_e32 vcc_lo, 0, v100
	v_lshlrev_b32_e32 v117, 3, v117
	s_delay_alu instid0(VALU_DEP_1) | instskip(NEXT) | instid1(VALU_DEP_1)
	v_or3_b32 v115, v117, v115, v118
	v_cndmask_b32_e32 v100, 0, v115, vcc_lo
.LBB2_1588:                             ;   in Loop: Header=BB2_1451 Depth=2
	s_or_b32 exec_lo, exec_lo, s26
.LBB2_1589:                             ;   in Loop: Header=BB2_1451 Depth=2
	s_delay_alu instid0(SALU_CYCLE_1) | instskip(SKIP_3) | instid1(VALU_DEP_1)
	s_or_b32 exec_lo, exec_lo, s25
	v_and_b32_e32 v116, 0xff, v102
	s_mov_b32 s11, 0
	s_mov_b32 s26, exec_lo
                                        ; implicit-def: $sgpr25
	v_cmpx_lt_i16_e32 0x7f, v116
	s_xor_b32 s26, exec_lo, s26
	s_cbranch_execnz .LBB2_1734
; %bb.1590:                             ;   in Loop: Header=BB2_1451 Depth=2
	s_or_saveexec_b32 s26, s26
	v_mov_b32_e32 v115, s25
	s_xor_b32 exec_lo, exec_lo, s26
	s_cbranch_execnz .LBB2_1737
.LBB2_1591:                             ;   in Loop: Header=BB2_1451 Depth=2
	s_or_b32 exec_lo, exec_lo, s26
	s_and_saveexec_b32 s25, s11
	s_cbranch_execz .LBB2_1593
.LBB2_1592:                             ;   in Loop: Header=BB2_1451 Depth=2
	v_lshrrev_b16 v118, 3, v102
	s_delay_alu instid0(VALU_DEP_1) | instskip(NEXT) | instid1(VALU_DEP_1)
	v_and_b32_e32 v118, 15, v118
	v_cmp_eq_u32_e32 vcc_lo, 0, v118
	v_and_b32_e32 v115, 7, v102
	s_delay_alu instid0(VALU_DEP_1) | instskip(NEXT) | instid1(VALU_DEP_1)
	v_clz_i32_u32_e32 v116, v115
	v_min_u32_e32 v116, 32, v116
	s_delay_alu instid0(VALU_DEP_1) | instskip(SKIP_1) | instid1(VALU_DEP_1)
	v_subrev_nc_u32_e32 v117, 28, v116
	v_sub_nc_u32_e32 v116, 29, v116
	v_dual_cndmask_b32 v116, v118, v116 :: v_dual_lshlrev_b32 v117, v117, v102
	v_lshlrev_b32_e32 v102, 24, v102
	s_delay_alu instid0(VALU_DEP_2) | instskip(NEXT) | instid1(VALU_DEP_3)
	v_and_b32_e32 v117, 7, v117
	v_lshl_add_u32 v116, v116, 23, 0x3b800000
	s_delay_alu instid0(VALU_DEP_2) | instskip(NEXT) | instid1(VALU_DEP_1)
	v_dual_cndmask_b32 v115, v115, v117 :: v_dual_and_b32 v102, 0x80000000, v102
	v_lshlrev_b32_e32 v115, 20, v115
	s_delay_alu instid0(VALU_DEP_1)
	v_or3_b32 v115, v102, v116, v115
.LBB2_1593:                             ;   in Loop: Header=BB2_1451 Depth=2
	s_or_b32 exec_lo, exec_lo, s25
	s_waitcnt vmcnt(5) lgkmcnt(5)
	v_and_b32_e32 v116, 0xff, v114
	s_mov_b32 s11, 0
	s_mov_b32 s26, exec_lo
                                        ; implicit-def: $sgpr25
	s_delay_alu instid0(VALU_DEP_1)
	v_cmpx_lt_i16_e32 0x7f, v116
	s_xor_b32 s26, exec_lo, s26
	s_cbranch_execnz .LBB2_1738
; %bb.1594:                             ;   in Loop: Header=BB2_1451 Depth=2
	s_or_saveexec_b32 s26, s26
	v_mov_b32_e32 v102, s25
	s_xor_b32 exec_lo, exec_lo, s26
	s_cbranch_execnz .LBB2_1741
.LBB2_1595:                             ;   in Loop: Header=BB2_1451 Depth=2
	s_or_b32 exec_lo, exec_lo, s26
	s_and_saveexec_b32 s25, s11
	s_cbranch_execz .LBB2_1597
.LBB2_1596:                             ;   in Loop: Header=BB2_1451 Depth=2
	v_and_b32_e32 v102, 7, v114
	v_lshrrev_b16 v118, 3, v114
	s_delay_alu instid0(VALU_DEP_2) | instskip(NEXT) | instid1(VALU_DEP_2)
	v_clz_i32_u32_e32 v116, v102
	v_and_b32_e32 v118, 15, v118
	s_delay_alu instid0(VALU_DEP_2) | instskip(NEXT) | instid1(VALU_DEP_2)
	v_min_u32_e32 v116, 32, v116
	v_cmp_eq_u32_e32 vcc_lo, 0, v118
	s_delay_alu instid0(VALU_DEP_2) | instskip(SKIP_1) | instid1(VALU_DEP_1)
	v_subrev_nc_u32_e32 v117, 28, v116
	v_sub_nc_u32_e32 v116, 29, v116
	v_dual_cndmask_b32 v116, v118, v116 :: v_dual_lshlrev_b32 v117, v117, v114
	v_lshlrev_b32_e32 v114, 24, v114
	s_delay_alu instid0(VALU_DEP_2) | instskip(NEXT) | instid1(VALU_DEP_3)
	v_and_b32_e32 v117, 7, v117
	v_lshl_add_u32 v116, v116, 23, 0x3b800000
	s_delay_alu instid0(VALU_DEP_3) | instskip(NEXT) | instid1(VALU_DEP_3)
	v_and_b32_e32 v114, 0x80000000, v114
	v_cndmask_b32_e32 v102, v102, v117, vcc_lo
	s_delay_alu instid0(VALU_DEP_1) | instskip(NEXT) | instid1(VALU_DEP_1)
	v_lshlrev_b32_e32 v102, 20, v102
	v_or3_b32 v102, v114, v116, v102
.LBB2_1597:                             ;   in Loop: Header=BB2_1451 Depth=2
	s_or_b32 exec_lo, exec_lo, s25
	s_delay_alu instid0(VALU_DEP_1) | instskip(NEXT) | instid1(VALU_DEP_1)
	v_add_f32_e32 v114, v115, v102
	v_and_b32_e32 v102, 0x7f800000, v114
	s_delay_alu instid0(VALU_DEP_1)
	v_cmp_ne_u32_e32 vcc_lo, 0x7f800000, v102
	v_mov_b32_e32 v102, 0x80
	s_and_saveexec_b32 s25, vcc_lo
	s_cbranch_execz .LBB2_1605
; %bb.1598:                             ;   in Loop: Header=BB2_1451 Depth=2
	v_mov_b32_e32 v102, 0
	s_mov_b32 s26, exec_lo
	v_cmpx_ne_u32_e32 0, v114
	s_cbranch_execz .LBB2_1604
; %bb.1599:                             ;   in Loop: Header=BB2_1451 Depth=2
	v_bfe_u32 v102, v114, 23, 8
	s_delay_alu instid0(VALU_DEP_1) | instskip(SKIP_1) | instid1(VALU_DEP_2)
	v_sub_nc_u32_e32 v116, 0x78, v102
	v_cmp_gt_u32_e32 vcc_lo, 0x79, v102
	v_dual_cndmask_b32 v116, 0, v116 :: v_dual_and_b32 v115, 0x7fffff, v114
	s_delay_alu instid0(VALU_DEP_1) | instskip(SKIP_2) | instid1(VALU_DEP_4)
	v_or_b32_e32 v117, 0x800000, v115
	v_cmp_eq_u32_e32 vcc_lo, 0, v102
	v_add_nc_u32_e32 v102, 0xffffff89, v102
	v_cndmask_b32_e64 v116, v116, 0x77, vcc_lo
	s_delay_alu instid0(VALU_DEP_4) | instskip(NEXT) | instid1(VALU_DEP_3)
	v_cndmask_b32_e32 v115, v117, v115, vcc_lo
	v_cndmask_b32_e64 v102, v102, 0xffffff8a, vcc_lo
	s_delay_alu instid0(VALU_DEP_3) | instskip(NEXT) | instid1(VALU_DEP_3)
	v_lshl_add_u32 v117, 0x100000, v116, -1
	v_lshrrev_b32_e32 v118, v116, v115
	v_lshlrev_b32_e64 v128, v116, 0x80000
	s_delay_alu instid0(VALU_DEP_4) | instskip(NEXT) | instid1(VALU_DEP_4)
	v_add_nc_u32_e32 v116, v116, v102
	v_and_b32_e32 v115, v117, v115
	s_delay_alu instid0(VALU_DEP_4) | instskip(NEXT) | instid1(VALU_DEP_2)
	v_bfe_u32 v119, v118, 20, 1
	v_cmp_eq_u32_e64 s11, v115, v128
	s_delay_alu instid0(VALU_DEP_2) | instskip(NEXT) | instid1(VALU_DEP_1)
	v_add_nc_u32_e32 v117, -1, v119
	v_cndmask_b32_e64 v115, 0, v117, s11
	v_lshrrev_b32_e32 v117, 23, v118
	s_mov_b32 s11, exec_lo
	s_delay_alu instid0(VALU_DEP_2) | instskip(NEXT) | instid1(VALU_DEP_2)
	v_add_nc_u32_e32 v115, v115, v118
	v_xor_b32_e32 v117, 1, v117
	s_delay_alu instid0(VALU_DEP_2) | instskip(NEXT) | instid1(VALU_DEP_1)
	v_and_b32_e32 v102, 0xfffff, v115
	v_add_nc_u32_e32 v115, v102, v118
                                        ; implicit-def: $vgpr102
	s_delay_alu instid0(VALU_DEP_3)
	v_cmpx_ne_u32_e64 v116, v117
	s_xor_b32 s11, exec_lo, s11
; %bb.1600:                             ;   in Loop: Header=BB2_1451 Depth=2
	s_delay_alu instid0(VALU_DEP_2) | instskip(SKIP_2) | instid1(VALU_DEP_2)
	v_cmp_lt_u32_e32 vcc_lo, 0xffffff, v115
	v_sub_nc_u32_e32 v102, v116, v117
	v_cndmask_b32_e64 v116, 0, 1, vcc_lo
	v_add_co_ci_u32_e32 v102, vcc_lo, 0, v102, vcc_lo
	s_delay_alu instid0(VALU_DEP_2)
	v_lshrrev_b32_e32 v115, v116, v115
; %bb.1601:                             ;   in Loop: Header=BB2_1451 Depth=2
	s_and_not1_saveexec_b32 s11, s11
; %bb.1602:                             ;   in Loop: Header=BB2_1451 Depth=2
	s_delay_alu instid0(VALU_DEP_1)
	v_bfe_u32 v102, v115, 23, 1
; %bb.1603:                             ;   in Loop: Header=BB2_1451 Depth=2
	s_or_b32 exec_lo, exec_lo, s11
	v_lshrrev_b32_e32 v115, 20, v115
	s_delay_alu instid0(VALU_DEP_2) | instskip(SKIP_2) | instid1(VALU_DEP_2)
	v_cmp_gt_i32_e32 vcc_lo, 16, v102
	v_lshrrev_b32_e32 v114, 24, v114
	v_min_i32_e32 v116, 15, v102
	v_dual_cndmask_b32 v115, 7, v115 :: v_dual_and_b32 v114, 0x80, v114
	s_delay_alu instid0(VALU_DEP_2) | instskip(NEXT) | instid1(VALU_DEP_2)
	v_lshlrev_b32_e32 v116, 3, v116
	v_or_b32_e32 v102, v102, v115
	s_delay_alu instid0(VALU_DEP_1) | instskip(SKIP_1) | instid1(VALU_DEP_1)
	v_cmp_ne_u32_e32 vcc_lo, 0, v102
	v_and_b32_e32 v117, 7, v115
	v_or3_b32 v114, v116, v114, v117
	s_delay_alu instid0(VALU_DEP_1)
	v_cndmask_b32_e32 v102, 0, v114, vcc_lo
.LBB2_1604:                             ;   in Loop: Header=BB2_1451 Depth=2
	s_or_b32 exec_lo, exec_lo, s26
.LBB2_1605:                             ;   in Loop: Header=BB2_1451 Depth=2
	s_delay_alu instid0(SALU_CYCLE_1) | instskip(SKIP_3) | instid1(VALU_DEP_1)
	s_or_b32 exec_lo, exec_lo, s25
	v_and_b32_e32 v115, 0xff, v101
	s_mov_b32 s11, 0
	s_mov_b32 s26, exec_lo
                                        ; implicit-def: $sgpr25
	v_cmpx_lt_i16_e32 0x7f, v115
	s_xor_b32 s26, exec_lo, s26
	s_cbranch_execnz .LBB2_1742
; %bb.1606:                             ;   in Loop: Header=BB2_1451 Depth=2
	s_or_saveexec_b32 s26, s26
	v_mov_b32_e32 v114, s25
	s_xor_b32 exec_lo, exec_lo, s26
	s_cbranch_execnz .LBB2_1745
.LBB2_1607:                             ;   in Loop: Header=BB2_1451 Depth=2
	s_or_b32 exec_lo, exec_lo, s26
	s_and_saveexec_b32 s25, s11
	s_cbranch_execz .LBB2_1609
.LBB2_1608:                             ;   in Loop: Header=BB2_1451 Depth=2
	v_lshrrev_b16 v117, 3, v101
	s_delay_alu instid0(VALU_DEP_1) | instskip(NEXT) | instid1(VALU_DEP_1)
	v_and_b32_e32 v117, 15, v117
	v_cmp_eq_u32_e32 vcc_lo, 0, v117
	v_and_b32_e32 v114, 7, v101
	s_delay_alu instid0(VALU_DEP_1) | instskip(NEXT) | instid1(VALU_DEP_1)
	v_clz_i32_u32_e32 v115, v114
	v_min_u32_e32 v115, 32, v115
	s_delay_alu instid0(VALU_DEP_1) | instskip(SKIP_1) | instid1(VALU_DEP_1)
	v_subrev_nc_u32_e32 v116, 28, v115
	v_sub_nc_u32_e32 v115, 29, v115
	v_dual_cndmask_b32 v115, v117, v115 :: v_dual_lshlrev_b32 v116, v116, v101
	v_lshlrev_b32_e32 v101, 24, v101
	s_delay_alu instid0(VALU_DEP_2) | instskip(NEXT) | instid1(VALU_DEP_3)
	v_and_b32_e32 v116, 7, v116
	v_lshl_add_u32 v115, v115, 23, 0x3b800000
	s_delay_alu instid0(VALU_DEP_2) | instskip(NEXT) | instid1(VALU_DEP_1)
	v_dual_cndmask_b32 v114, v114, v116 :: v_dual_and_b32 v101, 0x80000000, v101
	v_lshlrev_b32_e32 v114, 20, v114
	s_delay_alu instid0(VALU_DEP_1)
	v_or3_b32 v114, v101, v115, v114
.LBB2_1609:                             ;   in Loop: Header=BB2_1451 Depth=2
	s_or_b32 exec_lo, exec_lo, s25
	s_waitcnt vmcnt(4) lgkmcnt(4)
	v_and_b32_e32 v115, 0xff, v113
	s_mov_b32 s11, 0
	s_mov_b32 s26, exec_lo
                                        ; implicit-def: $sgpr25
	s_delay_alu instid0(VALU_DEP_1)
	v_cmpx_lt_i16_e32 0x7f, v115
	s_xor_b32 s26, exec_lo, s26
	s_cbranch_execnz .LBB2_1746
; %bb.1610:                             ;   in Loop: Header=BB2_1451 Depth=2
	s_or_saveexec_b32 s26, s26
	v_mov_b32_e32 v101, s25
	s_xor_b32 exec_lo, exec_lo, s26
	s_cbranch_execnz .LBB2_1749
.LBB2_1611:                             ;   in Loop: Header=BB2_1451 Depth=2
	s_or_b32 exec_lo, exec_lo, s26
	s_and_saveexec_b32 s25, s11
	s_cbranch_execz .LBB2_1613
.LBB2_1612:                             ;   in Loop: Header=BB2_1451 Depth=2
	v_and_b32_e32 v101, 7, v113
	v_lshrrev_b16 v117, 3, v113
	s_delay_alu instid0(VALU_DEP_2) | instskip(NEXT) | instid1(VALU_DEP_2)
	v_clz_i32_u32_e32 v115, v101
	v_and_b32_e32 v117, 15, v117
	s_delay_alu instid0(VALU_DEP_2) | instskip(NEXT) | instid1(VALU_DEP_2)
	v_min_u32_e32 v115, 32, v115
	v_cmp_eq_u32_e32 vcc_lo, 0, v117
	s_delay_alu instid0(VALU_DEP_2) | instskip(SKIP_1) | instid1(VALU_DEP_1)
	v_subrev_nc_u32_e32 v116, 28, v115
	v_sub_nc_u32_e32 v115, 29, v115
	v_dual_cndmask_b32 v115, v117, v115 :: v_dual_lshlrev_b32 v116, v116, v113
	v_lshlrev_b32_e32 v113, 24, v113
	s_delay_alu instid0(VALU_DEP_2) | instskip(NEXT) | instid1(VALU_DEP_3)
	v_and_b32_e32 v116, 7, v116
	v_lshl_add_u32 v115, v115, 23, 0x3b800000
	s_delay_alu instid0(VALU_DEP_3) | instskip(NEXT) | instid1(VALU_DEP_3)
	v_and_b32_e32 v113, 0x80000000, v113
	v_cndmask_b32_e32 v101, v101, v116, vcc_lo
	s_delay_alu instid0(VALU_DEP_1) | instskip(NEXT) | instid1(VALU_DEP_1)
	v_lshlrev_b32_e32 v101, 20, v101
	v_or3_b32 v101, v113, v115, v101
.LBB2_1613:                             ;   in Loop: Header=BB2_1451 Depth=2
	s_or_b32 exec_lo, exec_lo, s25
	s_delay_alu instid0(VALU_DEP_1) | instskip(NEXT) | instid1(VALU_DEP_1)
	v_add_f32_e32 v113, v114, v101
	v_and_b32_e32 v101, 0x7f800000, v113
	s_delay_alu instid0(VALU_DEP_1)
	v_cmp_ne_u32_e32 vcc_lo, 0x7f800000, v101
	v_mov_b32_e32 v101, 0x80
	s_and_saveexec_b32 s25, vcc_lo
	s_cbranch_execz .LBB2_1621
; %bb.1614:                             ;   in Loop: Header=BB2_1451 Depth=2
	v_mov_b32_e32 v101, 0
	s_mov_b32 s26, exec_lo
	v_cmpx_ne_u32_e32 0, v113
	s_cbranch_execz .LBB2_1620
; %bb.1615:                             ;   in Loop: Header=BB2_1451 Depth=2
	v_bfe_u32 v101, v113, 23, 8
	s_delay_alu instid0(VALU_DEP_1) | instskip(SKIP_1) | instid1(VALU_DEP_2)
	v_sub_nc_u32_e32 v115, 0x78, v101
	v_cmp_gt_u32_e32 vcc_lo, 0x79, v101
	v_dual_cndmask_b32 v115, 0, v115 :: v_dual_and_b32 v114, 0x7fffff, v113
	s_delay_alu instid0(VALU_DEP_1) | instskip(SKIP_2) | instid1(VALU_DEP_4)
	v_or_b32_e32 v116, 0x800000, v114
	v_cmp_eq_u32_e32 vcc_lo, 0, v101
	v_add_nc_u32_e32 v101, 0xffffff89, v101
	v_cndmask_b32_e64 v115, v115, 0x77, vcc_lo
	s_delay_alu instid0(VALU_DEP_4) | instskip(NEXT) | instid1(VALU_DEP_3)
	v_cndmask_b32_e32 v114, v116, v114, vcc_lo
	v_cndmask_b32_e64 v101, v101, 0xffffff8a, vcc_lo
	s_delay_alu instid0(VALU_DEP_3) | instskip(NEXT) | instid1(VALU_DEP_3)
	v_lshl_add_u32 v116, 0x100000, v115, -1
	v_lshrrev_b32_e32 v117, v115, v114
	v_lshlrev_b32_e64 v119, v115, 0x80000
	s_delay_alu instid0(VALU_DEP_4) | instskip(NEXT) | instid1(VALU_DEP_4)
	v_add_nc_u32_e32 v115, v115, v101
	v_and_b32_e32 v114, v116, v114
	s_delay_alu instid0(VALU_DEP_4) | instskip(NEXT) | instid1(VALU_DEP_2)
	v_bfe_u32 v118, v117, 20, 1
	v_cmp_eq_u32_e64 s11, v114, v119
	s_delay_alu instid0(VALU_DEP_2) | instskip(NEXT) | instid1(VALU_DEP_1)
	v_add_nc_u32_e32 v116, -1, v118
	v_cndmask_b32_e64 v114, 0, v116, s11
	v_lshrrev_b32_e32 v116, 23, v117
	s_mov_b32 s11, exec_lo
	s_delay_alu instid0(VALU_DEP_2) | instskip(NEXT) | instid1(VALU_DEP_2)
	v_add_nc_u32_e32 v114, v114, v117
	v_xor_b32_e32 v116, 1, v116
	s_delay_alu instid0(VALU_DEP_2) | instskip(NEXT) | instid1(VALU_DEP_1)
	v_and_b32_e32 v101, 0xfffff, v114
	v_add_nc_u32_e32 v114, v101, v117
                                        ; implicit-def: $vgpr101
	s_delay_alu instid0(VALU_DEP_3)
	v_cmpx_ne_u32_e64 v115, v116
	s_xor_b32 s11, exec_lo, s11
; %bb.1616:                             ;   in Loop: Header=BB2_1451 Depth=2
	s_delay_alu instid0(VALU_DEP_2) | instskip(SKIP_2) | instid1(VALU_DEP_2)
	v_cmp_lt_u32_e32 vcc_lo, 0xffffff, v114
	v_sub_nc_u32_e32 v101, v115, v116
	v_cndmask_b32_e64 v115, 0, 1, vcc_lo
	v_add_co_ci_u32_e32 v101, vcc_lo, 0, v101, vcc_lo
	s_delay_alu instid0(VALU_DEP_2)
	v_lshrrev_b32_e32 v114, v115, v114
; %bb.1617:                             ;   in Loop: Header=BB2_1451 Depth=2
	s_and_not1_saveexec_b32 s11, s11
; %bb.1618:                             ;   in Loop: Header=BB2_1451 Depth=2
	s_delay_alu instid0(VALU_DEP_1)
	v_bfe_u32 v101, v114, 23, 1
; %bb.1619:                             ;   in Loop: Header=BB2_1451 Depth=2
	s_or_b32 exec_lo, exec_lo, s11
	v_lshrrev_b32_e32 v114, 20, v114
	s_delay_alu instid0(VALU_DEP_2) | instskip(SKIP_2) | instid1(VALU_DEP_2)
	v_cmp_gt_i32_e32 vcc_lo, 16, v101
	v_lshrrev_b32_e32 v113, 24, v113
	v_min_i32_e32 v115, 15, v101
	v_dual_cndmask_b32 v114, 7, v114 :: v_dual_and_b32 v113, 0x80, v113
	s_delay_alu instid0(VALU_DEP_2) | instskip(NEXT) | instid1(VALU_DEP_2)
	v_lshlrev_b32_e32 v115, 3, v115
	v_or_b32_e32 v101, v101, v114
	s_delay_alu instid0(VALU_DEP_1) | instskip(SKIP_1) | instid1(VALU_DEP_1)
	v_cmp_ne_u32_e32 vcc_lo, 0, v101
	v_and_b32_e32 v116, 7, v114
	v_or3_b32 v113, v115, v113, v116
	s_delay_alu instid0(VALU_DEP_1)
	v_cndmask_b32_e32 v101, 0, v113, vcc_lo
.LBB2_1620:                             ;   in Loop: Header=BB2_1451 Depth=2
	s_or_b32 exec_lo, exec_lo, s26
.LBB2_1621:                             ;   in Loop: Header=BB2_1451 Depth=2
	s_delay_alu instid0(SALU_CYCLE_1) | instskip(SKIP_3) | instid1(VALU_DEP_1)
	s_or_b32 exec_lo, exec_lo, s25
	v_and_b32_e32 v114, 0xff, v99
	s_mov_b32 s11, 0
	s_mov_b32 s26, exec_lo
                                        ; implicit-def: $sgpr25
	v_cmpx_lt_i16_e32 0x7f, v114
	s_xor_b32 s26, exec_lo, s26
	s_cbranch_execnz .LBB2_1750
; %bb.1622:                             ;   in Loop: Header=BB2_1451 Depth=2
	s_or_saveexec_b32 s26, s26
	v_mov_b32_e32 v113, s25
	s_xor_b32 exec_lo, exec_lo, s26
	s_cbranch_execnz .LBB2_1753
.LBB2_1623:                             ;   in Loop: Header=BB2_1451 Depth=2
	s_or_b32 exec_lo, exec_lo, s26
	s_and_saveexec_b32 s25, s11
	s_cbranch_execz .LBB2_1625
.LBB2_1624:                             ;   in Loop: Header=BB2_1451 Depth=2
	v_lshrrev_b16 v116, 3, v99
	s_delay_alu instid0(VALU_DEP_1) | instskip(NEXT) | instid1(VALU_DEP_1)
	v_and_b32_e32 v116, 15, v116
	v_cmp_eq_u32_e32 vcc_lo, 0, v116
	v_and_b32_e32 v113, 7, v99
	s_delay_alu instid0(VALU_DEP_1) | instskip(NEXT) | instid1(VALU_DEP_1)
	v_clz_i32_u32_e32 v114, v113
	v_min_u32_e32 v114, 32, v114
	s_delay_alu instid0(VALU_DEP_1) | instskip(SKIP_1) | instid1(VALU_DEP_1)
	v_subrev_nc_u32_e32 v115, 28, v114
	v_sub_nc_u32_e32 v114, 29, v114
	v_dual_cndmask_b32 v114, v116, v114 :: v_dual_lshlrev_b32 v115, v115, v99
	v_lshlrev_b32_e32 v99, 24, v99
	s_delay_alu instid0(VALU_DEP_2) | instskip(NEXT) | instid1(VALU_DEP_3)
	v_and_b32_e32 v115, 7, v115
	v_lshl_add_u32 v114, v114, 23, 0x3b800000
	s_delay_alu instid0(VALU_DEP_3) | instskip(NEXT) | instid1(VALU_DEP_3)
	v_and_b32_e32 v99, 0x80000000, v99
	v_cndmask_b32_e32 v113, v113, v115, vcc_lo
	s_delay_alu instid0(VALU_DEP_1) | instskip(NEXT) | instid1(VALU_DEP_1)
	v_lshlrev_b32_e32 v113, 20, v113
	v_or3_b32 v113, v99, v114, v113
.LBB2_1625:                             ;   in Loop: Header=BB2_1451 Depth=2
	s_or_b32 exec_lo, exec_lo, s25
	s_waitcnt vmcnt(3) lgkmcnt(3)
	v_and_b32_e32 v114, 0xff, v112
	s_mov_b32 s11, 0
	s_mov_b32 s26, exec_lo
                                        ; implicit-def: $sgpr25
	s_delay_alu instid0(VALU_DEP_1)
	v_cmpx_lt_i16_e32 0x7f, v114
	s_xor_b32 s26, exec_lo, s26
	s_cbranch_execnz .LBB2_1754
; %bb.1626:                             ;   in Loop: Header=BB2_1451 Depth=2
	s_or_saveexec_b32 s26, s26
	v_mov_b32_e32 v99, s25
	s_xor_b32 exec_lo, exec_lo, s26
	s_cbranch_execnz .LBB2_1757
.LBB2_1627:                             ;   in Loop: Header=BB2_1451 Depth=2
	s_or_b32 exec_lo, exec_lo, s26
	s_and_saveexec_b32 s25, s11
	s_cbranch_execz .LBB2_1629
.LBB2_1628:                             ;   in Loop: Header=BB2_1451 Depth=2
	v_lshrrev_b16 v116, 3, v112
	s_delay_alu instid0(VALU_DEP_1) | instskip(NEXT) | instid1(VALU_DEP_1)
	v_and_b32_e32 v116, 15, v116
	v_cmp_eq_u32_e32 vcc_lo, 0, v116
	v_and_b32_e32 v99, 7, v112
	s_delay_alu instid0(VALU_DEP_1) | instskip(NEXT) | instid1(VALU_DEP_1)
	v_clz_i32_u32_e32 v114, v99
	v_min_u32_e32 v114, 32, v114
	s_delay_alu instid0(VALU_DEP_1) | instskip(SKIP_1) | instid1(VALU_DEP_1)
	v_subrev_nc_u32_e32 v115, 28, v114
	v_sub_nc_u32_e32 v114, 29, v114
	v_dual_cndmask_b32 v114, v116, v114 :: v_dual_lshlrev_b32 v115, v115, v112
	v_lshlrev_b32_e32 v112, 24, v112
	s_delay_alu instid0(VALU_DEP_2) | instskip(NEXT) | instid1(VALU_DEP_3)
	v_and_b32_e32 v115, 7, v115
	v_lshl_add_u32 v114, v114, 23, 0x3b800000
	s_delay_alu instid0(VALU_DEP_2) | instskip(NEXT) | instid1(VALU_DEP_1)
	v_dual_cndmask_b32 v99, v99, v115 :: v_dual_and_b32 v112, 0x80000000, v112
	v_lshlrev_b32_e32 v99, 20, v99
	s_delay_alu instid0(VALU_DEP_1)
	v_or3_b32 v99, v112, v114, v99
.LBB2_1629:                             ;   in Loop: Header=BB2_1451 Depth=2
	s_or_b32 exec_lo, exec_lo, s25
	s_delay_alu instid0(VALU_DEP_1) | instskip(NEXT) | instid1(VALU_DEP_1)
	v_add_f32_e32 v112, v113, v99
	v_and_b32_e32 v99, 0x7f800000, v112
	s_delay_alu instid0(VALU_DEP_1)
	v_cmp_ne_u32_e32 vcc_lo, 0x7f800000, v99
	v_mov_b32_e32 v99, 0x80
	s_and_saveexec_b32 s25, vcc_lo
	s_cbranch_execz .LBB2_1637
; %bb.1630:                             ;   in Loop: Header=BB2_1451 Depth=2
	v_mov_b32_e32 v99, 0
	s_mov_b32 s26, exec_lo
	v_cmpx_ne_u32_e32 0, v112
	s_cbranch_execz .LBB2_1636
; %bb.1631:                             ;   in Loop: Header=BB2_1451 Depth=2
	v_bfe_u32 v99, v112, 23, 8
	s_delay_alu instid0(VALU_DEP_1) | instskip(SKIP_1) | instid1(VALU_DEP_2)
	v_sub_nc_u32_e32 v114, 0x78, v99
	v_cmp_gt_u32_e32 vcc_lo, 0x79, v99
	v_dual_cndmask_b32 v114, 0, v114 :: v_dual_and_b32 v113, 0x7fffff, v112
	s_delay_alu instid0(VALU_DEP_1) | instskip(SKIP_2) | instid1(VALU_DEP_4)
	v_or_b32_e32 v115, 0x800000, v113
	v_cmp_eq_u32_e32 vcc_lo, 0, v99
	v_add_nc_u32_e32 v99, 0xffffff89, v99
	v_cndmask_b32_e64 v114, v114, 0x77, vcc_lo
	s_delay_alu instid0(VALU_DEP_2) | instskip(SKIP_1) | instid1(VALU_DEP_3)
	v_cndmask_b32_e64 v99, v99, 0xffffff8a, vcc_lo
	v_cndmask_b32_e32 v113, v115, v113, vcc_lo
	v_lshl_add_u32 v115, 0x100000, v114, -1
	v_lshlrev_b32_e64 v118, v114, 0x80000
	s_delay_alu instid0(VALU_DEP_3) | instskip(SKIP_1) | instid1(VALU_DEP_4)
	v_lshrrev_b32_e32 v116, v114, v113
	v_add_nc_u32_e32 v114, v114, v99
	v_and_b32_e32 v113, v115, v113
	s_delay_alu instid0(VALU_DEP_3) | instskip(NEXT) | instid1(VALU_DEP_2)
	v_bfe_u32 v117, v116, 20, 1
	v_cmp_eq_u32_e64 s11, v113, v118
	s_delay_alu instid0(VALU_DEP_2) | instskip(NEXT) | instid1(VALU_DEP_1)
	v_add_nc_u32_e32 v115, -1, v117
	v_cndmask_b32_e64 v113, 0, v115, s11
	v_lshrrev_b32_e32 v115, 23, v116
	s_mov_b32 s11, exec_lo
	s_delay_alu instid0(VALU_DEP_2) | instskip(NEXT) | instid1(VALU_DEP_2)
	v_add_nc_u32_e32 v113, v113, v116
	v_xor_b32_e32 v115, 1, v115
	s_delay_alu instid0(VALU_DEP_2) | instskip(NEXT) | instid1(VALU_DEP_1)
	v_and_b32_e32 v99, 0xfffff, v113
	v_add_nc_u32_e32 v113, v99, v116
                                        ; implicit-def: $vgpr99
	s_delay_alu instid0(VALU_DEP_3)
	v_cmpx_ne_u32_e64 v114, v115
	s_xor_b32 s11, exec_lo, s11
; %bb.1632:                             ;   in Loop: Header=BB2_1451 Depth=2
	s_delay_alu instid0(VALU_DEP_2) | instskip(SKIP_2) | instid1(VALU_DEP_2)
	v_cmp_lt_u32_e32 vcc_lo, 0xffffff, v113
	v_sub_nc_u32_e32 v99, v114, v115
	v_cndmask_b32_e64 v114, 0, 1, vcc_lo
	v_add_co_ci_u32_e32 v99, vcc_lo, 0, v99, vcc_lo
	s_delay_alu instid0(VALU_DEP_2)
	v_lshrrev_b32_e32 v113, v114, v113
; %bb.1633:                             ;   in Loop: Header=BB2_1451 Depth=2
	s_and_not1_saveexec_b32 s11, s11
; %bb.1634:                             ;   in Loop: Header=BB2_1451 Depth=2
	s_delay_alu instid0(VALU_DEP_1)
	v_bfe_u32 v99, v113, 23, 1
; %bb.1635:                             ;   in Loop: Header=BB2_1451 Depth=2
	s_or_b32 exec_lo, exec_lo, s11
	v_lshrrev_b32_e32 v113, 20, v113
	s_delay_alu instid0(VALU_DEP_2) | instskip(SKIP_2) | instid1(VALU_DEP_2)
	v_cmp_gt_i32_e32 vcc_lo, 16, v99
	v_lshrrev_b32_e32 v112, 24, v112
	v_min_i32_e32 v114, 15, v99
	v_dual_cndmask_b32 v113, 7, v113 :: v_dual_and_b32 v112, 0x80, v112
	s_delay_alu instid0(VALU_DEP_1) | instskip(SKIP_1) | instid1(VALU_DEP_2)
	v_or_b32_e32 v99, v99, v113
	v_and_b32_e32 v115, 7, v113
	v_cmp_ne_u32_e32 vcc_lo, 0, v99
	v_lshlrev_b32_e32 v114, 3, v114
	s_delay_alu instid0(VALU_DEP_1) | instskip(NEXT) | instid1(VALU_DEP_1)
	v_or3_b32 v112, v114, v112, v115
	v_cndmask_b32_e32 v99, 0, v112, vcc_lo
.LBB2_1636:                             ;   in Loop: Header=BB2_1451 Depth=2
	s_or_b32 exec_lo, exec_lo, s26
.LBB2_1637:                             ;   in Loop: Header=BB2_1451 Depth=2
	s_delay_alu instid0(SALU_CYCLE_1) | instskip(SKIP_3) | instid1(VALU_DEP_1)
	s_or_b32 exec_lo, exec_lo, s25
	v_and_b32_e32 v113, 0xff, v97
	s_mov_b32 s11, 0
	s_mov_b32 s26, exec_lo
                                        ; implicit-def: $sgpr25
	v_cmpx_lt_i16_e32 0x7f, v113
	s_xor_b32 s26, exec_lo, s26
	s_cbranch_execnz .LBB2_1758
; %bb.1638:                             ;   in Loop: Header=BB2_1451 Depth=2
	s_or_saveexec_b32 s26, s26
	v_mov_b32_e32 v112, s25
	s_xor_b32 exec_lo, exec_lo, s26
	s_cbranch_execnz .LBB2_1761
.LBB2_1639:                             ;   in Loop: Header=BB2_1451 Depth=2
	s_or_b32 exec_lo, exec_lo, s26
	s_and_saveexec_b32 s25, s11
	s_cbranch_execz .LBB2_1641
.LBB2_1640:                             ;   in Loop: Header=BB2_1451 Depth=2
	v_and_b32_e32 v112, 7, v97
	v_lshrrev_b16 v115, 3, v97
	s_delay_alu instid0(VALU_DEP_2) | instskip(NEXT) | instid1(VALU_DEP_1)
	v_clz_i32_u32_e32 v113, v112
	v_min_u32_e32 v113, 32, v113
	s_delay_alu instid0(VALU_DEP_1) | instskip(SKIP_1) | instid1(VALU_DEP_2)
	v_subrev_nc_u32_e32 v114, 28, v113
	v_sub_nc_u32_e32 v113, 29, v113
	v_lshlrev_b32_e32 v114, v114, v97
	v_lshlrev_b32_e32 v97, 24, v97
	s_delay_alu instid0(VALU_DEP_2) | instskip(SKIP_1) | instid1(VALU_DEP_3)
	v_and_b32_e32 v114, 7, v114
	v_and_b32_e32 v115, 15, v115
	;; [unrolled: 1-line block ×3, first 2 shown]
	s_delay_alu instid0(VALU_DEP_2) | instskip(NEXT) | instid1(VALU_DEP_4)
	v_cmp_eq_u32_e32 vcc_lo, 0, v115
	v_dual_cndmask_b32 v112, v112, v114 :: v_dual_cndmask_b32 v113, v115, v113
	s_delay_alu instid0(VALU_DEP_1) | instskip(NEXT) | instid1(VALU_DEP_2)
	v_lshlrev_b32_e32 v112, 20, v112
	v_lshl_add_u32 v113, v113, 23, 0x3b800000
	s_delay_alu instid0(VALU_DEP_1)
	v_or3_b32 v112, v97, v113, v112
.LBB2_1641:                             ;   in Loop: Header=BB2_1451 Depth=2
	s_or_b32 exec_lo, exec_lo, s25
	s_waitcnt vmcnt(2) lgkmcnt(2)
	v_and_b32_e32 v113, 0xff, v103
	s_mov_b32 s11, 0
	s_mov_b32 s26, exec_lo
                                        ; implicit-def: $sgpr25
	s_delay_alu instid0(VALU_DEP_1)
	v_cmpx_lt_i16_e32 0x7f, v113
	s_xor_b32 s26, exec_lo, s26
	s_cbranch_execnz .LBB2_1762
; %bb.1642:                             ;   in Loop: Header=BB2_1451 Depth=2
	s_or_saveexec_b32 s26, s26
	v_mov_b32_e32 v97, s25
	s_xor_b32 exec_lo, exec_lo, s26
	s_cbranch_execnz .LBB2_1765
.LBB2_1643:                             ;   in Loop: Header=BB2_1451 Depth=2
	s_or_b32 exec_lo, exec_lo, s26
	s_and_saveexec_b32 s25, s11
	s_cbranch_execz .LBB2_1645
.LBB2_1644:                             ;   in Loop: Header=BB2_1451 Depth=2
	v_and_b32_e32 v97, 7, v103
	v_lshrrev_b16 v115, 3, v103
	s_delay_alu instid0(VALU_DEP_2) | instskip(NEXT) | instid1(VALU_DEP_2)
	v_clz_i32_u32_e32 v113, v97
	v_and_b32_e32 v115, 15, v115
	s_delay_alu instid0(VALU_DEP_2) | instskip(NEXT) | instid1(VALU_DEP_2)
	v_min_u32_e32 v113, 32, v113
	v_cmp_eq_u32_e32 vcc_lo, 0, v115
	s_delay_alu instid0(VALU_DEP_2) | instskip(SKIP_1) | instid1(VALU_DEP_1)
	v_subrev_nc_u32_e32 v114, 28, v113
	v_sub_nc_u32_e32 v113, 29, v113
	v_dual_cndmask_b32 v113, v115, v113 :: v_dual_lshlrev_b32 v114, v114, v103
	v_lshlrev_b32_e32 v103, 24, v103
	s_delay_alu instid0(VALU_DEP_2) | instskip(NEXT) | instid1(VALU_DEP_3)
	v_and_b32_e32 v114, 7, v114
	v_lshl_add_u32 v113, v113, 23, 0x3b800000
	s_delay_alu instid0(VALU_DEP_3) | instskip(NEXT) | instid1(VALU_DEP_3)
	v_and_b32_e32 v103, 0x80000000, v103
	v_cndmask_b32_e32 v97, v97, v114, vcc_lo
	s_delay_alu instid0(VALU_DEP_1) | instskip(NEXT) | instid1(VALU_DEP_1)
	v_lshlrev_b32_e32 v97, 20, v97
	v_or3_b32 v97, v103, v113, v97
.LBB2_1645:                             ;   in Loop: Header=BB2_1451 Depth=2
	s_or_b32 exec_lo, exec_lo, s25
	s_delay_alu instid0(VALU_DEP_1) | instskip(NEXT) | instid1(VALU_DEP_1)
	v_add_f32_e32 v103, v112, v97
	v_and_b32_e32 v97, 0x7f800000, v103
	s_delay_alu instid0(VALU_DEP_1)
	v_cmp_ne_u32_e32 vcc_lo, 0x7f800000, v97
	v_mov_b32_e32 v97, 0x80
	s_and_saveexec_b32 s25, vcc_lo
	s_cbranch_execz .LBB2_1653
; %bb.1646:                             ;   in Loop: Header=BB2_1451 Depth=2
	v_mov_b32_e32 v97, 0
	s_mov_b32 s26, exec_lo
	v_cmpx_ne_u32_e32 0, v103
	s_cbranch_execz .LBB2_1652
; %bb.1647:                             ;   in Loop: Header=BB2_1451 Depth=2
	v_bfe_u32 v97, v103, 23, 8
	s_delay_alu instid0(VALU_DEP_1) | instskip(SKIP_1) | instid1(VALU_DEP_2)
	v_sub_nc_u32_e32 v113, 0x78, v97
	v_cmp_gt_u32_e32 vcc_lo, 0x79, v97
	v_dual_cndmask_b32 v113, 0, v113 :: v_dual_and_b32 v112, 0x7fffff, v103
	s_delay_alu instid0(VALU_DEP_1) | instskip(SKIP_2) | instid1(VALU_DEP_4)
	v_or_b32_e32 v114, 0x800000, v112
	v_cmp_eq_u32_e32 vcc_lo, 0, v97
	v_add_nc_u32_e32 v97, 0xffffff89, v97
	v_cndmask_b32_e64 v113, v113, 0x77, vcc_lo
	s_delay_alu instid0(VALU_DEP_4) | instskip(NEXT) | instid1(VALU_DEP_3)
	v_cndmask_b32_e32 v112, v114, v112, vcc_lo
	v_cndmask_b32_e64 v97, v97, 0xffffff8a, vcc_lo
	s_delay_alu instid0(VALU_DEP_3) | instskip(NEXT) | instid1(VALU_DEP_3)
	v_lshl_add_u32 v114, 0x100000, v113, -1
	v_lshrrev_b32_e32 v115, v113, v112
	v_lshlrev_b32_e64 v117, v113, 0x80000
	s_delay_alu instid0(VALU_DEP_4) | instskip(NEXT) | instid1(VALU_DEP_4)
	v_add_nc_u32_e32 v113, v113, v97
	v_and_b32_e32 v112, v114, v112
	s_delay_alu instid0(VALU_DEP_4) | instskip(NEXT) | instid1(VALU_DEP_2)
	v_bfe_u32 v116, v115, 20, 1
	v_cmp_eq_u32_e64 s11, v112, v117
	s_delay_alu instid0(VALU_DEP_2) | instskip(NEXT) | instid1(VALU_DEP_1)
	v_add_nc_u32_e32 v114, -1, v116
	v_cndmask_b32_e64 v112, 0, v114, s11
	v_lshrrev_b32_e32 v114, 23, v115
	s_mov_b32 s11, exec_lo
	s_delay_alu instid0(VALU_DEP_2) | instskip(NEXT) | instid1(VALU_DEP_2)
	v_add_nc_u32_e32 v112, v112, v115
	v_xor_b32_e32 v114, 1, v114
	s_delay_alu instid0(VALU_DEP_2) | instskip(NEXT) | instid1(VALU_DEP_1)
	v_and_b32_e32 v97, 0xfffff, v112
	v_add_nc_u32_e32 v112, v97, v115
                                        ; implicit-def: $vgpr97
	s_delay_alu instid0(VALU_DEP_3)
	v_cmpx_ne_u32_e64 v113, v114
	s_xor_b32 s11, exec_lo, s11
; %bb.1648:                             ;   in Loop: Header=BB2_1451 Depth=2
	s_delay_alu instid0(VALU_DEP_2) | instskip(SKIP_2) | instid1(VALU_DEP_2)
	v_cmp_lt_u32_e32 vcc_lo, 0xffffff, v112
	v_sub_nc_u32_e32 v97, v113, v114
	v_cndmask_b32_e64 v113, 0, 1, vcc_lo
	v_add_co_ci_u32_e32 v97, vcc_lo, 0, v97, vcc_lo
	s_delay_alu instid0(VALU_DEP_2)
	v_lshrrev_b32_e32 v112, v113, v112
; %bb.1649:                             ;   in Loop: Header=BB2_1451 Depth=2
	s_and_not1_saveexec_b32 s11, s11
; %bb.1650:                             ;   in Loop: Header=BB2_1451 Depth=2
	s_delay_alu instid0(VALU_DEP_1)
	v_bfe_u32 v97, v112, 23, 1
; %bb.1651:                             ;   in Loop: Header=BB2_1451 Depth=2
	s_or_b32 exec_lo, exec_lo, s11
	v_lshrrev_b32_e32 v112, 20, v112
	s_delay_alu instid0(VALU_DEP_2) | instskip(SKIP_2) | instid1(VALU_DEP_2)
	v_cmp_gt_i32_e32 vcc_lo, 16, v97
	v_lshrrev_b32_e32 v103, 24, v103
	v_min_i32_e32 v113, 15, v97
	v_dual_cndmask_b32 v112, 7, v112 :: v_dual_and_b32 v103, 0x80, v103
	s_delay_alu instid0(VALU_DEP_2) | instskip(NEXT) | instid1(VALU_DEP_2)
	v_lshlrev_b32_e32 v113, 3, v113
	v_or_b32_e32 v97, v97, v112
	s_delay_alu instid0(VALU_DEP_1) | instskip(SKIP_1) | instid1(VALU_DEP_1)
	v_cmp_ne_u32_e32 vcc_lo, 0, v97
	v_and_b32_e32 v114, 7, v112
	v_or3_b32 v103, v113, v103, v114
	s_delay_alu instid0(VALU_DEP_1)
	v_cndmask_b32_e32 v97, 0, v103, vcc_lo
.LBB2_1652:                             ;   in Loop: Header=BB2_1451 Depth=2
	s_or_b32 exec_lo, exec_lo, s26
.LBB2_1653:                             ;   in Loop: Header=BB2_1451 Depth=2
	s_delay_alu instid0(SALU_CYCLE_1) | instskip(SKIP_3) | instid1(VALU_DEP_1)
	s_or_b32 exec_lo, exec_lo, s25
	v_and_b32_e32 v112, 0xff, v96
	s_mov_b32 s11, 0
	s_mov_b32 s26, exec_lo
                                        ; implicit-def: $sgpr25
	v_cmpx_lt_i16_e32 0x7f, v112
	s_xor_b32 s26, exec_lo, s26
	s_cbranch_execnz .LBB2_1766
; %bb.1654:                             ;   in Loop: Header=BB2_1451 Depth=2
	s_or_saveexec_b32 s26, s26
	v_mov_b32_e32 v103, s25
	s_xor_b32 exec_lo, exec_lo, s26
	s_cbranch_execnz .LBB2_1769
.LBB2_1655:                             ;   in Loop: Header=BB2_1451 Depth=2
	s_or_b32 exec_lo, exec_lo, s26
	s_and_saveexec_b32 s25, s11
	s_cbranch_execz .LBB2_1657
.LBB2_1656:                             ;   in Loop: Header=BB2_1451 Depth=2
	v_and_b32_e32 v103, 7, v96
	v_lshrrev_b16 v114, 3, v96
	s_delay_alu instid0(VALU_DEP_2) | instskip(NEXT) | instid1(VALU_DEP_1)
	v_clz_i32_u32_e32 v112, v103
	v_min_u32_e32 v112, 32, v112
	s_delay_alu instid0(VALU_DEP_1) | instskip(SKIP_1) | instid1(VALU_DEP_2)
	v_subrev_nc_u32_e32 v113, 28, v112
	v_sub_nc_u32_e32 v112, 29, v112
	v_lshlrev_b32_e32 v113, v113, v96
	v_lshlrev_b32_e32 v96, 24, v96
	s_delay_alu instid0(VALU_DEP_2) | instskip(SKIP_1) | instid1(VALU_DEP_3)
	v_and_b32_e32 v113, 7, v113
	v_and_b32_e32 v114, 15, v114
	;; [unrolled: 1-line block ×3, first 2 shown]
	s_delay_alu instid0(VALU_DEP_2) | instskip(NEXT) | instid1(VALU_DEP_4)
	v_cmp_eq_u32_e32 vcc_lo, 0, v114
	v_dual_cndmask_b32 v103, v103, v113 :: v_dual_cndmask_b32 v112, v114, v112
	s_delay_alu instid0(VALU_DEP_1) | instskip(NEXT) | instid1(VALU_DEP_2)
	v_lshlrev_b32_e32 v103, 20, v103
	v_lshl_add_u32 v112, v112, 23, 0x3b800000
	s_delay_alu instid0(VALU_DEP_1)
	v_or3_b32 v103, v96, v112, v103
.LBB2_1657:                             ;   in Loop: Header=BB2_1451 Depth=2
	s_or_b32 exec_lo, exec_lo, s25
	s_waitcnt vmcnt(1) lgkmcnt(1)
	v_and_b32_e32 v112, 0xff, v98
	s_mov_b32 s11, 0
	s_mov_b32 s26, exec_lo
                                        ; implicit-def: $sgpr25
	s_delay_alu instid0(VALU_DEP_1)
	v_cmpx_lt_i16_e32 0x7f, v112
	s_xor_b32 s26, exec_lo, s26
	s_cbranch_execnz .LBB2_1770
; %bb.1658:                             ;   in Loop: Header=BB2_1451 Depth=2
	s_or_saveexec_b32 s26, s26
	v_mov_b32_e32 v96, s25
	s_xor_b32 exec_lo, exec_lo, s26
	s_cbranch_execnz .LBB2_1773
.LBB2_1659:                             ;   in Loop: Header=BB2_1451 Depth=2
	s_or_b32 exec_lo, exec_lo, s26
	s_and_saveexec_b32 s25, s11
	s_cbranch_execz .LBB2_1661
.LBB2_1660:                             ;   in Loop: Header=BB2_1451 Depth=2
	v_and_b32_e32 v96, 7, v98
	v_lshrrev_b16 v114, 3, v98
	s_delay_alu instid0(VALU_DEP_2) | instskip(NEXT) | instid1(VALU_DEP_2)
	v_clz_i32_u32_e32 v112, v96
	v_and_b32_e32 v114, 15, v114
	s_delay_alu instid0(VALU_DEP_2) | instskip(NEXT) | instid1(VALU_DEP_2)
	v_min_u32_e32 v112, 32, v112
	v_cmp_eq_u32_e32 vcc_lo, 0, v114
	s_delay_alu instid0(VALU_DEP_2) | instskip(SKIP_1) | instid1(VALU_DEP_1)
	v_subrev_nc_u32_e32 v113, 28, v112
	v_sub_nc_u32_e32 v112, 29, v112
	v_dual_cndmask_b32 v112, v114, v112 :: v_dual_lshlrev_b32 v113, v113, v98
	v_lshlrev_b32_e32 v98, 24, v98
	s_delay_alu instid0(VALU_DEP_2) | instskip(NEXT) | instid1(VALU_DEP_3)
	v_and_b32_e32 v113, 7, v113
	v_lshl_add_u32 v112, v112, 23, 0x3b800000
	s_delay_alu instid0(VALU_DEP_3) | instskip(NEXT) | instid1(VALU_DEP_3)
	v_and_b32_e32 v98, 0x80000000, v98
	v_cndmask_b32_e32 v96, v96, v113, vcc_lo
	s_delay_alu instid0(VALU_DEP_1) | instskip(NEXT) | instid1(VALU_DEP_1)
	v_lshlrev_b32_e32 v96, 20, v96
	v_or3_b32 v96, v98, v112, v96
.LBB2_1661:                             ;   in Loop: Header=BB2_1451 Depth=2
	s_or_b32 exec_lo, exec_lo, s25
	s_delay_alu instid0(VALU_DEP_1) | instskip(NEXT) | instid1(VALU_DEP_1)
	v_add_f32_e32 v98, v103, v96
	v_and_b32_e32 v96, 0x7f800000, v98
	s_delay_alu instid0(VALU_DEP_1)
	v_cmp_ne_u32_e32 vcc_lo, 0x7f800000, v96
	v_mov_b32_e32 v96, 0x80
	s_and_saveexec_b32 s25, vcc_lo
	s_cbranch_execz .LBB2_1669
; %bb.1662:                             ;   in Loop: Header=BB2_1451 Depth=2
	v_mov_b32_e32 v96, 0
	s_mov_b32 s26, exec_lo
	v_cmpx_ne_u32_e32 0, v98
	s_cbranch_execz .LBB2_1668
; %bb.1663:                             ;   in Loop: Header=BB2_1451 Depth=2
	v_bfe_u32 v96, v98, 23, 8
	s_delay_alu instid0(VALU_DEP_1) | instskip(SKIP_1) | instid1(VALU_DEP_2)
	v_sub_nc_u32_e32 v112, 0x78, v96
	v_cmp_gt_u32_e32 vcc_lo, 0x79, v96
	v_dual_cndmask_b32 v112, 0, v112 :: v_dual_and_b32 v103, 0x7fffff, v98
	s_delay_alu instid0(VALU_DEP_1) | instskip(SKIP_2) | instid1(VALU_DEP_4)
	v_or_b32_e32 v113, 0x800000, v103
	v_cmp_eq_u32_e32 vcc_lo, 0, v96
	v_add_nc_u32_e32 v96, 0xffffff89, v96
	v_cndmask_b32_e64 v112, v112, 0x77, vcc_lo
	s_delay_alu instid0(VALU_DEP_4) | instskip(NEXT) | instid1(VALU_DEP_3)
	v_cndmask_b32_e32 v103, v113, v103, vcc_lo
	v_cndmask_b32_e64 v96, v96, 0xffffff8a, vcc_lo
	s_delay_alu instid0(VALU_DEP_3) | instskip(NEXT) | instid1(VALU_DEP_3)
	v_lshl_add_u32 v113, 0x100000, v112, -1
	v_lshrrev_b32_e32 v114, v112, v103
	v_lshlrev_b32_e64 v116, v112, 0x80000
	s_delay_alu instid0(VALU_DEP_4) | instskip(NEXT) | instid1(VALU_DEP_4)
	v_add_nc_u32_e32 v112, v112, v96
	v_and_b32_e32 v103, v113, v103
	s_delay_alu instid0(VALU_DEP_4) | instskip(NEXT) | instid1(VALU_DEP_2)
	v_bfe_u32 v115, v114, 20, 1
	v_cmp_eq_u32_e64 s11, v103, v116
	s_delay_alu instid0(VALU_DEP_2) | instskip(NEXT) | instid1(VALU_DEP_1)
	v_add_nc_u32_e32 v113, -1, v115
	v_cndmask_b32_e64 v103, 0, v113, s11
	v_lshrrev_b32_e32 v113, 23, v114
	s_mov_b32 s11, exec_lo
	s_delay_alu instid0(VALU_DEP_2) | instskip(NEXT) | instid1(VALU_DEP_2)
	v_add_nc_u32_e32 v103, v103, v114
	v_xor_b32_e32 v113, 1, v113
	s_delay_alu instid0(VALU_DEP_2) | instskip(NEXT) | instid1(VALU_DEP_1)
	v_and_b32_e32 v96, 0xfffff, v103
	v_add_nc_u32_e32 v103, v96, v114
                                        ; implicit-def: $vgpr96
	s_delay_alu instid0(VALU_DEP_3)
	v_cmpx_ne_u32_e64 v112, v113
	s_xor_b32 s11, exec_lo, s11
; %bb.1664:                             ;   in Loop: Header=BB2_1451 Depth=2
	s_delay_alu instid0(VALU_DEP_2) | instskip(SKIP_2) | instid1(VALU_DEP_2)
	v_cmp_lt_u32_e32 vcc_lo, 0xffffff, v103
	v_sub_nc_u32_e32 v96, v112, v113
	v_cndmask_b32_e64 v112, 0, 1, vcc_lo
	v_add_co_ci_u32_e32 v96, vcc_lo, 0, v96, vcc_lo
	s_delay_alu instid0(VALU_DEP_2)
	v_lshrrev_b32_e32 v103, v112, v103
; %bb.1665:                             ;   in Loop: Header=BB2_1451 Depth=2
	s_and_not1_saveexec_b32 s11, s11
; %bb.1666:                             ;   in Loop: Header=BB2_1451 Depth=2
	s_delay_alu instid0(VALU_DEP_1)
	v_bfe_u32 v96, v103, 23, 1
; %bb.1667:                             ;   in Loop: Header=BB2_1451 Depth=2
	s_or_b32 exec_lo, exec_lo, s11
	v_lshrrev_b32_e32 v103, 20, v103
	s_delay_alu instid0(VALU_DEP_2) | instskip(SKIP_2) | instid1(VALU_DEP_2)
	v_cmp_gt_i32_e32 vcc_lo, 16, v96
	v_lshrrev_b32_e32 v98, 24, v98
	v_min_i32_e32 v112, 15, v96
	v_dual_cndmask_b32 v103, 7, v103 :: v_dual_and_b32 v98, 0x80, v98
	s_delay_alu instid0(VALU_DEP_2) | instskip(NEXT) | instid1(VALU_DEP_2)
	v_lshlrev_b32_e32 v112, 3, v112
	v_or_b32_e32 v96, v96, v103
	s_delay_alu instid0(VALU_DEP_1) | instskip(SKIP_1) | instid1(VALU_DEP_1)
	v_cmp_ne_u32_e32 vcc_lo, 0, v96
	v_and_b32_e32 v113, 7, v103
	v_or3_b32 v98, v112, v98, v113
	s_delay_alu instid0(VALU_DEP_1)
	v_cndmask_b32_e32 v96, 0, v98, vcc_lo
.LBB2_1668:                             ;   in Loop: Header=BB2_1451 Depth=2
	s_or_b32 exec_lo, exec_lo, s26
.LBB2_1669:                             ;   in Loop: Header=BB2_1451 Depth=2
	s_delay_alu instid0(SALU_CYCLE_1) | instskip(SKIP_3) | instid1(VALU_DEP_1)
	s_or_b32 exec_lo, exec_lo, s25
	v_and_b32_e32 v103, 0xff, v49
	s_mov_b32 s11, 0
	s_mov_b32 s26, exec_lo
                                        ; implicit-def: $sgpr25
	v_cmpx_lt_i16_e32 0x7f, v103
	s_xor_b32 s26, exec_lo, s26
	s_cbranch_execnz .LBB2_1774
; %bb.1670:                             ;   in Loop: Header=BB2_1451 Depth=2
	s_or_saveexec_b32 s26, s26
	v_mov_b32_e32 v98, s25
	s_xor_b32 exec_lo, exec_lo, s26
	s_cbranch_execnz .LBB2_1777
.LBB2_1671:                             ;   in Loop: Header=BB2_1451 Depth=2
	s_or_b32 exec_lo, exec_lo, s26
	s_and_saveexec_b32 s25, s11
	s_cbranch_execz .LBB2_1673
.LBB2_1672:                             ;   in Loop: Header=BB2_1451 Depth=2
	v_lshrrev_b16 v113, 3, v49
	s_delay_alu instid0(VALU_DEP_1) | instskip(NEXT) | instid1(VALU_DEP_1)
	v_and_b32_e32 v113, 15, v113
	v_cmp_eq_u32_e32 vcc_lo, 0, v113
	v_and_b32_e32 v98, 7, v49
	s_delay_alu instid0(VALU_DEP_1) | instskip(NEXT) | instid1(VALU_DEP_1)
	v_clz_i32_u32_e32 v103, v98
	v_min_u32_e32 v103, 32, v103
	s_delay_alu instid0(VALU_DEP_1) | instskip(SKIP_1) | instid1(VALU_DEP_1)
	v_subrev_nc_u32_e32 v112, 28, v103
	v_sub_nc_u32_e32 v103, 29, v103
	v_dual_cndmask_b32 v103, v113, v103 :: v_dual_lshlrev_b32 v112, v112, v49
	v_lshlrev_b32_e32 v49, 24, v49
	s_delay_alu instid0(VALU_DEP_2) | instskip(NEXT) | instid1(VALU_DEP_3)
	v_and_b32_e32 v112, 7, v112
	v_lshl_add_u32 v103, v103, 23, 0x3b800000
	s_delay_alu instid0(VALU_DEP_2) | instskip(NEXT) | instid1(VALU_DEP_1)
	v_dual_cndmask_b32 v98, v98, v112 :: v_dual_and_b32 v49, 0x80000000, v49
	v_lshlrev_b32_e32 v98, 20, v98
	s_delay_alu instid0(VALU_DEP_1)
	v_or3_b32 v98, v49, v103, v98
.LBB2_1673:                             ;   in Loop: Header=BB2_1451 Depth=2
	s_or_b32 exec_lo, exec_lo, s25
	s_waitcnt vmcnt(0) lgkmcnt(0)
	v_and_b32_e32 v103, 0xff, v48
	s_mov_b32 s11, 0
	s_mov_b32 s26, exec_lo
                                        ; implicit-def: $sgpr25
	s_delay_alu instid0(VALU_DEP_1)
	v_cmpx_lt_i16_e32 0x7f, v103
	s_xor_b32 s26, exec_lo, s26
	s_cbranch_execnz .LBB2_1778
; %bb.1674:                             ;   in Loop: Header=BB2_1451 Depth=2
	s_or_saveexec_b32 s26, s26
	v_mov_b32_e32 v49, s25
	s_xor_b32 exec_lo, exec_lo, s26
	s_cbranch_execnz .LBB2_1781
.LBB2_1675:                             ;   in Loop: Header=BB2_1451 Depth=2
	s_or_b32 exec_lo, exec_lo, s26
	s_and_saveexec_b32 s25, s11
	s_cbranch_execz .LBB2_1677
.LBB2_1676:                             ;   in Loop: Header=BB2_1451 Depth=2
	v_and_b32_e32 v49, 7, v48
	v_lshrrev_b16 v113, 3, v48
	s_delay_alu instid0(VALU_DEP_2) | instskip(NEXT) | instid1(VALU_DEP_2)
	v_clz_i32_u32_e32 v103, v49
	v_and_b32_e32 v113, 15, v113
	s_delay_alu instid0(VALU_DEP_2) | instskip(NEXT) | instid1(VALU_DEP_2)
	v_min_u32_e32 v103, 32, v103
	v_cmp_eq_u32_e32 vcc_lo, 0, v113
	s_delay_alu instid0(VALU_DEP_2) | instskip(SKIP_1) | instid1(VALU_DEP_1)
	v_subrev_nc_u32_e32 v112, 28, v103
	v_sub_nc_u32_e32 v103, 29, v103
	v_dual_cndmask_b32 v103, v113, v103 :: v_dual_lshlrev_b32 v112, v112, v48
	v_lshlrev_b32_e32 v48, 24, v48
	s_delay_alu instid0(VALU_DEP_2) | instskip(NEXT) | instid1(VALU_DEP_3)
	v_and_b32_e32 v112, 7, v112
	v_lshl_add_u32 v103, v103, 23, 0x3b800000
	s_delay_alu instid0(VALU_DEP_3) | instskip(NEXT) | instid1(VALU_DEP_3)
	v_and_b32_e32 v48, 0x80000000, v48
	v_cndmask_b32_e32 v49, v49, v112, vcc_lo
	s_delay_alu instid0(VALU_DEP_1) | instskip(NEXT) | instid1(VALU_DEP_1)
	v_lshlrev_b32_e32 v49, 20, v49
	v_or3_b32 v49, v48, v103, v49
.LBB2_1677:                             ;   in Loop: Header=BB2_1451 Depth=2
	s_or_b32 exec_lo, exec_lo, s25
	s_delay_alu instid0(VALU_DEP_1) | instskip(NEXT) | instid1(VALU_DEP_1)
	v_add_f32_e32 v48, v98, v49
	v_and_b32_e32 v49, 0x7f800000, v48
	s_delay_alu instid0(VALU_DEP_1)
	v_cmp_ne_u32_e32 vcc_lo, 0x7f800000, v49
	v_mov_b32_e32 v49, 0x80
	s_and_saveexec_b32 s25, vcc_lo
	s_cbranch_execz .LBB2_1685
; %bb.1678:                             ;   in Loop: Header=BB2_1451 Depth=2
	v_mov_b32_e32 v49, 0
	s_mov_b32 s26, exec_lo
	v_cmpx_ne_u32_e32 0, v48
	s_cbranch_execz .LBB2_1684
; %bb.1679:                             ;   in Loop: Header=BB2_1451 Depth=2
	v_bfe_u32 v49, v48, 23, 8
	s_delay_alu instid0(VALU_DEP_1) | instskip(SKIP_1) | instid1(VALU_DEP_2)
	v_sub_nc_u32_e32 v103, 0x78, v49
	v_cmp_gt_u32_e32 vcc_lo, 0x79, v49
	v_dual_cndmask_b32 v103, 0, v103 :: v_dual_and_b32 v98, 0x7fffff, v48
	s_delay_alu instid0(VALU_DEP_1) | instskip(SKIP_2) | instid1(VALU_DEP_4)
	v_or_b32_e32 v112, 0x800000, v98
	v_cmp_eq_u32_e32 vcc_lo, 0, v49
	v_add_nc_u32_e32 v49, 0xffffff89, v49
	v_cndmask_b32_e64 v103, v103, 0x77, vcc_lo
	s_delay_alu instid0(VALU_DEP_4) | instskip(NEXT) | instid1(VALU_DEP_3)
	v_cndmask_b32_e32 v98, v112, v98, vcc_lo
	v_cndmask_b32_e64 v49, v49, 0xffffff8a, vcc_lo
	s_delay_alu instid0(VALU_DEP_3) | instskip(NEXT) | instid1(VALU_DEP_3)
	v_lshl_add_u32 v112, 0x100000, v103, -1
	v_lshrrev_b32_e32 v113, v103, v98
	v_lshlrev_b32_e64 v115, v103, 0x80000
	s_delay_alu instid0(VALU_DEP_4) | instskip(NEXT) | instid1(VALU_DEP_4)
	v_add_nc_u32_e32 v103, v103, v49
	v_and_b32_e32 v98, v112, v98
	s_delay_alu instid0(VALU_DEP_4) | instskip(NEXT) | instid1(VALU_DEP_2)
	v_bfe_u32 v114, v113, 20, 1
	v_cmp_eq_u32_e64 s11, v98, v115
	s_delay_alu instid0(VALU_DEP_2) | instskip(NEXT) | instid1(VALU_DEP_1)
	v_add_nc_u32_e32 v112, -1, v114
	v_cndmask_b32_e64 v98, 0, v112, s11
	v_lshrrev_b32_e32 v112, 23, v113
	s_mov_b32 s11, exec_lo
	s_delay_alu instid0(VALU_DEP_2) | instskip(NEXT) | instid1(VALU_DEP_2)
	v_add_nc_u32_e32 v98, v98, v113
	v_xor_b32_e32 v112, 1, v112
	s_delay_alu instid0(VALU_DEP_2) | instskip(NEXT) | instid1(VALU_DEP_1)
	v_and_b32_e32 v49, 0xfffff, v98
	v_add_nc_u32_e32 v98, v49, v113
                                        ; implicit-def: $vgpr49
	s_delay_alu instid0(VALU_DEP_3)
	v_cmpx_ne_u32_e64 v103, v112
	s_xor_b32 s11, exec_lo, s11
; %bb.1680:                             ;   in Loop: Header=BB2_1451 Depth=2
	s_delay_alu instid0(VALU_DEP_2) | instskip(SKIP_2) | instid1(VALU_DEP_2)
	v_cmp_lt_u32_e32 vcc_lo, 0xffffff, v98
	v_sub_nc_u32_e32 v49, v103, v112
	v_cndmask_b32_e64 v103, 0, 1, vcc_lo
	v_add_co_ci_u32_e32 v49, vcc_lo, 0, v49, vcc_lo
	s_delay_alu instid0(VALU_DEP_2)
	v_lshrrev_b32_e32 v98, v103, v98
; %bb.1681:                             ;   in Loop: Header=BB2_1451 Depth=2
	s_and_not1_saveexec_b32 s11, s11
; %bb.1682:                             ;   in Loop: Header=BB2_1451 Depth=2
	s_delay_alu instid0(VALU_DEP_1)
	v_bfe_u32 v49, v98, 23, 1
; %bb.1683:                             ;   in Loop: Header=BB2_1451 Depth=2
	s_or_b32 exec_lo, exec_lo, s11
	v_lshrrev_b32_e32 v98, 20, v98
	s_delay_alu instid0(VALU_DEP_2) | instskip(SKIP_2) | instid1(VALU_DEP_2)
	v_cmp_gt_i32_e32 vcc_lo, 16, v49
	v_min_i32_e32 v103, 15, v49
	v_lshrrev_b32_e32 v48, 24, v48
	v_dual_cndmask_b32 v98, 7, v98 :: v_dual_lshlrev_b32 v103, 3, v103
	s_delay_alu instid0(VALU_DEP_2) | instskip(NEXT) | instid1(VALU_DEP_2)
	v_and_b32_e32 v48, 0x80, v48
	v_or_b32_e32 v49, v49, v98
	s_delay_alu instid0(VALU_DEP_1) | instskip(SKIP_1) | instid1(VALU_DEP_1)
	v_cmp_ne_u32_e32 vcc_lo, 0, v49
	v_and_b32_e32 v112, 7, v98
	v_or3_b32 v48, v103, v48, v112
	s_delay_alu instid0(VALU_DEP_1)
	v_cndmask_b32_e32 v49, 0, v48, vcc_lo
.LBB2_1684:                             ;   in Loop: Header=BB2_1451 Depth=2
	s_or_b32 exec_lo, exec_lo, s26
.LBB2_1685:                             ;   in Loop: Header=BB2_1451 Depth=2
	s_delay_alu instid0(SALU_CYCLE_1)
	s_or_b32 exec_lo, exec_lo, s25
	v_add_co_u32 v112, vcc_lo, 0xffffff20, v38
	v_add_co_ci_u32_e32 v113, vcc_lo, -1, v39, vcc_lo
	v_add_co_u32 v114, vcc_lo, 0xffffff40, v38
	v_add_co_ci_u32_e32 v115, vcc_lo, -1, v39, vcc_lo
	v_sub_nc_u32_e32 v86, v86, v53
	flat_store_b8 v[112:113], v87 glc slc dlc
	flat_store_b8 v[114:115], v100 glc slc dlc
	v_add_co_u32 v112, vcc_lo, 0xffffff60, v38
	v_add_co_ci_u32_e32 v113, vcc_lo, -1, v39, vcc_lo
	v_add_co_u32 v114, vcc_lo, 0xffffff80, v38
	v_add_co_ci_u32_e32 v115, vcc_lo, -1, v39, vcc_lo
	;; [unrolled: 2-line block ×5, first 2 shown]
	v_add_co_u32 v10, vcc_lo, v10, v80
	v_add_co_ci_u32_e32 v11, vcc_lo, v11, v81, vcc_lo
	v_add_co_u32 v12, vcc_lo, v12, v80
	v_add_co_ci_u32_e32 v13, vcc_lo, v13, v81, vcc_lo
	flat_store_b8 v[112:113], v102 glc slc dlc
	flat_store_b8 v[114:115], v101 glc slc dlc
	;; [unrolled: 1-line block ×6, first 2 shown]
	v_cmp_gt_i32_e32 vcc_lo, 1, v86
	v_add_co_u32 v38, s11, v38, v80
	s_delay_alu instid0(VALU_DEP_1) | instskip(SKIP_1) | instid1(SALU_CYCLE_1)
	v_add_co_ci_u32_e64 v39, s11, v39, v81, s11
	s_or_b32 s24, vcc_lo, s24
	s_and_not1_b32 exec_lo, exec_lo, s24
	s_cbranch_execnz .LBB2_1451
	s_branch .LBB2_1782
.LBB2_1686:                             ;   in Loop: Header=BB2_1451 Depth=2
	s_mov_b32 s11, -1
	s_mov_b32 s27, exec_lo
                                        ; implicit-def: $sgpr25
	v_cmpx_eq_u16_e32 0x80, v48
; %bb.1687:                             ;   in Loop: Header=BB2_1451 Depth=2
	s_mov_b32 s25, 0x7f800001
	s_xor_b32 s11, exec_lo, -1
; %bb.1688:                             ;   in Loop: Header=BB2_1451 Depth=2
	s_or_b32 exec_lo, exec_lo, s27
	s_delay_alu instid0(SALU_CYCLE_1)
	s_and_b32 s11, s11, exec_lo
	s_or_saveexec_b32 s26, s26
	v_mov_b32_e32 v87, s25
	s_xor_b32 exec_lo, exec_lo, s26
	s_cbranch_execz .LBB2_1463
.LBB2_1689:                             ;   in Loop: Header=BB2_1451 Depth=2
	v_cmp_ne_u16_e32 vcc_lo, 0, v48
	v_mov_b32_e32 v87, 0
	s_and_not1_b32 s11, s11, exec_lo
	s_and_b32 s25, vcc_lo, exec_lo
	s_delay_alu instid0(SALU_CYCLE_1)
	s_or_b32 s11, s11, s25
	s_or_b32 exec_lo, exec_lo, s26
	s_and_saveexec_b32 s25, s11
	s_cbranch_execnz .LBB2_1464
	s_branch .LBB2_1465
.LBB2_1690:                             ;   in Loop: Header=BB2_1451 Depth=2
	s_mov_b32 s11, -1
	s_mov_b32 s27, exec_lo
                                        ; implicit-def: $sgpr25
	v_cmpx_eq_u16_e32 0x80, v48
; %bb.1691:                             ;   in Loop: Header=BB2_1451 Depth=2
	s_mov_b32 s25, 0x7f800001
	s_xor_b32 s11, exec_lo, -1
; %bb.1692:                             ;   in Loop: Header=BB2_1451 Depth=2
	s_or_b32 exec_lo, exec_lo, s27
	s_delay_alu instid0(SALU_CYCLE_1)
	s_and_b32 s11, s11, exec_lo
	s_or_saveexec_b32 s26, s26
	v_mov_b32_e32 v96, s25
	s_xor_b32 exec_lo, exec_lo, s26
	s_cbranch_execz .LBB2_1475
.LBB2_1693:                             ;   in Loop: Header=BB2_1451 Depth=2
	v_cmp_ne_u16_e32 vcc_lo, 0, v48
	v_mov_b32_e32 v96, 0
	s_and_not1_b32 s11, s11, exec_lo
	s_and_b32 s25, vcc_lo, exec_lo
	s_delay_alu instid0(SALU_CYCLE_1)
	s_or_b32 s11, s11, s25
	s_or_b32 exec_lo, exec_lo, s26
	s_and_saveexec_b32 s25, s11
	s_cbranch_execnz .LBB2_1476
	s_branch .LBB2_1477
.LBB2_1694:                             ;   in Loop: Header=BB2_1451 Depth=2
	s_mov_b32 s11, -1
	s_mov_b32 s27, exec_lo
                                        ; implicit-def: $sgpr25
	v_cmpx_eq_u16_e32 0x80, v48
; %bb.1695:                             ;   in Loop: Header=BB2_1451 Depth=2
	s_mov_b32 s25, 0x7f800001
	s_xor_b32 s11, exec_lo, -1
; %bb.1696:                             ;   in Loop: Header=BB2_1451 Depth=2
	s_or_b32 exec_lo, exec_lo, s27
	s_delay_alu instid0(SALU_CYCLE_1)
	s_and_b32 s11, s11, exec_lo
	s_or_saveexec_b32 s26, s26
	v_mov_b32_e32 v96, s25
	s_xor_b32 exec_lo, exec_lo, s26
	s_cbranch_execz .LBB2_1487
.LBB2_1697:                             ;   in Loop: Header=BB2_1451 Depth=2
	v_cmp_ne_u16_e32 vcc_lo, 0, v48
	v_mov_b32_e32 v96, 0
	s_and_not1_b32 s11, s11, exec_lo
	s_and_b32 s25, vcc_lo, exec_lo
	s_delay_alu instid0(SALU_CYCLE_1)
	s_or_b32 s11, s11, s25
	s_or_b32 exec_lo, exec_lo, s26
	s_and_saveexec_b32 s25, s11
	s_cbranch_execnz .LBB2_1488
	s_branch .LBB2_1489
.LBB2_1698:                             ;   in Loop: Header=BB2_1451 Depth=2
	s_mov_b32 s11, -1
	s_mov_b32 s27, exec_lo
                                        ; implicit-def: $sgpr25
	v_cmpx_eq_u16_e32 0x80, v48
; %bb.1699:                             ;   in Loop: Header=BB2_1451 Depth=2
	s_mov_b32 s25, 0x7f800001
	s_xor_b32 s11, exec_lo, -1
; %bb.1700:                             ;   in Loop: Header=BB2_1451 Depth=2
	s_or_b32 exec_lo, exec_lo, s27
	s_delay_alu instid0(SALU_CYCLE_1)
	s_and_b32 s11, s11, exec_lo
	s_or_saveexec_b32 s26, s26
	v_mov_b32_e32 v96, s25
	s_xor_b32 exec_lo, exec_lo, s26
	s_cbranch_execz .LBB2_1499
.LBB2_1701:                             ;   in Loop: Header=BB2_1451 Depth=2
	v_cmp_ne_u16_e32 vcc_lo, 0, v48
	v_mov_b32_e32 v96, 0
	s_and_not1_b32 s11, s11, exec_lo
	s_and_b32 s25, vcc_lo, exec_lo
	s_delay_alu instid0(SALU_CYCLE_1)
	s_or_b32 s11, s11, s25
	s_or_b32 exec_lo, exec_lo, s26
	s_and_saveexec_b32 s25, s11
	s_cbranch_execnz .LBB2_1500
	s_branch .LBB2_1501
.LBB2_1702:                             ;   in Loop: Header=BB2_1451 Depth=2
	s_mov_b32 s11, -1
	s_mov_b32 s27, exec_lo
                                        ; implicit-def: $sgpr25
	v_cmpx_eq_u16_e32 0x80, v48
; %bb.1703:                             ;   in Loop: Header=BB2_1451 Depth=2
	s_mov_b32 s25, 0x7f800001
	s_xor_b32 s11, exec_lo, -1
; %bb.1704:                             ;   in Loop: Header=BB2_1451 Depth=2
	s_or_b32 exec_lo, exec_lo, s27
	s_delay_alu instid0(SALU_CYCLE_1)
	s_and_b32 s11, s11, exec_lo
	s_or_saveexec_b32 s26, s26
	v_mov_b32_e32 v96, s25
	s_xor_b32 exec_lo, exec_lo, s26
	s_cbranch_execz .LBB2_1511
.LBB2_1705:                             ;   in Loop: Header=BB2_1451 Depth=2
	v_cmp_ne_u16_e32 vcc_lo, 0, v48
	v_mov_b32_e32 v96, 0
	s_and_not1_b32 s11, s11, exec_lo
	s_and_b32 s25, vcc_lo, exec_lo
	s_delay_alu instid0(SALU_CYCLE_1)
	s_or_b32 s11, s11, s25
	s_or_b32 exec_lo, exec_lo, s26
	s_and_saveexec_b32 s25, s11
	s_cbranch_execnz .LBB2_1512
	s_branch .LBB2_1513
.LBB2_1706:                             ;   in Loop: Header=BB2_1451 Depth=2
	s_mov_b32 s11, -1
	s_mov_b32 s27, exec_lo
                                        ; implicit-def: $sgpr25
	v_cmpx_eq_u16_e32 0x80, v48
; %bb.1707:                             ;   in Loop: Header=BB2_1451 Depth=2
	s_mov_b32 s25, 0x7f800001
	s_xor_b32 s11, exec_lo, -1
; %bb.1708:                             ;   in Loop: Header=BB2_1451 Depth=2
	s_or_b32 exec_lo, exec_lo, s27
	s_delay_alu instid0(SALU_CYCLE_1)
	s_and_b32 s11, s11, exec_lo
	s_or_saveexec_b32 s26, s26
	v_mov_b32_e32 v96, s25
	s_xor_b32 exec_lo, exec_lo, s26
	s_cbranch_execz .LBB2_1523
.LBB2_1709:                             ;   in Loop: Header=BB2_1451 Depth=2
	v_cmp_ne_u16_e32 vcc_lo, 0, v48
	v_mov_b32_e32 v96, 0
	s_and_not1_b32 s11, s11, exec_lo
	s_and_b32 s25, vcc_lo, exec_lo
	s_delay_alu instid0(SALU_CYCLE_1)
	s_or_b32 s11, s11, s25
	s_or_b32 exec_lo, exec_lo, s26
	s_and_saveexec_b32 s25, s11
	s_cbranch_execnz .LBB2_1524
	s_branch .LBB2_1525
.LBB2_1710:                             ;   in Loop: Header=BB2_1451 Depth=2
	s_mov_b32 s11, -1
	s_mov_b32 s27, exec_lo
                                        ; implicit-def: $sgpr25
	v_cmpx_eq_u16_e32 0x80, v48
; %bb.1711:                             ;   in Loop: Header=BB2_1451 Depth=2
	s_mov_b32 s25, 0x7f800001
	s_xor_b32 s11, exec_lo, -1
; %bb.1712:                             ;   in Loop: Header=BB2_1451 Depth=2
	s_or_b32 exec_lo, exec_lo, s27
	s_delay_alu instid0(SALU_CYCLE_1)
	s_and_b32 s11, s11, exec_lo
	s_or_saveexec_b32 s26, s26
	v_mov_b32_e32 v96, s25
	s_xor_b32 exec_lo, exec_lo, s26
	s_cbranch_execz .LBB2_1535
.LBB2_1713:                             ;   in Loop: Header=BB2_1451 Depth=2
	v_cmp_ne_u16_e32 vcc_lo, 0, v48
	v_mov_b32_e32 v96, 0
	s_and_not1_b32 s11, s11, exec_lo
	s_and_b32 s25, vcc_lo, exec_lo
	s_delay_alu instid0(SALU_CYCLE_1)
	s_or_b32 s11, s11, s25
	s_or_b32 exec_lo, exec_lo, s26
	s_and_saveexec_b32 s25, s11
	s_cbranch_execnz .LBB2_1536
	s_branch .LBB2_1537
.LBB2_1714:                             ;   in Loop: Header=BB2_1451 Depth=2
	s_mov_b32 s11, -1
	s_mov_b32 s27, exec_lo
                                        ; implicit-def: $sgpr25
	v_cmpx_eq_u16_e32 0x80, v48
; %bb.1715:                             ;   in Loop: Header=BB2_1451 Depth=2
	s_mov_b32 s25, 0x7f800001
	s_xor_b32 s11, exec_lo, -1
; %bb.1716:                             ;   in Loop: Header=BB2_1451 Depth=2
	s_or_b32 exec_lo, exec_lo, s27
	s_delay_alu instid0(SALU_CYCLE_1)
	s_and_b32 s11, s11, exec_lo
	s_or_saveexec_b32 s26, s26
	v_mov_b32_e32 v98, s25
	s_xor_b32 exec_lo, exec_lo, s26
	s_cbranch_execz .LBB2_1547
.LBB2_1717:                             ;   in Loop: Header=BB2_1451 Depth=2
	v_cmp_ne_u16_e32 vcc_lo, 0, v48
	v_mov_b32_e32 v98, 0
	s_and_not1_b32 s11, s11, exec_lo
	s_and_b32 s25, vcc_lo, exec_lo
	s_delay_alu instid0(SALU_CYCLE_1)
	s_or_b32 s11, s11, s25
	s_or_b32 exec_lo, exec_lo, s26
	s_and_saveexec_b32 s25, s11
	s_cbranch_execnz .LBB2_1548
	s_branch .LBB2_1549
.LBB2_1718:                             ;   in Loop: Header=BB2_1451 Depth=2
	s_mov_b32 s11, -1
	s_mov_b32 s27, exec_lo
                                        ; implicit-def: $sgpr25
	v_cmpx_eq_u16_e32 0x80, v118
; %bb.1719:                             ;   in Loop: Header=BB2_1451 Depth=2
	s_mov_b32 s25, 0x7f800001
	s_xor_b32 s11, exec_lo, -1
; %bb.1720:                             ;   in Loop: Header=BB2_1451 Depth=2
	s_or_b32 exec_lo, exec_lo, s27
	s_delay_alu instid0(SALU_CYCLE_1)
	s_and_b32 s11, s11, exec_lo
                                        ; implicit-def: $vgpr118
	s_or_saveexec_b32 s26, s26
	v_mov_b32_e32 v117, s25
	s_xor_b32 exec_lo, exec_lo, s26
	s_cbranch_execz .LBB2_1559
.LBB2_1721:                             ;   in Loop: Header=BB2_1451 Depth=2
	v_cmp_ne_u16_e32 vcc_lo, 0, v118
	v_mov_b32_e32 v117, 0
	s_and_not1_b32 s11, s11, exec_lo
	s_and_b32 s25, vcc_lo, exec_lo
	s_delay_alu instid0(SALU_CYCLE_1)
	s_or_b32 s11, s11, s25
	s_or_b32 exec_lo, exec_lo, s26
	s_and_saveexec_b32 s25, s11
	s_cbranch_execnz .LBB2_1560
	s_branch .LBB2_1561
.LBB2_1722:                             ;   in Loop: Header=BB2_1451 Depth=2
	s_mov_b32 s11, -1
	s_mov_b32 s27, exec_lo
                                        ; implicit-def: $sgpr25
	v_cmpx_eq_u16_e32 0x80, v118
; %bb.1723:                             ;   in Loop: Header=BB2_1451 Depth=2
	s_mov_b32 s25, 0x7f800001
	s_xor_b32 s11, exec_lo, -1
; %bb.1724:                             ;   in Loop: Header=BB2_1451 Depth=2
	s_or_b32 exec_lo, exec_lo, s27
	s_delay_alu instid0(SALU_CYCLE_1)
	s_and_b32 s11, s11, exec_lo
                                        ; implicit-def: $vgpr118
	s_or_saveexec_b32 s26, s26
	v_mov_b32_e32 v87, s25
	s_xor_b32 exec_lo, exec_lo, s26
	s_cbranch_execz .LBB2_1563
.LBB2_1725:                             ;   in Loop: Header=BB2_1451 Depth=2
	v_cmp_ne_u16_e32 vcc_lo, 0, v118
	v_mov_b32_e32 v87, 0
	s_and_not1_b32 s11, s11, exec_lo
	s_and_b32 s25, vcc_lo, exec_lo
	s_delay_alu instid0(SALU_CYCLE_1)
	s_or_b32 s11, s11, s25
	s_or_b32 exec_lo, exec_lo, s26
	s_and_saveexec_b32 s25, s11
	s_cbranch_execnz .LBB2_1564
	s_branch .LBB2_1565
.LBB2_1726:                             ;   in Loop: Header=BB2_1451 Depth=2
	s_mov_b32 s11, -1
	s_mov_b32 s27, exec_lo
                                        ; implicit-def: $sgpr25
	v_cmpx_eq_u16_e32 0x80, v117
; %bb.1727:                             ;   in Loop: Header=BB2_1451 Depth=2
	s_mov_b32 s25, 0x7f800001
	s_xor_b32 s11, exec_lo, -1
; %bb.1728:                             ;   in Loop: Header=BB2_1451 Depth=2
	s_or_b32 exec_lo, exec_lo, s27
	s_delay_alu instid0(SALU_CYCLE_1)
	s_and_b32 s11, s11, exec_lo
                                        ; implicit-def: $vgpr117
	s_or_saveexec_b32 s26, s26
	v_mov_b32_e32 v116, s25
	s_xor_b32 exec_lo, exec_lo, s26
	s_cbranch_execz .LBB2_1575
.LBB2_1729:                             ;   in Loop: Header=BB2_1451 Depth=2
	v_cmp_ne_u16_e32 vcc_lo, 0, v117
	v_mov_b32_e32 v116, 0
	s_and_not1_b32 s11, s11, exec_lo
	s_and_b32 s25, vcc_lo, exec_lo
	s_delay_alu instid0(SALU_CYCLE_1)
	s_or_b32 s11, s11, s25
	s_or_b32 exec_lo, exec_lo, s26
	s_and_saveexec_b32 s25, s11
	s_cbranch_execnz .LBB2_1576
	s_branch .LBB2_1577
.LBB2_1730:                             ;   in Loop: Header=BB2_1451 Depth=2
	s_mov_b32 s11, -1
	s_mov_b32 s27, exec_lo
                                        ; implicit-def: $sgpr25
	v_cmpx_eq_u16_e32 0x80, v117
; %bb.1731:                             ;   in Loop: Header=BB2_1451 Depth=2
	s_mov_b32 s25, 0x7f800001
	s_xor_b32 s11, exec_lo, -1
; %bb.1732:                             ;   in Loop: Header=BB2_1451 Depth=2
	s_or_b32 exec_lo, exec_lo, s27
	s_delay_alu instid0(SALU_CYCLE_1)
	s_and_b32 s11, s11, exec_lo
                                        ; implicit-def: $vgpr117
	s_or_saveexec_b32 s26, s26
	v_mov_b32_e32 v100, s25
	s_xor_b32 exec_lo, exec_lo, s26
	s_cbranch_execz .LBB2_1579
.LBB2_1733:                             ;   in Loop: Header=BB2_1451 Depth=2
	v_cmp_ne_u16_e32 vcc_lo, 0, v117
	v_mov_b32_e32 v100, 0
	s_and_not1_b32 s11, s11, exec_lo
	s_and_b32 s25, vcc_lo, exec_lo
	s_delay_alu instid0(SALU_CYCLE_1)
	s_or_b32 s11, s11, s25
	s_or_b32 exec_lo, exec_lo, s26
	s_and_saveexec_b32 s25, s11
	s_cbranch_execnz .LBB2_1580
	s_branch .LBB2_1581
.LBB2_1734:                             ;   in Loop: Header=BB2_1451 Depth=2
	s_mov_b32 s11, -1
	s_mov_b32 s27, exec_lo
                                        ; implicit-def: $sgpr25
	v_cmpx_eq_u16_e32 0x80, v116
; %bb.1735:                             ;   in Loop: Header=BB2_1451 Depth=2
	s_mov_b32 s25, 0x7f800001
	s_xor_b32 s11, exec_lo, -1
; %bb.1736:                             ;   in Loop: Header=BB2_1451 Depth=2
	s_or_b32 exec_lo, exec_lo, s27
	s_delay_alu instid0(SALU_CYCLE_1)
	s_and_b32 s11, s11, exec_lo
                                        ; implicit-def: $vgpr116
	s_or_saveexec_b32 s26, s26
	v_mov_b32_e32 v115, s25
	s_xor_b32 exec_lo, exec_lo, s26
	s_cbranch_execz .LBB2_1591
.LBB2_1737:                             ;   in Loop: Header=BB2_1451 Depth=2
	v_cmp_ne_u16_e32 vcc_lo, 0, v116
	v_mov_b32_e32 v115, 0
	s_and_not1_b32 s11, s11, exec_lo
	s_and_b32 s25, vcc_lo, exec_lo
	s_delay_alu instid0(SALU_CYCLE_1)
	s_or_b32 s11, s11, s25
	s_or_b32 exec_lo, exec_lo, s26
	s_and_saveexec_b32 s25, s11
	s_cbranch_execnz .LBB2_1592
	s_branch .LBB2_1593
.LBB2_1738:                             ;   in Loop: Header=BB2_1451 Depth=2
	s_mov_b32 s11, -1
	s_mov_b32 s27, exec_lo
                                        ; implicit-def: $sgpr25
	v_cmpx_eq_u16_e32 0x80, v116
; %bb.1739:                             ;   in Loop: Header=BB2_1451 Depth=2
	s_mov_b32 s25, 0x7f800001
	s_xor_b32 s11, exec_lo, -1
; %bb.1740:                             ;   in Loop: Header=BB2_1451 Depth=2
	s_or_b32 exec_lo, exec_lo, s27
	s_delay_alu instid0(SALU_CYCLE_1)
	s_and_b32 s11, s11, exec_lo
                                        ; implicit-def: $vgpr116
	s_or_saveexec_b32 s26, s26
	v_mov_b32_e32 v102, s25
	s_xor_b32 exec_lo, exec_lo, s26
	s_cbranch_execz .LBB2_1595
.LBB2_1741:                             ;   in Loop: Header=BB2_1451 Depth=2
	v_cmp_ne_u16_e32 vcc_lo, 0, v116
	v_mov_b32_e32 v102, 0
	s_and_not1_b32 s11, s11, exec_lo
	s_and_b32 s25, vcc_lo, exec_lo
	s_delay_alu instid0(SALU_CYCLE_1)
	s_or_b32 s11, s11, s25
	s_or_b32 exec_lo, exec_lo, s26
	s_and_saveexec_b32 s25, s11
	s_cbranch_execnz .LBB2_1596
	s_branch .LBB2_1597
.LBB2_1742:                             ;   in Loop: Header=BB2_1451 Depth=2
	s_mov_b32 s11, -1
	s_mov_b32 s27, exec_lo
                                        ; implicit-def: $sgpr25
	v_cmpx_eq_u16_e32 0x80, v115
; %bb.1743:                             ;   in Loop: Header=BB2_1451 Depth=2
	s_mov_b32 s25, 0x7f800001
	s_xor_b32 s11, exec_lo, -1
; %bb.1744:                             ;   in Loop: Header=BB2_1451 Depth=2
	s_or_b32 exec_lo, exec_lo, s27
	s_delay_alu instid0(SALU_CYCLE_1)
	s_and_b32 s11, s11, exec_lo
                                        ; implicit-def: $vgpr115
	s_or_saveexec_b32 s26, s26
	v_mov_b32_e32 v114, s25
	s_xor_b32 exec_lo, exec_lo, s26
	s_cbranch_execz .LBB2_1607
.LBB2_1745:                             ;   in Loop: Header=BB2_1451 Depth=2
	v_cmp_ne_u16_e32 vcc_lo, 0, v115
	v_mov_b32_e32 v114, 0
	s_and_not1_b32 s11, s11, exec_lo
	s_and_b32 s25, vcc_lo, exec_lo
	s_delay_alu instid0(SALU_CYCLE_1)
	s_or_b32 s11, s11, s25
	s_or_b32 exec_lo, exec_lo, s26
	s_and_saveexec_b32 s25, s11
	s_cbranch_execnz .LBB2_1608
	s_branch .LBB2_1609
.LBB2_1746:                             ;   in Loop: Header=BB2_1451 Depth=2
	s_mov_b32 s11, -1
	s_mov_b32 s27, exec_lo
                                        ; implicit-def: $sgpr25
	v_cmpx_eq_u16_e32 0x80, v115
; %bb.1747:                             ;   in Loop: Header=BB2_1451 Depth=2
	s_mov_b32 s25, 0x7f800001
	s_xor_b32 s11, exec_lo, -1
; %bb.1748:                             ;   in Loop: Header=BB2_1451 Depth=2
	s_or_b32 exec_lo, exec_lo, s27
	s_delay_alu instid0(SALU_CYCLE_1)
	s_and_b32 s11, s11, exec_lo
                                        ; implicit-def: $vgpr115
	s_or_saveexec_b32 s26, s26
	v_mov_b32_e32 v101, s25
	s_xor_b32 exec_lo, exec_lo, s26
	s_cbranch_execz .LBB2_1611
.LBB2_1749:                             ;   in Loop: Header=BB2_1451 Depth=2
	v_cmp_ne_u16_e32 vcc_lo, 0, v115
	v_mov_b32_e32 v101, 0
	s_and_not1_b32 s11, s11, exec_lo
	s_and_b32 s25, vcc_lo, exec_lo
	s_delay_alu instid0(SALU_CYCLE_1)
	s_or_b32 s11, s11, s25
	s_or_b32 exec_lo, exec_lo, s26
	s_and_saveexec_b32 s25, s11
	s_cbranch_execnz .LBB2_1612
	s_branch .LBB2_1613
.LBB2_1750:                             ;   in Loop: Header=BB2_1451 Depth=2
	s_mov_b32 s11, -1
	s_mov_b32 s27, exec_lo
                                        ; implicit-def: $sgpr25
	v_cmpx_eq_u16_e32 0x80, v114
; %bb.1751:                             ;   in Loop: Header=BB2_1451 Depth=2
	s_mov_b32 s25, 0x7f800001
	s_xor_b32 s11, exec_lo, -1
; %bb.1752:                             ;   in Loop: Header=BB2_1451 Depth=2
	s_or_b32 exec_lo, exec_lo, s27
	s_delay_alu instid0(SALU_CYCLE_1)
	s_and_b32 s11, s11, exec_lo
                                        ; implicit-def: $vgpr114
	s_or_saveexec_b32 s26, s26
	v_mov_b32_e32 v113, s25
	s_xor_b32 exec_lo, exec_lo, s26
	s_cbranch_execz .LBB2_1623
.LBB2_1753:                             ;   in Loop: Header=BB2_1451 Depth=2
	v_cmp_ne_u16_e32 vcc_lo, 0, v114
	v_mov_b32_e32 v113, 0
	s_and_not1_b32 s11, s11, exec_lo
	s_and_b32 s25, vcc_lo, exec_lo
	s_delay_alu instid0(SALU_CYCLE_1)
	s_or_b32 s11, s11, s25
	s_or_b32 exec_lo, exec_lo, s26
	s_and_saveexec_b32 s25, s11
	s_cbranch_execnz .LBB2_1624
	s_branch .LBB2_1625
.LBB2_1754:                             ;   in Loop: Header=BB2_1451 Depth=2
	s_mov_b32 s11, -1
	s_mov_b32 s27, exec_lo
                                        ; implicit-def: $sgpr25
	v_cmpx_eq_u16_e32 0x80, v114
; %bb.1755:                             ;   in Loop: Header=BB2_1451 Depth=2
	s_mov_b32 s25, 0x7f800001
	s_xor_b32 s11, exec_lo, -1
; %bb.1756:                             ;   in Loop: Header=BB2_1451 Depth=2
	s_or_b32 exec_lo, exec_lo, s27
	s_delay_alu instid0(SALU_CYCLE_1)
	s_and_b32 s11, s11, exec_lo
                                        ; implicit-def: $vgpr114
	s_or_saveexec_b32 s26, s26
	v_mov_b32_e32 v99, s25
	s_xor_b32 exec_lo, exec_lo, s26
	s_cbranch_execz .LBB2_1627
.LBB2_1757:                             ;   in Loop: Header=BB2_1451 Depth=2
	v_cmp_ne_u16_e32 vcc_lo, 0, v114
	v_mov_b32_e32 v99, 0
	s_and_not1_b32 s11, s11, exec_lo
	s_and_b32 s25, vcc_lo, exec_lo
	s_delay_alu instid0(SALU_CYCLE_1)
	s_or_b32 s11, s11, s25
	s_or_b32 exec_lo, exec_lo, s26
	s_and_saveexec_b32 s25, s11
	s_cbranch_execnz .LBB2_1628
	s_branch .LBB2_1629
.LBB2_1758:                             ;   in Loop: Header=BB2_1451 Depth=2
	s_mov_b32 s11, -1
	s_mov_b32 s27, exec_lo
                                        ; implicit-def: $sgpr25
	v_cmpx_eq_u16_e32 0x80, v113
; %bb.1759:                             ;   in Loop: Header=BB2_1451 Depth=2
	s_mov_b32 s25, 0x7f800001
	s_xor_b32 s11, exec_lo, -1
; %bb.1760:                             ;   in Loop: Header=BB2_1451 Depth=2
	s_or_b32 exec_lo, exec_lo, s27
	s_delay_alu instid0(SALU_CYCLE_1)
	s_and_b32 s11, s11, exec_lo
                                        ; implicit-def: $vgpr113
	s_or_saveexec_b32 s26, s26
	v_mov_b32_e32 v112, s25
	s_xor_b32 exec_lo, exec_lo, s26
	s_cbranch_execz .LBB2_1639
.LBB2_1761:                             ;   in Loop: Header=BB2_1451 Depth=2
	v_cmp_ne_u16_e32 vcc_lo, 0, v113
	v_mov_b32_e32 v112, 0
	s_and_not1_b32 s11, s11, exec_lo
	s_and_b32 s25, vcc_lo, exec_lo
	s_delay_alu instid0(SALU_CYCLE_1)
	s_or_b32 s11, s11, s25
	s_or_b32 exec_lo, exec_lo, s26
	s_and_saveexec_b32 s25, s11
	s_cbranch_execnz .LBB2_1640
	s_branch .LBB2_1641
.LBB2_1762:                             ;   in Loop: Header=BB2_1451 Depth=2
	s_mov_b32 s11, -1
	s_mov_b32 s27, exec_lo
                                        ; implicit-def: $sgpr25
	v_cmpx_eq_u16_e32 0x80, v113
; %bb.1763:                             ;   in Loop: Header=BB2_1451 Depth=2
	s_mov_b32 s25, 0x7f800001
	s_xor_b32 s11, exec_lo, -1
; %bb.1764:                             ;   in Loop: Header=BB2_1451 Depth=2
	s_or_b32 exec_lo, exec_lo, s27
	s_delay_alu instid0(SALU_CYCLE_1)
	s_and_b32 s11, s11, exec_lo
                                        ; implicit-def: $vgpr113
	s_or_saveexec_b32 s26, s26
	v_mov_b32_e32 v97, s25
	s_xor_b32 exec_lo, exec_lo, s26
	s_cbranch_execz .LBB2_1643
.LBB2_1765:                             ;   in Loop: Header=BB2_1451 Depth=2
	v_cmp_ne_u16_e32 vcc_lo, 0, v113
	v_mov_b32_e32 v97, 0
	s_and_not1_b32 s11, s11, exec_lo
	s_and_b32 s25, vcc_lo, exec_lo
	s_delay_alu instid0(SALU_CYCLE_1)
	s_or_b32 s11, s11, s25
	s_or_b32 exec_lo, exec_lo, s26
	s_and_saveexec_b32 s25, s11
	s_cbranch_execnz .LBB2_1644
	s_branch .LBB2_1645
.LBB2_1766:                             ;   in Loop: Header=BB2_1451 Depth=2
	s_mov_b32 s11, -1
	s_mov_b32 s27, exec_lo
                                        ; implicit-def: $sgpr25
	v_cmpx_eq_u16_e32 0x80, v112
; %bb.1767:                             ;   in Loop: Header=BB2_1451 Depth=2
	s_mov_b32 s25, 0x7f800001
	s_xor_b32 s11, exec_lo, -1
; %bb.1768:                             ;   in Loop: Header=BB2_1451 Depth=2
	s_or_b32 exec_lo, exec_lo, s27
	s_delay_alu instid0(SALU_CYCLE_1)
	s_and_b32 s11, s11, exec_lo
                                        ; implicit-def: $vgpr112
	s_or_saveexec_b32 s26, s26
	v_mov_b32_e32 v103, s25
	s_xor_b32 exec_lo, exec_lo, s26
	s_cbranch_execz .LBB2_1655
.LBB2_1769:                             ;   in Loop: Header=BB2_1451 Depth=2
	v_cmp_ne_u16_e32 vcc_lo, 0, v112
	v_mov_b32_e32 v103, 0
	s_and_not1_b32 s11, s11, exec_lo
	s_and_b32 s25, vcc_lo, exec_lo
	s_delay_alu instid0(SALU_CYCLE_1)
	s_or_b32 s11, s11, s25
	s_or_b32 exec_lo, exec_lo, s26
	s_and_saveexec_b32 s25, s11
	s_cbranch_execnz .LBB2_1656
	s_branch .LBB2_1657
.LBB2_1770:                             ;   in Loop: Header=BB2_1451 Depth=2
	s_mov_b32 s11, -1
	s_mov_b32 s27, exec_lo
                                        ; implicit-def: $sgpr25
	v_cmpx_eq_u16_e32 0x80, v112
; %bb.1771:                             ;   in Loop: Header=BB2_1451 Depth=2
	s_mov_b32 s25, 0x7f800001
	s_xor_b32 s11, exec_lo, -1
; %bb.1772:                             ;   in Loop: Header=BB2_1451 Depth=2
	s_or_b32 exec_lo, exec_lo, s27
	s_delay_alu instid0(SALU_CYCLE_1)
	s_and_b32 s11, s11, exec_lo
                                        ; implicit-def: $vgpr112
	s_or_saveexec_b32 s26, s26
	v_mov_b32_e32 v96, s25
	s_xor_b32 exec_lo, exec_lo, s26
	s_cbranch_execz .LBB2_1659
.LBB2_1773:                             ;   in Loop: Header=BB2_1451 Depth=2
	v_cmp_ne_u16_e32 vcc_lo, 0, v112
	v_mov_b32_e32 v96, 0
	s_and_not1_b32 s11, s11, exec_lo
	s_and_b32 s25, vcc_lo, exec_lo
	s_delay_alu instid0(SALU_CYCLE_1)
	s_or_b32 s11, s11, s25
	s_or_b32 exec_lo, exec_lo, s26
	s_and_saveexec_b32 s25, s11
	s_cbranch_execnz .LBB2_1660
	s_branch .LBB2_1661
.LBB2_1774:                             ;   in Loop: Header=BB2_1451 Depth=2
	s_mov_b32 s11, -1
	s_mov_b32 s27, exec_lo
                                        ; implicit-def: $sgpr25
	v_cmpx_eq_u16_e32 0x80, v103
; %bb.1775:                             ;   in Loop: Header=BB2_1451 Depth=2
	s_mov_b32 s25, 0x7f800001
	s_xor_b32 s11, exec_lo, -1
; %bb.1776:                             ;   in Loop: Header=BB2_1451 Depth=2
	s_or_b32 exec_lo, exec_lo, s27
	s_delay_alu instid0(SALU_CYCLE_1)
	s_and_b32 s11, s11, exec_lo
                                        ; implicit-def: $vgpr103
	s_or_saveexec_b32 s26, s26
	v_mov_b32_e32 v98, s25
	s_xor_b32 exec_lo, exec_lo, s26
	s_cbranch_execz .LBB2_1671
.LBB2_1777:                             ;   in Loop: Header=BB2_1451 Depth=2
	v_cmp_ne_u16_e32 vcc_lo, 0, v103
	v_mov_b32_e32 v98, 0
	s_and_not1_b32 s11, s11, exec_lo
	s_and_b32 s25, vcc_lo, exec_lo
	s_delay_alu instid0(SALU_CYCLE_1)
	s_or_b32 s11, s11, s25
	s_or_b32 exec_lo, exec_lo, s26
	s_and_saveexec_b32 s25, s11
	s_cbranch_execnz .LBB2_1672
	s_branch .LBB2_1673
.LBB2_1778:                             ;   in Loop: Header=BB2_1451 Depth=2
	s_mov_b32 s11, -1
	s_mov_b32 s27, exec_lo
                                        ; implicit-def: $sgpr25
	v_cmpx_eq_u16_e32 0x80, v103
; %bb.1779:                             ;   in Loop: Header=BB2_1451 Depth=2
	s_mov_b32 s25, 0x7f800001
	s_xor_b32 s11, exec_lo, -1
; %bb.1780:                             ;   in Loop: Header=BB2_1451 Depth=2
	s_or_b32 exec_lo, exec_lo, s27
	s_delay_alu instid0(SALU_CYCLE_1)
	s_and_b32 s11, s11, exec_lo
                                        ; implicit-def: $vgpr103
	s_or_saveexec_b32 s26, s26
	v_mov_b32_e32 v49, s25
	s_xor_b32 exec_lo, exec_lo, s26
	s_cbranch_execz .LBB2_1675
.LBB2_1781:                             ;   in Loop: Header=BB2_1451 Depth=2
	v_cmp_ne_u16_e32 vcc_lo, 0, v103
	v_mov_b32_e32 v49, 0
	s_and_not1_b32 s11, s11, exec_lo
	s_and_b32 s25, vcc_lo, exec_lo
	s_delay_alu instid0(SALU_CYCLE_1)
	s_or_b32 s11, s11, s25
	s_or_b32 exec_lo, exec_lo, s26
	s_and_saveexec_b32 s25, s11
	s_cbranch_execnz .LBB2_1676
	s_branch .LBB2_1677
.LBB2_1782:                             ;   in Loop: Header=BB2_53 Depth=1
	s_or_b32 exec_lo, exec_lo, s24
.LBB2_1783:                             ;   in Loop: Header=BB2_53 Depth=1
	s_delay_alu instid0(SALU_CYCLE_1) | instskip(SKIP_1) | instid1(VALU_DEP_1)
	s_or_b32 exec_lo, exec_lo, s23
	v_and_b32_e32 v10, 0xffffff00, v85
	v_cmp_ne_u32_e32 vcc_lo, v85, v10
	s_and_b32 exec_lo, exec_lo, vcc_lo
	s_cbranch_execz .LBB2_1838
; %bb.1784:                             ;   in Loop: Header=BB2_53 Depth=1
	v_lshlrev_b32_e32 v11, 5, v51
	v_lshlrev_b32_e32 v12, 5, v86
	s_delay_alu instid0(VALU_DEP_2) | instskip(NEXT) | instid1(VALU_DEP_1)
	v_sub_nc_u32_e32 v11, v50, v11
	v_sub_nc_u32_e32 v11, v11, v12
	v_and_b32_e32 v12, 0xff, v85
	s_delay_alu instid0(VALU_DEP_1) | instskip(NEXT) | instid1(VALU_DEP_1)
	v_sub_nc_u32_e32 v50, v12, v11
	v_cmp_lt_i32_e32 vcc_lo, 0, v50
	s_and_b32 exec_lo, exec_lo, vcc_lo
	s_cbranch_execz .LBB2_1838
; %bb.1785:                             ;   in Loop: Header=BB2_53 Depth=1
	s_cbranch_execz .LBB2_1786
; %bb.5327:
	s_getpc_b64 s[34:35]
.Lpost_getpc37:
	s_add_u32 s34, s34, (.LBB2_5215-.Lpost_getpc37)&4294967295
	s_addc_u32 s35, s35, (.LBB2_5215-.Lpost_getpc37)>>32
	s_setpc_b64 s[34:35]
.LBB2_1786:                             ;   in Loop: Header=BB2_53 Depth=1
	ds_load_b128 v[96:99], v0
	ds_load_b64 v[38:39], v0
	v_add3_u32 v48, v10, v84, v11
	s_mov_b32 s23, 0
	s_delay_alu instid0(VALU_DEP_1) | instskip(SKIP_2) | instid1(VALU_DEP_2)
	v_ashrrev_i32_e32 v49, 31, v48
	s_waitcnt lgkmcnt(1)
	v_add_co_u32 v10, vcc_lo, v96, v48
	v_add_co_ci_u32_e32 v11, vcc_lo, v97, v49, vcc_lo
	v_add_co_u32 v12, vcc_lo, v98, v48
	v_add_co_ci_u32_e32 v13, vcc_lo, v99, v49, vcc_lo
	s_waitcnt lgkmcnt(0)
	v_add_co_u32 v38, vcc_lo, v38, v48
	v_add_co_ci_u32_e32 v39, vcc_lo, v39, v49, vcc_lo
.LBB2_1787:                             ;   Parent Loop BB2_53 Depth=1
                                        ; =>  This Inner Loop Header: Depth=2
	s_cbranch_execz .LBB2_1788
; %bb.5329:
	s_getpc_b64 s[34:35]
.Lpost_getpc38:
	s_add_u32 s34, s34, (.LBB2_5217-.Lpost_getpc38)&4294967295
	s_addc_u32 s35, s35, (.LBB2_5217-.Lpost_getpc38)>>32
	s_setpc_b64 s[34:35]
.LBB2_1788:                             ;   in Loop: Header=BB2_1787 Depth=2
	ds_load_b64 v[48:49], v0
	s_waitcnt lgkmcnt(0)
	v_and_b32_e32 v49, 0xff, v48
	v_readfirstlane_b32 s11, v48
	s_delay_alu instid0(VALU_DEP_2)
	v_cmp_gt_i16_e32 vcc_lo, 0x80, v49
	s_cbranch_vccnz .LBB2_1792
; %bb.1789:                             ;   in Loop: Header=BB2_1787 Depth=2
	v_cmp_eq_u16_e32 vcc_lo, 0x80, v49
	s_mov_b32 s24, -1
                                        ; implicit-def: $sgpr25
	s_cbranch_vccz .LBB2_1791
; %bb.1790:                             ;   in Loop: Header=BB2_1787 Depth=2
	s_mov_b32 s24, 0
	s_mov_b32 s25, 0x7f800001
.LBB2_1791:                             ;   in Loop: Header=BB2_1787 Depth=2
	s_mov_b32 s26, 0
	s_branch .LBB2_1793
.LBB2_1792:                             ;   in Loop: Header=BB2_1787 Depth=2
	s_mov_b32 s26, -1
	s_mov_b32 s24, 0
                                        ; implicit-def: $sgpr25
.LBB2_1793:                             ;   in Loop: Header=BB2_1787 Depth=2
	s_and_b32 vcc_lo, exec_lo, s26
	s_cbranch_vccz .LBB2_1795
; %bb.1794:                             ;   in Loop: Header=BB2_1787 Depth=2
	v_cmp_ne_u16_e64 s24, 0, v49
	s_mov_b32 s25, 0
.LBB2_1795:                             ;   in Loop: Header=BB2_1787 Depth=2
	s_delay_alu instid0(SALU_CYCLE_1) | instskip(NEXT) | instid1(VALU_DEP_2)
	v_mov_b32_e32 v49, s25
	s_and_not1_b32 vcc_lo, exec_lo, s24
	s_cbranch_vccnz .LBB2_1797
; %bb.1796:                             ;   in Loop: Header=BB2_1787 Depth=2
	s_and_b32 s24, s11, 7
	s_bfe_u32 s26, s11, 0x40003
	s_clz_i32_u32 s25, s24
	v_lshlrev_b32_e32 v48, 24, v48
	s_min_u32 s25, s25, 32
	s_delay_alu instid0(SALU_CYCLE_1)
	s_sub_i32 s27, s25, 28
	s_sub_i32 s25, 29, s25
	s_lshl_b32 s11, s11, s27
	v_and_b32_e32 v48, 0x80000000, v48
	s_and_b32 s11, s11, 7
	s_cmp_eq_u32 s26, 0
	s_cselect_b32 s25, s25, s26
	s_cselect_b32 s11, s11, s24
	s_lshl_b32 s24, s25, 23
	s_lshl_b32 s11, s11, 20
	s_add_i32 s24, s24, 0x3b800000
	s_delay_alu instid0(SALU_CYCLE_1) | instskip(NEXT) | instid1(VALU_DEP_1)
	v_or_b32_e32 v48, s24, v48
	v_or_b32_e32 v49, s11, v48
.LBB2_1797:                             ;   in Loop: Header=BB2_1787 Depth=2
	flat_load_u8 v48, v[10:11] slc dlc
	s_mov_b32 s11, 0
	s_mov_b32 s25, exec_lo
                                        ; implicit-def: $sgpr24
	s_waitcnt vmcnt(0) lgkmcnt(0)
	v_cmpx_lt_i16_e32 0x7f, v48
	s_xor_b32 s25, exec_lo, s25
	s_cbranch_execnz .LBB2_1826
; %bb.1798:                             ;   in Loop: Header=BB2_1787 Depth=2
	s_or_saveexec_b32 s25, s25
	v_mov_b32_e32 v51, s24
	s_xor_b32 exec_lo, exec_lo, s25
	s_cbranch_execnz .LBB2_1829
.LBB2_1799:                             ;   in Loop: Header=BB2_1787 Depth=2
	s_or_b32 exec_lo, exec_lo, s25
	s_and_saveexec_b32 s24, s11
	s_cbranch_execz .LBB2_1801
.LBB2_1800:                             ;   in Loop: Header=BB2_1787 Depth=2
	v_and_b32_e32 v51, 0xffff, v48
	v_lshlrev_b32_e32 v48, 24, v48
	s_delay_alu instid0(VALU_DEP_2) | instskip(NEXT) | instid1(VALU_DEP_2)
	v_and_b32_e32 v84, 7, v51
	v_and_b32_e32 v48, 0x80000000, v48
	s_delay_alu instid0(VALU_DEP_2) | instskip(NEXT) | instid1(VALU_DEP_1)
	v_clz_i32_u32_e32 v85, v84
	v_min_u32_e32 v85, 32, v85
	s_delay_alu instid0(VALU_DEP_1) | instskip(SKIP_1) | instid1(VALU_DEP_2)
	v_subrev_nc_u32_e32 v86, 28, v85
	v_sub_nc_u32_e32 v85, 29, v85
	v_lshlrev_b32_e32 v86, v86, v51
	v_bfe_u32 v51, v51, 3, 4
	s_delay_alu instid0(VALU_DEP_2) | instskip(NEXT) | instid1(VALU_DEP_2)
	v_and_b32_e32 v86, 7, v86
	v_cmp_eq_u32_e32 vcc_lo, 0, v51
	s_delay_alu instid0(VALU_DEP_2) | instskip(NEXT) | instid1(VALU_DEP_1)
	v_dual_cndmask_b32 v51, v51, v85 :: v_dual_cndmask_b32 v84, v84, v86
	v_lshl_add_u32 v51, v51, 23, 0x3b800000
	s_delay_alu instid0(VALU_DEP_2) | instskip(NEXT) | instid1(VALU_DEP_1)
	v_lshlrev_b32_e32 v84, 20, v84
	v_or3_b32 v51, v48, v51, v84
.LBB2_1801:                             ;   in Loop: Header=BB2_1787 Depth=2
	s_or_b32 exec_lo, exec_lo, s24
	s_delay_alu instid0(VALU_DEP_1) | instskip(SKIP_1) | instid1(VALU_DEP_1)
	v_dual_mul_f32 v48, v49, v51 :: v_dual_mov_b32 v51, 0x80
	s_mov_b32 s24, exec_lo
	v_and_b32_e32 v49, 0x7f800000, v48
	s_delay_alu instid0(VALU_DEP_1)
	v_cmpx_ne_u32_e32 0x7f800000, v49
	s_cbranch_execz .LBB2_1809
; %bb.1802:                             ;   in Loop: Header=BB2_1787 Depth=2
	v_mov_b32_e32 v51, 0
	s_mov_b32 s25, exec_lo
	v_cmpx_ne_u32_e32 0, v48
	s_cbranch_execz .LBB2_1808
; %bb.1803:                             ;   in Loop: Header=BB2_1787 Depth=2
	v_bfe_u32 v49, v48, 23, 8
	v_and_b32_e32 v51, 0x7fffff, v48
	s_delay_alu instid0(VALU_DEP_2) | instskip(SKIP_1) | instid1(VALU_DEP_3)
	v_sub_nc_u32_e32 v84, 0x78, v49
	v_cmp_gt_u32_e32 vcc_lo, 0x79, v49
	v_or_b32_e32 v85, 0x800000, v51
	s_delay_alu instid0(VALU_DEP_3) | instskip(SKIP_2) | instid1(VALU_DEP_4)
	v_cndmask_b32_e32 v84, 0, v84, vcc_lo
	v_cmp_eq_u32_e32 vcc_lo, 0, v49
	v_add_nc_u32_e32 v49, 0xffffff89, v49
	v_cndmask_b32_e32 v51, v85, v51, vcc_lo
	s_delay_alu instid0(VALU_DEP_4) | instskip(NEXT) | instid1(VALU_DEP_3)
	v_cndmask_b32_e64 v84, v84, 0x77, vcc_lo
	v_cndmask_b32_e64 v49, v49, 0xffffff8a, vcc_lo
	s_delay_alu instid0(VALU_DEP_2) | instskip(SKIP_2) | instid1(VALU_DEP_4)
	v_lshrrev_b32_e32 v86, v84, v51
	v_lshl_add_u32 v85, 0x100000, v84, -1
	v_lshlrev_b32_e64 v96, v84, 0x80000
	v_add_nc_u32_e32 v84, v84, v49
	s_delay_alu instid0(VALU_DEP_4) | instskip(NEXT) | instid1(VALU_DEP_4)
	v_bfe_u32 v87, v86, 20, 1
	v_and_b32_e32 v51, v85, v51
	s_delay_alu instid0(VALU_DEP_2) | instskip(NEXT) | instid1(VALU_DEP_2)
	v_add_nc_u32_e32 v85, -1, v87
	v_cmp_eq_u32_e64 s11, v51, v96
	s_delay_alu instid0(VALU_DEP_1) | instskip(SKIP_2) | instid1(VALU_DEP_2)
	v_cndmask_b32_e64 v51, 0, v85, s11
	v_lshrrev_b32_e32 v85, 23, v86
	s_mov_b32 s11, exec_lo
	v_add_nc_u32_e32 v51, v51, v86
	s_delay_alu instid0(VALU_DEP_2) | instskip(NEXT) | instid1(VALU_DEP_2)
	v_xor_b32_e32 v85, 1, v85
	v_and_b32_e32 v49, 0xfffff, v51
	s_delay_alu instid0(VALU_DEP_1) | instskip(NEXT) | instid1(VALU_DEP_3)
	v_add_nc_u32_e32 v51, v49, v86
                                        ; implicit-def: $vgpr49
	v_cmpx_ne_u32_e64 v84, v85
	s_xor_b32 s11, exec_lo, s11
; %bb.1804:                             ;   in Loop: Header=BB2_1787 Depth=2
	s_delay_alu instid0(VALU_DEP_2) | instskip(SKIP_2) | instid1(VALU_DEP_2)
	v_cmp_lt_u32_e32 vcc_lo, 0xffffff, v51
	v_sub_nc_u32_e32 v49, v84, v85
	v_cndmask_b32_e64 v84, 0, 1, vcc_lo
	v_add_co_ci_u32_e32 v49, vcc_lo, 0, v49, vcc_lo
	s_delay_alu instid0(VALU_DEP_2)
	v_lshrrev_b32_e32 v51, v84, v51
; %bb.1805:                             ;   in Loop: Header=BB2_1787 Depth=2
	s_and_not1_saveexec_b32 s11, s11
; %bb.1806:                             ;   in Loop: Header=BB2_1787 Depth=2
	s_delay_alu instid0(VALU_DEP_1)
	v_bfe_u32 v49, v51, 23, 1
; %bb.1807:                             ;   in Loop: Header=BB2_1787 Depth=2
	s_or_b32 exec_lo, exec_lo, s11
	v_lshrrev_b32_e32 v51, 20, v51
	s_delay_alu instid0(VALU_DEP_2) | instskip(SKIP_2) | instid1(VALU_DEP_2)
	v_cmp_gt_i32_e32 vcc_lo, 16, v49
	v_lshrrev_b32_e32 v48, 24, v48
	v_min_i32_e32 v84, 15, v49
	v_dual_cndmask_b32 v51, 7, v51 :: v_dual_and_b32 v48, 0x80, v48
	s_delay_alu instid0(VALU_DEP_2) | instskip(NEXT) | instid1(VALU_DEP_2)
	v_lshlrev_b32_e32 v84, 3, v84
	v_and_b32_e32 v85, 7, v51
	v_or_b32_e32 v49, v49, v51
	s_delay_alu instid0(VALU_DEP_2) | instskip(NEXT) | instid1(VALU_DEP_2)
	v_or3_b32 v48, v84, v48, v85
	v_cmp_ne_u32_e32 vcc_lo, 0, v49
	s_delay_alu instid0(VALU_DEP_2)
	v_cndmask_b32_e32 v51, 0, v48, vcc_lo
.LBB2_1808:                             ;   in Loop: Header=BB2_1787 Depth=2
	s_or_b32 exec_lo, exec_lo, s25
.LBB2_1809:                             ;   in Loop: Header=BB2_1787 Depth=2
	s_delay_alu instid0(SALU_CYCLE_1) | instskip(SKIP_4) | instid1(VALU_DEP_1)
	s_or_b32 exec_lo, exec_lo, s24
	flat_load_u8 v48, v[12:13] slc dlc
	v_and_b32_e32 v84, 0xff, v51
	s_mov_b32 s11, 0
	s_mov_b32 s25, exec_lo
                                        ; implicit-def: $sgpr24
	v_cmpx_lt_i16_e32 0x7f, v84
	s_xor_b32 s25, exec_lo, s25
	s_cbranch_execnz .LBB2_1830
; %bb.1810:                             ;   in Loop: Header=BB2_1787 Depth=2
	s_or_saveexec_b32 s25, s25
	v_mov_b32_e32 v49, s24
	s_xor_b32 exec_lo, exec_lo, s25
	s_cbranch_execnz .LBB2_1833
.LBB2_1811:                             ;   in Loop: Header=BB2_1787 Depth=2
	s_or_b32 exec_lo, exec_lo, s25
	s_and_saveexec_b32 s24, s11
	s_cbranch_execz .LBB2_1813
.LBB2_1812:                             ;   in Loop: Header=BB2_1787 Depth=2
	v_lshrrev_b16 v86, 3, v51
	s_delay_alu instid0(VALU_DEP_1) | instskip(NEXT) | instid1(VALU_DEP_1)
	v_and_b32_e32 v86, 15, v86
	v_cmp_eq_u32_e32 vcc_lo, 0, v86
	v_and_b32_e32 v49, 7, v51
	s_delay_alu instid0(VALU_DEP_1) | instskip(NEXT) | instid1(VALU_DEP_1)
	v_clz_i32_u32_e32 v84, v49
	v_min_u32_e32 v84, 32, v84
	s_delay_alu instid0(VALU_DEP_1) | instskip(SKIP_1) | instid1(VALU_DEP_1)
	v_subrev_nc_u32_e32 v85, 28, v84
	v_sub_nc_u32_e32 v84, 29, v84
	v_dual_cndmask_b32 v84, v86, v84 :: v_dual_lshlrev_b32 v85, v85, v51
	v_lshlrev_b32_e32 v51, 24, v51
	s_delay_alu instid0(VALU_DEP_2) | instskip(NEXT) | instid1(VALU_DEP_3)
	v_and_b32_e32 v85, 7, v85
	v_lshl_add_u32 v84, v84, 23, 0x3b800000
	s_delay_alu instid0(VALU_DEP_3) | instskip(NEXT) | instid1(VALU_DEP_3)
	v_and_b32_e32 v51, 0x80000000, v51
	v_cndmask_b32_e32 v49, v49, v85, vcc_lo
	s_delay_alu instid0(VALU_DEP_1) | instskip(NEXT) | instid1(VALU_DEP_1)
	v_lshlrev_b32_e32 v49, 20, v49
	v_or3_b32 v49, v51, v84, v49
.LBB2_1813:                             ;   in Loop: Header=BB2_1787 Depth=2
	s_or_b32 exec_lo, exec_lo, s24
	s_waitcnt vmcnt(0) lgkmcnt(0)
	v_and_b32_e32 v84, 0xff, v48
	s_mov_b32 s11, 0
	s_mov_b32 s25, exec_lo
                                        ; implicit-def: $sgpr24
	s_delay_alu instid0(VALU_DEP_1)
	v_cmpx_lt_i16_e32 0x7f, v84
	s_xor_b32 s25, exec_lo, s25
	s_cbranch_execnz .LBB2_1834
; %bb.1814:                             ;   in Loop: Header=BB2_1787 Depth=2
	s_or_saveexec_b32 s25, s25
	v_mov_b32_e32 v51, s24
	s_xor_b32 exec_lo, exec_lo, s25
	s_cbranch_execnz .LBB2_1837
.LBB2_1815:                             ;   in Loop: Header=BB2_1787 Depth=2
	s_or_b32 exec_lo, exec_lo, s25
	s_and_saveexec_b32 s24, s11
	s_cbranch_execz .LBB2_1817
.LBB2_1816:                             ;   in Loop: Header=BB2_1787 Depth=2
	v_and_b32_e32 v51, 7, v48
	v_lshrrev_b16 v86, 3, v48
	s_delay_alu instid0(VALU_DEP_2) | instskip(NEXT) | instid1(VALU_DEP_1)
	v_clz_i32_u32_e32 v84, v51
	v_min_u32_e32 v84, 32, v84
	s_delay_alu instid0(VALU_DEP_1) | instskip(SKIP_1) | instid1(VALU_DEP_2)
	v_subrev_nc_u32_e32 v85, 28, v84
	v_sub_nc_u32_e32 v84, 29, v84
	v_lshlrev_b32_e32 v85, v85, v48
	v_lshlrev_b32_e32 v48, 24, v48
	s_delay_alu instid0(VALU_DEP_2) | instskip(SKIP_1) | instid1(VALU_DEP_3)
	v_and_b32_e32 v85, 7, v85
	v_and_b32_e32 v86, 15, v86
	;; [unrolled: 1-line block ×3, first 2 shown]
	s_delay_alu instid0(VALU_DEP_2) | instskip(NEXT) | instid1(VALU_DEP_4)
	v_cmp_eq_u32_e32 vcc_lo, 0, v86
	v_dual_cndmask_b32 v51, v51, v85 :: v_dual_cndmask_b32 v84, v86, v84
	s_delay_alu instid0(VALU_DEP_1) | instskip(NEXT) | instid1(VALU_DEP_2)
	v_lshlrev_b32_e32 v51, 20, v51
	v_lshl_add_u32 v84, v84, 23, 0x3b800000
	s_delay_alu instid0(VALU_DEP_1)
	v_or3_b32 v51, v48, v84, v51
.LBB2_1817:                             ;   in Loop: Header=BB2_1787 Depth=2
	s_or_b32 exec_lo, exec_lo, s24
	s_delay_alu instid0(VALU_DEP_1) | instskip(NEXT) | instid1(VALU_DEP_1)
	v_add_f32_e32 v48, v49, v51
	v_and_b32_e32 v49, 0x7f800000, v48
	s_delay_alu instid0(VALU_DEP_1)
	v_cmp_ne_u32_e32 vcc_lo, 0x7f800000, v49
	v_mov_b32_e32 v49, 0x80
	s_and_saveexec_b32 s24, vcc_lo
	s_cbranch_execz .LBB2_1825
; %bb.1818:                             ;   in Loop: Header=BB2_1787 Depth=2
	v_mov_b32_e32 v49, 0
	s_mov_b32 s25, exec_lo
	v_cmpx_ne_u32_e32 0, v48
	s_cbranch_execz .LBB2_1824
; %bb.1819:                             ;   in Loop: Header=BB2_1787 Depth=2
	v_bfe_u32 v49, v48, 23, 8
	v_and_b32_e32 v51, 0x7fffff, v48
	s_delay_alu instid0(VALU_DEP_2) | instskip(SKIP_1) | instid1(VALU_DEP_3)
	v_sub_nc_u32_e32 v84, 0x78, v49
	v_cmp_gt_u32_e32 vcc_lo, 0x79, v49
	v_or_b32_e32 v85, 0x800000, v51
	s_delay_alu instid0(VALU_DEP_3) | instskip(SKIP_2) | instid1(VALU_DEP_4)
	v_cndmask_b32_e32 v84, 0, v84, vcc_lo
	v_cmp_eq_u32_e32 vcc_lo, 0, v49
	v_add_nc_u32_e32 v49, 0xffffff89, v49
	v_cndmask_b32_e32 v51, v85, v51, vcc_lo
	s_delay_alu instid0(VALU_DEP_4) | instskip(NEXT) | instid1(VALU_DEP_3)
	v_cndmask_b32_e64 v84, v84, 0x77, vcc_lo
	v_cndmask_b32_e64 v49, v49, 0xffffff8a, vcc_lo
	s_delay_alu instid0(VALU_DEP_2) | instskip(SKIP_2) | instid1(VALU_DEP_4)
	v_lshrrev_b32_e32 v86, v84, v51
	v_lshl_add_u32 v85, 0x100000, v84, -1
	v_lshlrev_b32_e64 v96, v84, 0x80000
	v_add_nc_u32_e32 v84, v84, v49
	s_delay_alu instid0(VALU_DEP_4) | instskip(NEXT) | instid1(VALU_DEP_4)
	v_bfe_u32 v87, v86, 20, 1
	v_and_b32_e32 v51, v85, v51
	s_delay_alu instid0(VALU_DEP_2) | instskip(NEXT) | instid1(VALU_DEP_2)
	v_add_nc_u32_e32 v85, -1, v87
	v_cmp_eq_u32_e64 s11, v51, v96
	s_delay_alu instid0(VALU_DEP_1) | instskip(SKIP_2) | instid1(VALU_DEP_2)
	v_cndmask_b32_e64 v51, 0, v85, s11
	v_lshrrev_b32_e32 v85, 23, v86
	s_mov_b32 s11, exec_lo
	v_add_nc_u32_e32 v51, v51, v86
	s_delay_alu instid0(VALU_DEP_2) | instskip(NEXT) | instid1(VALU_DEP_2)
	v_xor_b32_e32 v85, 1, v85
	v_and_b32_e32 v49, 0xfffff, v51
	s_delay_alu instid0(VALU_DEP_1) | instskip(NEXT) | instid1(VALU_DEP_3)
	v_add_nc_u32_e32 v51, v49, v86
                                        ; implicit-def: $vgpr49
	v_cmpx_ne_u32_e64 v84, v85
	s_xor_b32 s11, exec_lo, s11
; %bb.1820:                             ;   in Loop: Header=BB2_1787 Depth=2
	s_delay_alu instid0(VALU_DEP_2) | instskip(SKIP_2) | instid1(VALU_DEP_2)
	v_cmp_lt_u32_e32 vcc_lo, 0xffffff, v51
	v_sub_nc_u32_e32 v49, v84, v85
	v_cndmask_b32_e64 v84, 0, 1, vcc_lo
	v_add_co_ci_u32_e32 v49, vcc_lo, 0, v49, vcc_lo
	s_delay_alu instid0(VALU_DEP_2)
	v_lshrrev_b32_e32 v51, v84, v51
; %bb.1821:                             ;   in Loop: Header=BB2_1787 Depth=2
	s_and_not1_saveexec_b32 s11, s11
; %bb.1822:                             ;   in Loop: Header=BB2_1787 Depth=2
	s_delay_alu instid0(VALU_DEP_1)
	v_bfe_u32 v49, v51, 23, 1
; %bb.1823:                             ;   in Loop: Header=BB2_1787 Depth=2
	s_or_b32 exec_lo, exec_lo, s11
	v_lshrrev_b32_e32 v51, 20, v51
	s_delay_alu instid0(VALU_DEP_2) | instskip(SKIP_2) | instid1(VALU_DEP_2)
	v_cmp_gt_i32_e32 vcc_lo, 16, v49
	v_lshrrev_b32_e32 v48, 24, v48
	v_min_i32_e32 v84, 15, v49
	v_dual_cndmask_b32 v51, 7, v51 :: v_dual_and_b32 v48, 0x80, v48
	s_delay_alu instid0(VALU_DEP_2) | instskip(NEXT) | instid1(VALU_DEP_2)
	v_lshlrev_b32_e32 v84, 3, v84
	v_and_b32_e32 v85, 7, v51
	v_or_b32_e32 v49, v49, v51
	s_delay_alu instid0(VALU_DEP_2) | instskip(NEXT) | instid1(VALU_DEP_2)
	v_or3_b32 v48, v84, v48, v85
	v_cmp_ne_u32_e32 vcc_lo, 0, v49
	s_delay_alu instid0(VALU_DEP_2)
	v_cndmask_b32_e32 v49, 0, v48, vcc_lo
.LBB2_1824:                             ;   in Loop: Header=BB2_1787 Depth=2
	s_or_b32 exec_lo, exec_lo, s25
.LBB2_1825:                             ;   in Loop: Header=BB2_1787 Depth=2
	s_delay_alu instid0(SALU_CYCLE_1)
	s_or_b32 exec_lo, exec_lo, s24
	v_add_co_u32 v10, vcc_lo, v10, v71
	v_sub_nc_u32_e32 v50, v50, v71
	v_add_co_ci_u32_e32 v11, vcc_lo, v11, v82, vcc_lo
	v_add_co_u32 v12, vcc_lo, v12, v71
	v_add_co_ci_u32_e32 v13, vcc_lo, v13, v82, vcc_lo
	flat_store_b8 v[38:39], v49 glc slc dlc
	v_cmp_gt_i32_e32 vcc_lo, 1, v50
	v_add_co_u32 v38, s11, v38, v71
	s_delay_alu instid0(VALU_DEP_1) | instskip(SKIP_1) | instid1(SALU_CYCLE_1)
	v_add_co_ci_u32_e64 v39, s11, v39, v82, s11
	s_or_b32 s23, vcc_lo, s23
	s_and_not1_b32 exec_lo, exec_lo, s23
	s_cbranch_execnz .LBB2_1787
	s_branch .LBB2_1838
.LBB2_1826:                             ;   in Loop: Header=BB2_1787 Depth=2
	s_mov_b32 s11, -1
	s_mov_b32 s26, exec_lo
                                        ; implicit-def: $sgpr24
	v_cmpx_eq_u16_e32 0x80, v48
; %bb.1827:                             ;   in Loop: Header=BB2_1787 Depth=2
	s_mov_b32 s24, 0x7f800001
	s_xor_b32 s11, exec_lo, -1
; %bb.1828:                             ;   in Loop: Header=BB2_1787 Depth=2
	s_or_b32 exec_lo, exec_lo, s26
	s_delay_alu instid0(SALU_CYCLE_1)
	s_and_b32 s11, s11, exec_lo
	s_or_saveexec_b32 s25, s25
	v_mov_b32_e32 v51, s24
	s_xor_b32 exec_lo, exec_lo, s25
	s_cbranch_execz .LBB2_1799
.LBB2_1829:                             ;   in Loop: Header=BB2_1787 Depth=2
	v_cmp_ne_u16_e32 vcc_lo, 0, v48
	v_mov_b32_e32 v51, 0
	s_and_not1_b32 s11, s11, exec_lo
	s_and_b32 s24, vcc_lo, exec_lo
	s_delay_alu instid0(SALU_CYCLE_1)
	s_or_b32 s11, s11, s24
	s_or_b32 exec_lo, exec_lo, s25
	s_and_saveexec_b32 s24, s11
	s_cbranch_execnz .LBB2_1800
	s_branch .LBB2_1801
.LBB2_1830:                             ;   in Loop: Header=BB2_1787 Depth=2
	s_mov_b32 s11, -1
	s_mov_b32 s26, exec_lo
                                        ; implicit-def: $sgpr24
	v_cmpx_eq_u16_e32 0x80, v84
; %bb.1831:                             ;   in Loop: Header=BB2_1787 Depth=2
	s_mov_b32 s24, 0x7f800001
	s_xor_b32 s11, exec_lo, -1
; %bb.1832:                             ;   in Loop: Header=BB2_1787 Depth=2
	s_or_b32 exec_lo, exec_lo, s26
	s_delay_alu instid0(SALU_CYCLE_1)
	s_and_b32 s11, s11, exec_lo
                                        ; implicit-def: $vgpr84
	s_or_saveexec_b32 s25, s25
	v_mov_b32_e32 v49, s24
	s_xor_b32 exec_lo, exec_lo, s25
	s_cbranch_execz .LBB2_1811
.LBB2_1833:                             ;   in Loop: Header=BB2_1787 Depth=2
	v_cmp_ne_u16_e32 vcc_lo, 0, v84
	v_mov_b32_e32 v49, 0
	s_and_not1_b32 s11, s11, exec_lo
	s_and_b32 s24, vcc_lo, exec_lo
	s_delay_alu instid0(SALU_CYCLE_1)
	s_or_b32 s11, s11, s24
	s_or_b32 exec_lo, exec_lo, s25
	s_and_saveexec_b32 s24, s11
	s_cbranch_execnz .LBB2_1812
	s_branch .LBB2_1813
.LBB2_1834:                             ;   in Loop: Header=BB2_1787 Depth=2
	s_mov_b32 s11, -1
	s_mov_b32 s26, exec_lo
                                        ; implicit-def: $sgpr24
	v_cmpx_eq_u16_e32 0x80, v84
; %bb.1835:                             ;   in Loop: Header=BB2_1787 Depth=2
	s_mov_b32 s24, 0x7f800001
	s_xor_b32 s11, exec_lo, -1
; %bb.1836:                             ;   in Loop: Header=BB2_1787 Depth=2
	s_or_b32 exec_lo, exec_lo, s26
	s_delay_alu instid0(SALU_CYCLE_1)
	s_and_b32 s11, s11, exec_lo
                                        ; implicit-def: $vgpr84
	s_or_saveexec_b32 s25, s25
	v_mov_b32_e32 v51, s24
	s_xor_b32 exec_lo, exec_lo, s25
	s_cbranch_execz .LBB2_1815
.LBB2_1837:                             ;   in Loop: Header=BB2_1787 Depth=2
	v_cmp_ne_u16_e32 vcc_lo, 0, v84
	v_mov_b32_e32 v51, 0
	s_and_not1_b32 s11, s11, exec_lo
	s_and_b32 s24, vcc_lo, exec_lo
	s_delay_alu instid0(SALU_CYCLE_1)
	s_or_b32 s11, s11, s24
	s_or_b32 exec_lo, exec_lo, s25
	s_and_saveexec_b32 s24, s11
	s_cbranch_execnz .LBB2_1816
	s_branch .LBB2_1817
.LBB2_1838:                             ;   in Loop: Header=BB2_53 Depth=1
	s_or_b32 exec_lo, exec_lo, s12
	v_cmp_ne_u32_e64 s11, 0, v32
.LBB2_1839:                             ;   in Loop: Header=BB2_53 Depth=1
	s_and_saveexec_b32 s12, s3
	s_cbranch_execz .LBB2_1861
; %bb.1840:                             ;   in Loop: Header=BB2_53 Depth=1
	s_and_saveexec_b32 s23, s4
	s_delay_alu instid0(SALU_CYCLE_1)
	s_xor_b32 s23, exec_lo, s23
	s_cbranch_execz .LBB2_1858
; %bb.1841:                             ;   in Loop: Header=BB2_53 Depth=1
	s_and_saveexec_b32 s24, s5
	s_cbranch_execz .LBB2_1857
; %bb.1842:                             ;   in Loop: Header=BB2_53 Depth=1
	s_mov_b32 s26, exec_lo
	s_mov_b32 s25, exec_lo
	v_mbcnt_lo_u32_b32 v10, s26, 0
	s_waitcnt lgkmcnt(0)
	s_waitcnt_vscnt null, 0x0
	buffer_gl1_inv
	buffer_gl0_inv
	v_cmpx_eq_u32_e32 0, v10
	s_cbranch_execz .LBB2_1844
; %bb.1843:                             ;   in Loop: Header=BB2_53 Depth=1
	s_bcnt1_i32_b32 s26, s26
	s_delay_alu instid0(SALU_CYCLE_1)
	v_mov_b32_e32 v32, s26
	ds_add_u64 v0, v[32:33]
	s_cbranch_execnz .LBB2_5197
.LBB2_1844:                             ;   in Loop: Header=BB2_53 Depth=1
	s_or_b32 exec_lo, exec_lo, s25
	s_cbranch_execnz .LBB2_5181
; %bb.1845:                             ;   in Loop: Header=BB2_53 Depth=1
	ds_load_b64 v[10:11], v0
	v_add_co_u32 v24, vcc_lo, v24, v53
	v_add_co_ci_u32_e32 v25, vcc_lo, 0, v25, vcc_lo
	s_mov_b32 s25, exec_lo
	s_waitcnt lgkmcnt(0)
	s_delay_alu instid0(VALU_DEP_1)
	v_cmpx_lt_u64_e64 v[10:11], v[24:25]
	s_cbranch_execz .LBB2_1856
; %bb.1846:                             ;   in Loop: Header=BB2_53 Depth=1
	s_mov_b32 s26, 0
	s_mov_b32 s29, 0
                                        ; implicit-def: $sgpr27
                                        ; implicit-def: $sgpr28
	s_branch .LBB2_1848
.LBB2_1847:                             ;   in Loop: Header=BB2_1848 Depth=2
	s_or_b32 exec_lo, exec_lo, s30
	s_delay_alu instid0(SALU_CYCLE_1) | instskip(NEXT) | instid1(SALU_CYCLE_1)
	s_and_b32 vcc_lo, exec_lo, vcc_lo
	s_or_b32 s26, vcc_lo, s26
	s_and_not1_b32 s27, s27, exec_lo
	s_and_b32 vcc_lo, s28, exec_lo
	s_delay_alu instid0(SALU_CYCLE_1)
	s_or_b32 s27, s27, vcc_lo
	s_and_not1_b32 exec_lo, exec_lo, s26
	s_cbranch_execz .LBB2_1854
.LBB2_1848:                             ;   Parent Loop BB2_53 Depth=1
                                        ; =>  This Inner Loop Header: Depth=2
	s_add_i32 s29, s29, 1
                                        ; implicit-def: $sgpr30
	s_delay_alu instid0(SALU_CYCLE_1) | instskip(SKIP_1) | instid1(SALU_CYCLE_1)
	s_cmpk_lg_i32 s29, 0x2710
	s_cselect_b32 vcc_hi, -1, 0
	s_and_b32 vcc_lo, exec_lo, vcc_hi
	s_cbranch_vccz .LBB2_1852
.LBB2_1849:                             ;   in Loop: Header=BB2_1848 Depth=2
	s_and_not1_b32 s28, s28, exec_lo
	s_and_b32 s30, s30, exec_lo
	s_mov_b32 vcc_lo, -1
	s_or_b32 s28, s28, s30
	s_and_saveexec_b32 s30, vcc_hi
	s_cbranch_execz .LBB2_1847
; %bb.1850:                             ;   in Loop: Header=BB2_1848 Depth=2
	s_sleep 1
	s_cbranch_execz .LBB2_1851
; %bb.5339:
	s_getpc_b64 s[34:35]
.Lpost_getpc43:
	s_add_u32 s34, s34, (.LBB2_5221-.Lpost_getpc43)&4294967295
	s_addc_u32 s35, s35, (.LBB2_5221-.Lpost_getpc43)>>32
	s_setpc_b64 s[34:35]
.LBB2_1851:                             ;   in Loop: Header=BB2_1848 Depth=2
	ds_load_b64 v[10:11], v0
	s_and_not1_b32 s28, s28, exec_lo
	s_waitcnt lgkmcnt(0)
	v_cmp_ge_u64_e32 vcc_lo, v[10:11], v[24:25]
	s_or_not1_b32 vcc_lo, vcc_lo, exec_lo
	s_branch .LBB2_1847
.LBB2_1852:                             ;   in Loop: Header=BB2_1848 Depth=2
	s_cbranch_execz .LBB2_1853
; %bb.5331:
	s_getpc_b64 s[34:35]
.Lpost_getpc39:
	s_add_u32 s34, s34, (.LBB2_5227-.Lpost_getpc39)&4294967295
	s_addc_u32 s35, s35, (.LBB2_5227-.Lpost_getpc39)>>32
	s_setpc_b64 s[34:35]
.LBB2_1853:                             ;   in Loop: Header=BB2_1848 Depth=2
	ds_load_b64 v[10:11], v0
	s_mov_b32 s29, 0
	s_mov_b32 s30, -1
	s_waitcnt lgkmcnt(0)
	flat_load_b32 v10, v[10:11] glc
	s_waitcnt vmcnt(0) lgkmcnt(0)
	buffer_gl1_inv
	buffer_gl0_inv
	v_cmp_eq_u32_e32 vcc_lo, 0, v10
	s_and_not1_b32 vcc_hi, vcc_hi, exec_lo
	s_and_b32 vcc_lo, vcc_lo, exec_lo
	s_delay_alu instid0(SALU_CYCLE_1)
	s_or_b32 vcc_hi, vcc_hi, vcc_lo
	s_branch .LBB2_1849
.LBB2_1854:                             ;   in Loop: Header=BB2_53 Depth=1
	s_or_b32 exec_lo, exec_lo, s26
	s_and_saveexec_b32 s26, s27
	s_delay_alu instid0(SALU_CYCLE_1)
	s_xor_b32 s26, exec_lo, s26
	s_cbranch_execz .LBB2_1856
; %bb.1855:                             ;   in Loop: Header=BB2_53 Depth=1
	ds_store_b32 v0, v83
	s_cbranch_execz .LBB2_1856
; %bb.5333:
	s_getpc_b64 s[34:35]
.Lpost_getpc40:
	s_add_u32 s34, s34, (.LBB2_5251-.Lpost_getpc40)&4294967295
	s_addc_u32 s35, s35, (.LBB2_5251-.Lpost_getpc40)>>32
	s_setpc_b64 s[34:35]
.LBB2_1856:                             ;   in Loop: Header=BB2_53 Depth=1
	s_or_b32 exec_lo, exec_lo, s25
	;;#ASMSTART
	s_wakeup
	;;#ASMEND
.LBB2_1857:                             ;   in Loop: Header=BB2_53 Depth=1
	s_or_b32 exec_lo, exec_lo, s24
.LBB2_1858:                             ;   in Loop: Header=BB2_53 Depth=1
	s_and_not1_saveexec_b32 s23, s23
	s_cbranch_execz .LBB2_1860
; %bb.1859:                             ;   in Loop: Header=BB2_53 Depth=1
	s_waitcnt lgkmcnt(0)
	s_waitcnt_vscnt null, 0x0
	buffer_gl1_inv
	buffer_gl0_inv
	s_barrier
.LBB2_1860:                             ;   in Loop: Header=BB2_53 Depth=1
	s_or_b32 exec_lo, exec_lo, s23
.LBB2_1861:                             ;   in Loop: Header=BB2_53 Depth=1
	s_delay_alu instid0(SALU_CYCLE_1) | instskip(SKIP_1) | instid1(VALU_DEP_1)
	s_or_b32 exec_lo, exec_lo, s12
	v_and_b32_e32 v10, 16, v30
	v_cmp_ne_u32_e32 vcc_lo, 0, v10
	s_and_b32 s12, vcc_lo, s11
	s_delay_alu instid0(SALU_CYCLE_1)
	s_and_saveexec_b32 s11, s12
	s_cbranch_execz .LBB2_1863
; %bb.1862:                             ;   in Loop: Header=BB2_53 Depth=1
	s_waitcnt lgkmcnt(0)
	s_waitcnt_vscnt null, 0x0
	buffer_gl1_inv
	buffer_gl0_inv
.LBB2_1863:                             ;   in Loop: Header=BB2_53 Depth=1
	s_or_b32 exec_lo, exec_lo, s11
	v_cmp_ne_u32_e32 vcc_lo, 0, v10
	s_xor_b32 s11, s10, -1
	s_delay_alu instid0(SALU_CYCLE_1) | instskip(NEXT) | instid1(SALU_CYCLE_1)
	s_and_b32 s12, vcc_lo, s11
	s_and_saveexec_b32 s11, s12
	s_cbranch_execz .LBB2_1865
; %bb.1864:                             ;   in Loop: Header=BB2_53 Depth=1
	s_waitcnt lgkmcnt(0)
	s_waitcnt_vscnt null, 0x0
	flat_store_b32 v[28:29], v83
.LBB2_1865:                             ;   in Loop: Header=BB2_53 Depth=1
	s_or_b32 exec_lo, exec_lo, s11
	v_and_b32_e32 v10, 48, v30
	s_mov_b32 s11, exec_lo
	s_delay_alu instid0(VALU_DEP_1)
	v_cmpx_ne_u32_e32 0, v10
	s_cbranch_execz .LBB2_1867
; %bb.1866:                             ;   in Loop: Header=BB2_53 Depth=1
	v_add_co_u32 v8, vcc_lo, v8, 1
	v_add_co_ci_u32_e32 v9, vcc_lo, 0, v9, vcc_lo
	s_waitcnt lgkmcnt(0)
	s_waitcnt_vscnt null, 0x0
	flat_store_b64 v[18:19], v[8:9]
.LBB2_1867:                             ;   in Loop: Header=BB2_53 Depth=1
	s_or_b32 exec_lo, exec_lo, s11
	v_mov_b32_e32 v12, v37
.LBB2_1868:                             ;   in Loop: Header=BB2_53 Depth=1
	s_or_b32 exec_lo, exec_lo, s22
	s_and_saveexec_b32 s12, s21
	s_cbranch_execz .LBB2_1928
; %bb.1869:                             ;   in Loop: Header=BB2_53 Depth=1
	v_and_b32_e32 v10, 12, v30
	s_mov_b32 s21, -1
	s_mov_b32 s11, exec_lo
	s_delay_alu instid0(VALU_DEP_1)
	v_cmpx_ne_u32_e32 0, v10
	s_cbranch_execz .LBB2_1883
; %bb.1870:                             ;   in Loop: Header=BB2_53 Depth=1
	v_dual_mov_b32 v32, 1 :: v_dual_and_b32 v13, 8, v30
	s_mov_b32 s21, exec_lo
	s_delay_alu instid0(VALU_DEP_1) | instskip(SKIP_3) | instid1(VALU_DEP_1)
	v_add_co_u32 v38, vcc_lo, v22, v13
	v_add_co_ci_u32_e32 v39, vcc_lo, 0, v23, vcc_lo
	v_add_co_u32 v10, vcc_lo, v8, 1
	v_add_co_ci_u32_e32 v11, vcc_lo, 0, v9, vcc_lo
	v_cmpx_lt_u64_e64 v[38:39], v[10:11]
	s_cbranch_execz .LBB2_1882
; %bb.1871:                             ;   in Loop: Header=BB2_53 Depth=1
	v_mov_b32_e32 v32, 0
	s_mov_b32 s22, 0
                                        ; implicit-def: $sgpr23
	s_branch .LBB2_1875
.LBB2_1872:                             ;   in Loop: Header=BB2_1875 Depth=2
	s_or_b32 exec_lo, exec_lo, s27
	v_mov_b32_e32 v38, 0
	s_or_not1_b32 s26, s26, exec_lo
.LBB2_1873:                             ;   in Loop: Header=BB2_1875 Depth=2
	s_or_b32 exec_lo, exec_lo, s25
	s_delay_alu instid0(VALU_DEP_1) | instskip(SKIP_2) | instid1(SALU_CYCLE_1)
	v_mov_b32_e32 v32, v38
	s_and_not1_b32 s23, s23, exec_lo
	s_and_b32 s25, s26, exec_lo
	s_or_b32 s23, s23, s25
.LBB2_1874:                             ;   in Loop: Header=BB2_1875 Depth=2
	s_or_b32 exec_lo, exec_lo, s24
	s_waitcnt vmcnt(0) lgkmcnt(0)
	v_add_co_u32 v38, vcc_lo, v22, v13
	v_add_co_ci_u32_e32 v39, vcc_lo, 0, v23, vcc_lo
	s_xor_b32 s24, s23, -1
	s_delay_alu instid0(VALU_DEP_1) | instskip(SKIP_1) | instid1(SALU_CYCLE_1)
	v_cmp_ge_u64_e32 vcc_lo, v[38:39], v[10:11]
	s_or_b32 s24, s24, vcc_lo
	s_and_b32 s24, exec_lo, s24
	s_delay_alu instid0(SALU_CYCLE_1) | instskip(NEXT) | instid1(SALU_CYCLE_1)
	s_or_b32 s22, s24, s22
	s_and_not1_b32 exec_lo, exec_lo, s22
	s_cbranch_execz .LBB2_1881
.LBB2_1875:                             ;   Parent Loop BB2_53 Depth=1
                                        ; =>  This Inner Loop Header: Depth=2
	s_sleep 1
	flat_load_b64 v[22:23], v[18:19] glc
	v_and_b32_e32 v38, 64, v30
	s_and_not1_b32 s23, s23, exec_lo
	s_mov_b32 s24, exec_lo
	s_delay_alu instid0(VALU_DEP_1)
	v_cmpx_eq_u32_e32 0, v38
	s_cbranch_execz .LBB2_1874
; %bb.1876:                             ;   in Loop: Header=BB2_1875 Depth=2
	v_add_nc_u32_e32 v38, 1, v32
	s_mov_b32 s26, -1
	s_mov_b32 s25, exec_lo
	v_cmpx_lt_i32_e32 0x270e, v32
	s_cbranch_execz .LBB2_1873
; %bb.1877:                             ;   in Loop: Header=BB2_1875 Depth=2
	s_cbranch_execnz .LBB2_5063
; %bb.1878:                             ;   in Loop: Header=BB2_1875 Depth=2
	ds_load_b64 v[38:39], v0
	s_mov_b32 s27, exec_lo
	s_waitcnt vmcnt(0) lgkmcnt(0)
	s_waitcnt_vscnt null, 0x0
	flat_load_b32 v32, v[38:39] glc
	s_waitcnt vmcnt(0) lgkmcnt(0)
	buffer_gl1_inv
	buffer_gl0_inv
	v_cmpx_ne_u32_e32 0, v32
	s_cbranch_execz .LBB2_1872
; %bb.1879:                             ;   in Loop: Header=BB2_1875 Depth=2
	ds_store_b32 v0, v32
	s_cbranch_execnz .LBB2_5087
; %bb.1880:                             ;   in Loop: Header=BB2_1875 Depth=2
	v_or_b32_e32 v30, 64, v30
	s_xor_b32 s26, exec_lo, -1
	s_branch .LBB2_1872
.LBB2_1881:                             ;   in Loop: Header=BB2_53 Depth=1
	s_or_b32 exec_lo, exec_lo, s22
	v_and_b32_e32 v32, 12, v30
.LBB2_1882:                             ;   in Loop: Header=BB2_53 Depth=1
	s_or_b32 exec_lo, exec_lo, s21
	s_delay_alu instid0(VALU_DEP_1)
	v_cmp_eq_u32_e32 vcc_lo, 0, v32
	;;#ASMSTART
	s_wakeup
	;;#ASMEND
	s_or_not1_b32 s21, vcc_lo, exec_lo
.LBB2_1883:                             ;   in Loop: Header=BB2_53 Depth=1
	s_or_b32 exec_lo, exec_lo, s11
	v_sub_nc_u32_e32 v10, v36, v12
	s_xor_b32 s11, s21, -1
	s_delay_alu instid0(VALU_DEP_1)
	v_min_i32_e32 v10, v37, v10
	s_and_saveexec_b32 s21, s11
	s_cbranch_execz .LBB2_1898
; %bb.1884:                             ;   in Loop: Header=BB2_53 Depth=1
	v_and_b32_e32 v11, 0x108, v30
	s_mov_b32 s11, exec_lo
	s_delay_alu instid0(VALU_DEP_1)
	v_cmpx_ne_u32_e32 0x108, v11
	s_xor_b32 s11, exec_lo, s11
                                        ; implicit-def: $vgpr12_vgpr13
; %bb.1885:                             ;   in Loop: Header=BB2_53 Depth=1
	v_and_b32_e32 v12, 7, v8
; %bb.1886:                             ;   in Loop: Header=BB2_53 Depth=1
	s_and_not1_saveexec_b32 s11, s11
	s_cbranch_execz .LBB2_1888
; %bb.1887:                             ;   in Loop: Header=BB2_53 Depth=1
	v_and_b32_e32 v12, 7, v8
	v_ashrrev_i32_e32 v11, 31, v10
	s_delay_alu instid0(VALU_DEP_2)
	v_mad_u64_u32 v[36:37], null, v12, 24, v[6:7]
	flat_store_b64 v[36:37], v[10:11] offset:8
.LBB2_1888:                             ;   in Loop: Header=BB2_53 Depth=1
	s_or_b32 exec_lo, exec_lo, s11
	v_and_b32_e32 v11, 0x100, v30
	s_mov_b32 s11, -1
	s_mov_b32 s22, exec_lo
                                        ; implicit-def: $vgpr36_vgpr37
	s_delay_alu instid0(VALU_DEP_1)
	v_cmpx_ne_u32_e32 0, v11
	s_cbranch_execnz .LBB2_1891
; %bb.1889:                             ;   in Loop: Header=BB2_53 Depth=1
	s_or_b32 exec_lo, exec_lo, s22
	s_and_saveexec_b32 s22, s11
	s_cbranch_execnz .LBB2_1894
.LBB2_1890:                             ;   in Loop: Header=BB2_53 Depth=1
	s_or_b32 exec_lo, exec_lo, s22
	s_cbranch_execnz .LBB2_5055
	s_branch .LBB2_1895
.LBB2_1891:                             ;   in Loop: Header=BB2_53 Depth=1
	v_mad_u64_u32 v[38:39], null, v12, 24, v[6:7]
	s_mov_b32 s23, exec_lo
	s_delay_alu instid0(VALU_DEP_1) | instskip(NEXT) | instid1(VALU_DEP_1)
	v_mov_b32_e32 v11, v39
	v_mad_u64_u32 v[36:37], null, v33, 24, v[11:12]
	s_delay_alu instid0(VALU_DEP_1)
	v_mov_b32_e32 v39, v36
                                        ; implicit-def: $vgpr36_vgpr37
	flat_load_b32 v11, v[38:39]
	s_waitcnt vmcnt(0) lgkmcnt(0)
	v_cmp_ne_u32_e32 vcc_lo, 1, v11
	v_cmpx_eq_u32_e32 1, v11
	s_cbranch_execz .LBB2_1893
; %bb.1892:                             ;   in Loop: Header=BB2_53 Depth=1
	flat_load_b32 v36, v[38:39] offset:4 glc
	s_waitcnt vmcnt(0) lgkmcnt(0)
	v_ashrrev_i32_e32 v37, 31, v36
.LBB2_1893:                             ;   in Loop: Header=BB2_53 Depth=1
	s_or_b32 exec_lo, exec_lo, s23
	s_delay_alu instid0(SALU_CYCLE_1)
	s_or_not1_b32 s11, vcc_lo, exec_lo
	s_or_b32 exec_lo, exec_lo, s22
	s_and_saveexec_b32 s22, s11
	s_cbranch_execz .LBB2_1890
.LBB2_1894:                             ;   in Loop: Header=BB2_53 Depth=1
	v_mul_lo_u32 v11, v33, v55
	v_mul_lo_u32 v13, v12, v52
	v_mad_u64_u32 v[36:37], null, v12, v55, 0
	s_delay_alu instid0(VALU_DEP_1)
	v_add3_u32 v37, v37, v13, v11
	s_or_b32 exec_lo, exec_lo, s22
	s_cbranch_execnz .LBB2_5055
.LBB2_1895:                             ;   in Loop: Header=BB2_53 Depth=1
	s_delay_alu instid0(VALU_DEP_2)
	v_add_co_u32 v11, vcc_lo, v20, v36
	v_and_b32_e32 v13, 0x2000, v30
	v_add_co_ci_u32_e32 v12, vcc_lo, v21, v37, vcc_lo
	s_mov_b32 s11, exec_lo
	ds_store_b64 v0, v[11:12]
	v_cmpx_ne_u32_e32 0, v13
	s_cbranch_execz .LBB2_1897
; %bb.1896:                             ;   in Loop: Header=BB2_53 Depth=1
	ds_load_b64 v[11:12], v0 offset:584
	s_waitcnt lgkmcnt(0)
	v_add_co_u32 v11, vcc_lo, v11, 1
	v_add_co_ci_u32_e32 v12, vcc_lo, 0, v12, vcc_lo
	ds_store_b64 v0, v[11:12] offset:584
.LBB2_1897:                             ;   in Loop: Header=BB2_53 Depth=1
	s_or_b32 exec_lo, exec_lo, s11
	v_add_co_u32 v8, vcc_lo, v8, 1
	v_add_co_ci_u32_e32 v9, vcc_lo, 0, v9, vcc_lo
.LBB2_1898:                             ;   in Loop: Header=BB2_53 Depth=1
	s_or_b32 exec_lo, exec_lo, s21
	s_and_saveexec_b32 s11, s3
	s_cbranch_execz .LBB2_1920
; %bb.1899:                             ;   in Loop: Header=BB2_53 Depth=1
	s_and_saveexec_b32 s21, s4
	s_delay_alu instid0(SALU_CYCLE_1)
	s_xor_b32 s21, exec_lo, s21
	s_cbranch_execz .LBB2_1917
; %bb.1900:                             ;   in Loop: Header=BB2_53 Depth=1
	s_and_saveexec_b32 s22, s5
	s_cbranch_execz .LBB2_1916
; %bb.1901:                             ;   in Loop: Header=BB2_53 Depth=1
	s_mov_b32 s24, exec_lo
	s_mov_b32 s23, exec_lo
	v_mbcnt_lo_u32_b32 v11, s24, 0
	s_waitcnt lgkmcnt(0)
	s_waitcnt_vscnt null, 0x0
	buffer_gl1_inv
	buffer_gl0_inv
	v_cmpx_eq_u32_e32 0, v11
	s_cbranch_execz .LBB2_1903
; %bb.1902:                             ;   in Loop: Header=BB2_53 Depth=1
	s_bcnt1_i32_b32 s24, s24
	s_delay_alu instid0(SALU_CYCLE_1)
	v_mov_b32_e32 v32, s24
	ds_add_u64 v0, v[32:33]
	s_cbranch_execnz .LBB2_5117
.LBB2_1903:                             ;   in Loop: Header=BB2_53 Depth=1
	s_or_b32 exec_lo, exec_lo, s23
	s_cbranch_execnz .LBB2_5101
; %bb.1904:                             ;   in Loop: Header=BB2_53 Depth=1
	ds_load_b64 v[11:12], v0
	v_add_co_u32 v24, vcc_lo, v24, v53
	v_add_co_ci_u32_e32 v25, vcc_lo, 0, v25, vcc_lo
	s_mov_b32 s23, exec_lo
	s_waitcnt lgkmcnt(0)
	s_delay_alu instid0(VALU_DEP_1)
	v_cmpx_lt_u64_e64 v[11:12], v[24:25]
	s_cbranch_execz .LBB2_1915
; %bb.1905:                             ;   in Loop: Header=BB2_53 Depth=1
	s_mov_b32 s24, 0
	s_mov_b32 s27, 0
                                        ; implicit-def: $sgpr25
                                        ; implicit-def: $sgpr26
	s_branch .LBB2_1907
.LBB2_1906:                             ;   in Loop: Header=BB2_1907 Depth=2
	s_or_b32 exec_lo, exec_lo, vcc_hi
	s_delay_alu instid0(SALU_CYCLE_1) | instskip(NEXT) | instid1(SALU_CYCLE_1)
	s_and_b32 s28, exec_lo, s29
	s_or_b32 s24, s28, s24
	s_and_not1_b32 s25, s25, exec_lo
	s_and_b32 s28, s26, exec_lo
	s_delay_alu instid0(SALU_CYCLE_1)
	s_or_b32 s25, s25, s28
	s_and_not1_b32 exec_lo, exec_lo, s24
	s_cbranch_execz .LBB2_1913
.LBB2_1907:                             ;   Parent Loop BB2_53 Depth=1
                                        ; =>  This Inner Loop Header: Depth=2
	s_add_i32 s27, s27, 1
                                        ; implicit-def: $sgpr29
	s_delay_alu instid0(SALU_CYCLE_1) | instskip(SKIP_1) | instid1(SALU_CYCLE_1)
	s_cmpk_lg_i32 s27, 0x2710
	s_cselect_b32 s28, -1, 0
	s_and_b32 vcc_lo, exec_lo, s28
	s_cbranch_vccz .LBB2_1911
.LBB2_1908:                             ;   in Loop: Header=BB2_1907 Depth=2
	s_and_not1_b32 s26, s26, exec_lo
	s_and_b32 vcc_lo, s29, exec_lo
	s_mov_b32 s29, -1
	s_or_b32 s26, s26, vcc_lo
	s_and_saveexec_b32 vcc_hi, s28
	s_cbranch_execz .LBB2_1906
; %bb.1909:                             ;   in Loop: Header=BB2_1907 Depth=2
	s_sleep 1
	s_cbranch_execnz .LBB2_5165
; %bb.1910:                             ;   in Loop: Header=BB2_1907 Depth=2
	ds_load_b64 v[11:12], v0
	s_and_not1_b32 s26, s26, exec_lo
	s_waitcnt lgkmcnt(0)
	v_cmp_ge_u64_e32 vcc_lo, v[11:12], v[24:25]
	s_or_not1_b32 s29, vcc_lo, exec_lo
	s_branch .LBB2_1906
.LBB2_1911:                             ;   in Loop: Header=BB2_1907 Depth=2
	s_cbranch_execnz .LBB2_5185
; %bb.1912:                             ;   in Loop: Header=BB2_1907 Depth=2
	ds_load_b64 v[11:12], v0
	s_and_not1_b32 s28, s28, exec_lo
	s_mov_b32 s27, 0
	s_mov_b32 s29, -1
	s_waitcnt lgkmcnt(0)
	flat_load_b32 v11, v[11:12] glc
	s_waitcnt vmcnt(0) lgkmcnt(0)
	buffer_gl1_inv
	buffer_gl0_inv
	v_cmp_eq_u32_e32 vcc_lo, 0, v11
	s_and_b32 vcc_lo, vcc_lo, exec_lo
	s_delay_alu instid0(SALU_CYCLE_1)
	s_or_b32 s28, s28, vcc_lo
	s_branch .LBB2_1908
.LBB2_1913:                             ;   in Loop: Header=BB2_53 Depth=1
	s_or_b32 exec_lo, exec_lo, s24
	s_and_saveexec_b32 s24, s25
	s_delay_alu instid0(SALU_CYCLE_1)
	s_xor_b32 s24, exec_lo, s24
	s_cbranch_execz .LBB2_1915
; %bb.1914:                             ;   in Loop: Header=BB2_53 Depth=1
	ds_store_b32 v0, v83
	s_cbranch_execnz .LBB2_5241
.LBB2_1915:                             ;   in Loop: Header=BB2_53 Depth=1
	s_or_b32 exec_lo, exec_lo, s23
	;;#ASMSTART
	s_wakeup
	;;#ASMEND
.LBB2_1916:                             ;   in Loop: Header=BB2_53 Depth=1
	s_or_b32 exec_lo, exec_lo, s22
.LBB2_1917:                             ;   in Loop: Header=BB2_53 Depth=1
	s_and_not1_saveexec_b32 s21, s21
	s_cbranch_execz .LBB2_1919
; %bb.1918:                             ;   in Loop: Header=BB2_53 Depth=1
	s_waitcnt lgkmcnt(0)
	s_waitcnt_vscnt null, 0x0
	buffer_gl1_inv
	buffer_gl0_inv
	s_barrier
.LBB2_1919:                             ;   in Loop: Header=BB2_53 Depth=1
	s_or_b32 exec_lo, exec_lo, s21
.LBB2_1920:                             ;   in Loop: Header=BB2_53 Depth=1
	s_delay_alu instid0(SALU_CYCLE_1)
	s_or_b32 exec_lo, exec_lo, s11
	s_cbranch_execnz .LBB2_5044
; %bb.1921:                             ;   in Loop: Header=BB2_53 Depth=1
	ds_load_b32 v11, v0
	v_cmp_lt_i32_e32 vcc_lo, 0, v10
	s_waitcnt lgkmcnt(0)
	v_readfirstlane_b32 s11, v11
	v_and_b32_e32 v11, 16, v30
	s_delay_alu instid0(VALU_DEP_2) | instskip(NEXT) | instid1(VALU_DEP_1)
	s_cmp_eq_u32 s11, 0
	v_cmp_ne_u32_e64 s11, 0, v11
	s_cselect_b32 s21, -1, 0
	s_delay_alu instid0(SALU_CYCLE_1)
	s_and_b32 s21, vcc_lo, s21
	s_delay_alu instid0(VALU_DEP_1) | instid1(SALU_CYCLE_1)
	s_and_b32 s21, s11, s21
	s_delay_alu instid0(SALU_CYCLE_1)
	s_and_saveexec_b32 s11, s21
	s_cbranch_execz .LBB2_1923
; %bb.1922:                             ;   in Loop: Header=BB2_53 Depth=1
	s_waitcnt_vscnt null, 0x0
	buffer_gl1_inv
	buffer_gl0_inv
.LBB2_1923:                             ;   in Loop: Header=BB2_53 Depth=1
	s_or_b32 exec_lo, exec_lo, s11
	v_cmp_ne_u32_e32 vcc_lo, 0, v11
	s_xor_b32 s11, s10, -1
	s_delay_alu instid0(SALU_CYCLE_1) | instskip(NEXT) | instid1(SALU_CYCLE_1)
	s_and_b32 s21, vcc_lo, s11
	s_and_saveexec_b32 s11, s21
	s_cbranch_execz .LBB2_1925
; %bb.1924:                             ;   in Loop: Header=BB2_53 Depth=1
	s_waitcnt_vscnt null, 0x0
	flat_store_b32 v[28:29], v83
.LBB2_1925:                             ;   in Loop: Header=BB2_53 Depth=1
	s_or_b32 exec_lo, exec_lo, s11
	v_and_b32_e32 v10, 48, v30
	s_mov_b32 s11, exec_lo
	s_delay_alu instid0(VALU_DEP_1)
	v_cmpx_ne_u32_e32 0, v10
	s_cbranch_execz .LBB2_1927
; %bb.1926:                             ;   in Loop: Header=BB2_53 Depth=1
	v_add_co_u32 v8, vcc_lo, v8, 1
	v_add_co_ci_u32_e32 v9, vcc_lo, 0, v9, vcc_lo
	s_waitcnt lgkmcnt(0)
	s_waitcnt_vscnt null, 0x0
	flat_store_b64 v[18:19], v[8:9]
.LBB2_1927:                             ;   in Loop: Header=BB2_53 Depth=1
	s_or_b32 exec_lo, exec_lo, s11
.LBB2_1928:                             ;   in Loop: Header=BB2_53 Depth=1
	s_delay_alu instid0(SALU_CYCLE_1) | instskip(SKIP_2) | instid1(VALU_DEP_1)
	s_or_b32 exec_lo, exec_lo, s12
	v_add_co_u32 v34, vcc_lo, v34, v26
	v_add_co_ci_u32_e32 v35, vcc_lo, 0, v35, vcc_lo
	v_cmp_ge_u64_e32 vcc_lo, v[34:35], v[4:5]
	s_or_b32 s18, vcc_lo, s18
	s_delay_alu instid0(SALU_CYCLE_1)
	s_and_not1_b32 exec_lo, exec_lo, s18
	s_cbranch_execnz .LBB2_53
; %bb.1929:
	s_or_b32 exec_lo, exec_lo, s18
.LBB2_1930:
	s_delay_alu instid0(SALU_CYCLE_1)
	s_or_b32 exec_lo, exec_lo, s17
                                        ; implicit-def: $vgpr14_vgpr15
                                        ; implicit-def: $vgpr4_vgpr5
                                        ; implicit-def: $vgpr55
                                        ; implicit-def: $vgpr22_vgpr23
                                        ; implicit-def: $vgpr20_vgpr21
                                        ; implicit-def: $vgpr18_vgpr19
                                        ; implicit-def: $vgpr0
                                        ; implicit-def: $vgpr35
                                        ; implicit-def: $vgpr26_vgpr27
.LBB2_1931:
	s_and_not1_saveexec_b32 s11, s16
	s_cbranch_execz .LBB2_3801
; %bb.1932:
	v_mov_b32_e32 v24, 0
	v_mov_b32_e32 v25, 0
	s_and_saveexec_b32 s12, s1
	s_cbranch_execz .LBB2_3800
; %bb.1933:
	v_cmp_ge_i32_e64 s1, v0, v1
	s_cbranch_execnz .LBB2_5000
; %bb.1934:
	v_ashrrev_i32_e32 v10, 31, v0
	v_lshrrev_b32_e32 v39, 5, v1
	v_dual_mov_b32 v32, 0 :: v_dual_and_b32 v11, 31, v31
	v_dual_mov_b32 v33, 0 :: v_dual_lshlrev_b32 v50, 4, v0
	s_delay_alu instid0(VALU_DEP_4) | instskip(NEXT) | instid1(VALU_DEP_3)
	v_lshrrev_b32_e32 v10, 27, v10
	v_dual_mov_b32 v24, v32 :: v_dual_lshlrev_b32 v51, 9, v39
	s_ashr_i32 s4, s14, 31
	s_delay_alu instid0(VALU_DEP_2)
	v_dual_mov_b32 v29, 0 :: v_dual_add_nc_u32 v10, v0, v10
	s_lshr_b32 s4, s4, 24
	v_and_b32_e32 v67, 0xffffffe0, v1
	s_add_i32 s10, s14, s4
	v_cmp_eq_u32_e64 s4, 0, v11
	v_dual_mov_b32 v71, 1 :: v_dual_and_b32 v12, 0xffffffe0, v10
	v_add_nc_u32_e32 v11, 0xfffffe00, v51
	v_ashrrev_i32_e32 v10, 5, v10
	v_cmp_eq_u32_e32 vcc_lo, 32, v1
	s_delay_alu instid0(VALU_DEP_4) | instskip(SKIP_4) | instid1(VALU_DEP_4)
	v_sub_nc_u32_e32 v52, v0, v12
	v_lshl_add_u32 v12, v39, 8, 0xffffff00
	v_ashrrev_i32_e32 v13, 31, v11
	v_sub_nc_u32_e32 v64, 0, v10
	v_add_co_u32 v65, s7, 0x200, v11
	v_ashrrev_i32_e32 v10, 31, v12
	s_delay_alu instid0(VALU_DEP_4)
	v_add_co_ci_u32_e64 v66, s7, 0, v13, s7
	v_add_co_u32 v68, s7, 0x100, v12
	v_cmp_ne_u32_e64 s2, 32, v1
	v_cmp_ne_u32_e64 s3, v54, v1
	v_ashrrev_i32_e32 v53, 31, v50
	v_cmp_le_i32_e64 s5, v52, v35
	v_cmp_gt_i32_e64 s6, 1, v52
	v_add_co_ci_u32_e64 v69, s7, 0, v10, s7
	v_ashrrev_i32_e32 v70, 31, v67
	v_mov_b32_e32 v25, v33
	s_ashr_i32 s17, s10, 8
	s_mov_b32 s16, 0
	s_xor_b32 s18, vcc_lo, -1
.LBB2_1935:                             ; =>This Loop Header: Depth=1
                                        ;     Child Loop BB2_1945 Depth 2
                                        ;     Child Loop BB2_1972 Depth 2
	;; [unrolled: 1-line block ×10, first 2 shown]
	v_sub_co_u32 v10, vcc_lo, v4, v32
	v_sub_co_ci_u32_e32 v11, vcc_lo, v5, v33, vcc_lo
	s_delay_alu instid0(VALU_DEP_1) | instskip(SKIP_2) | instid1(VALU_DEP_1)
	v_cmp_lt_u64_e32 vcc_lo, v[26:27], v[10:11]
	v_cndmask_b32_e64 v35, v11, 0, vcc_lo
	v_cndmask_b32_e32 v34, v10, v26, vcc_lo
	v_cmp_eq_u64_e32 vcc_lo, 0, v[34:35]
	v_dual_mov_b32 v35, 0 :: v_dual_add_nc_u32 v10, 15, v34
	s_or_b32 s19, s1, vcc_lo
	s_delay_alu instid0(VALU_DEP_1) | instskip(SKIP_1) | instid1(VALU_DEP_1)
	v_and_b32_e32 v10, 0x7ffffff0, v10
	s_xor_b32 s7, s19, -1
	v_max_i32_e32 v80, s17, v10
	s_and_saveexec_b32 s20, s7
	s_cbranch_execz .LBB2_3745
; %bb.1936:                             ;   in Loop: Header=BB2_1935 Depth=1
	s_and_saveexec_b32 s10, s0
	s_cbranch_execz .LBB2_1939
; %bb.1937:                             ;   in Loop: Header=BB2_1935 Depth=1
	s_cbranch_execnz .LBB2_5032
; %bb.1938:                             ;   in Loop: Header=BB2_1935 Depth=1
	ds_load_2addr_b64 v[10:13], v0 offset1:1
	ds_load_b64 v[35:36], v0
	v_add_co_u32 v28, vcc_lo, v32, v14
	v_add_co_ci_u32_e32 v37, vcc_lo, v33, v15, vcc_lo
	s_waitcnt lgkmcnt(1)
	s_delay_alu instid0(VALU_DEP_2) | instskip(NEXT) | instid1(VALU_DEP_2)
	v_add_co_u32 v10, vcc_lo, v10, v28
	v_add_co_ci_u32_e32 v11, vcc_lo, v11, v37, vcc_lo
	s_waitcnt lgkmcnt(0)
	v_add_co_u32 v38, vcc_lo, v35, v28
	v_add_co_ci_u32_e32 v48, vcc_lo, v36, v37, vcc_lo
	v_cmp_ne_u64_e32 vcc_lo, 0, v[35:36]
	v_add_co_u32 v12, s7, v12, v28
	s_delay_alu instid0(VALU_DEP_1) | instskip(NEXT) | instid1(VALU_DEP_4)
	v_add_co_ci_u32_e64 v13, s7, v13, v37, s7
	v_dual_cndmask_b32 v36, 0, v48 :: v_dual_cndmask_b32 v35, 0, v38
	ds_store_b64 v0, v[10:11]
	ds_store_b64 v0, v[12:13]
	ds_store_b64 v0, v[35:36]
.LBB2_1939:                             ;   in Loop: Header=BB2_1935 Depth=1
	s_or_b32 exec_lo, exec_lo, s10
	v_and_b32_e32 v10, 4, v30
	s_mov_b32 s10, -1
	s_mov_b32 s7, exec_lo
	s_delay_alu instid0(VALU_DEP_1)
	v_cmpx_ne_u32_e32 0, v10
	s_cbranch_execz .LBB2_1953
; %bb.1940:                             ;   in Loop: Header=BB2_1935 Depth=1
	v_add_co_u32 v10, vcc_lo, v8, 1
	v_add_co_ci_u32_e32 v11, vcc_lo, 0, v9, vcc_lo
	v_mov_b32_e32 v12, 1
	s_mov_b32 s10, exec_lo
	s_delay_alu instid0(VALU_DEP_2)
	v_cmpx_lt_u64_e64 v[22:23], v[10:11]
	s_cbranch_execz .LBB2_1952
; %bb.1941:                             ;   in Loop: Header=BB2_1935 Depth=1
	v_mov_b32_e32 v12, 0
	s_mov_b32 s21, 0
                                        ; implicit-def: $sgpr22
	s_branch .LBB2_1945
.LBB2_1942:                             ;   in Loop: Header=BB2_1945 Depth=2
	s_or_b32 exec_lo, exec_lo, s26
	v_mov_b32_e32 v13, 0
	s_or_not1_b32 s25, s25, exec_lo
.LBB2_1943:                             ;   in Loop: Header=BB2_1945 Depth=2
	s_or_b32 exec_lo, exec_lo, s24
	s_delay_alu instid0(VALU_DEP_1) | instskip(SKIP_2) | instid1(SALU_CYCLE_1)
	v_mov_b32_e32 v12, v13
	s_and_not1_b32 s22, s22, exec_lo
	s_and_b32 s24, s25, exec_lo
	s_or_b32 s22, s22, s24
.LBB2_1944:                             ;   in Loop: Header=BB2_1945 Depth=2
	s_or_b32 exec_lo, exec_lo, s23
	s_waitcnt vmcnt(0) lgkmcnt(0)
	v_cmp_ge_u64_e32 vcc_lo, v[22:23], v[10:11]
	s_xor_b32 s23, s22, -1
	s_delay_alu instid0(SALU_CYCLE_1) | instskip(NEXT) | instid1(SALU_CYCLE_1)
	s_or_b32 s23, s23, vcc_lo
	s_and_b32 s23, exec_lo, s23
	s_delay_alu instid0(SALU_CYCLE_1) | instskip(NEXT) | instid1(SALU_CYCLE_1)
	s_or_b32 s21, s23, s21
	s_and_not1_b32 exec_lo, exec_lo, s21
	s_cbranch_execz .LBB2_1951
.LBB2_1945:                             ;   Parent Loop BB2_1935 Depth=1
                                        ; =>  This Inner Loop Header: Depth=2
	s_sleep 1
	flat_load_b64 v[22:23], v[18:19] glc
	v_and_b32_e32 v13, 64, v30
	s_and_not1_b32 s22, s22, exec_lo
	s_mov_b32 s23, exec_lo
	s_delay_alu instid0(VALU_DEP_1)
	v_cmpx_eq_u32_e32 0, v13
	s_cbranch_execz .LBB2_1944
; %bb.1946:                             ;   in Loop: Header=BB2_1945 Depth=2
	v_add_nc_u32_e32 v13, 1, v12
	s_mov_b32 s25, -1
	s_mov_b32 s24, exec_lo
	v_cmpx_lt_i32_e32 0x270e, v12
	s_cbranch_execz .LBB2_1943
; %bb.1947:                             ;   in Loop: Header=BB2_1945 Depth=2
	s_cbranch_execnz .LBB2_5057
; %bb.1948:                             ;   in Loop: Header=BB2_1945 Depth=2
	ds_load_b64 v[12:13], v0
	s_mov_b32 s26, exec_lo
	s_waitcnt vmcnt(0) lgkmcnt(0)
	s_waitcnt_vscnt null, 0x0
	flat_load_b32 v12, v[12:13] glc
	s_waitcnt vmcnt(0) lgkmcnt(0)
	buffer_gl1_inv
	buffer_gl0_inv
	v_cmpx_ne_u32_e32 0, v12
	s_cbranch_execz .LBB2_1942
; %bb.1949:                             ;   in Loop: Header=BB2_1945 Depth=2
	ds_store_b32 v0, v12
	s_cbranch_execnz .LBB2_5085
; %bb.1950:                             ;   in Loop: Header=BB2_1945 Depth=2
	v_or_b32_e32 v30, 64, v30
	s_xor_b32 s25, exec_lo, -1
	s_branch .LBB2_1942
.LBB2_1951:                             ;   in Loop: Header=BB2_1935 Depth=1
	s_or_b32 exec_lo, exec_lo, s21
	v_and_b32_e32 v12, 4, v30
.LBB2_1952:                             ;   in Loop: Header=BB2_1935 Depth=1
	s_or_b32 exec_lo, exec_lo, s10
	s_delay_alu instid0(VALU_DEP_1)
	v_cmp_eq_u32_e32 vcc_lo, 0, v12
	;;#ASMSTART
	s_wakeup
	;;#ASMEND
	s_or_not1_b32 s10, vcc_lo, exec_lo
.LBB2_1953:                             ;   in Loop: Header=BB2_1935 Depth=1
	s_or_b32 exec_lo, exec_lo, s7
	s_xor_b32 s7, s10, -1
	s_delay_alu instid0(SALU_CYCLE_1)
	s_and_saveexec_b32 s10, s7
	s_cbranch_execz .LBB2_1963
; %bb.1954:                             ;   in Loop: Header=BB2_1935 Depth=1
	v_and_b32_e32 v10, 0x100, v30
	v_and_b32_e32 v28, 7, v8
	s_mov_b32 s7, -1
	s_delay_alu instid0(VALU_DEP_2)
	v_cmp_ne_u32_e32 vcc_lo, 0, v10
                                        ; implicit-def: $vgpr10_vgpr11
	s_and_saveexec_b32 s21, vcc_lo
	s_cbranch_execz .LBB2_1958
; %bb.1955:                             ;   in Loop: Header=BB2_1935 Depth=1
	v_mad_u64_u32 v[12:13], null, v28, 24, v[6:7]
	flat_load_b32 v10, v[12:13]
	s_waitcnt vmcnt(0) lgkmcnt(0)
	v_cmp_ne_u32_e32 vcc_lo, 1, v10
	v_cmp_eq_u32_e64 s7, 1, v10
                                        ; implicit-def: $vgpr10_vgpr11
	s_delay_alu instid0(VALU_DEP_1)
	s_and_saveexec_b32 s22, s7
	s_cbranch_execz .LBB2_1957
; %bb.1956:                             ;   in Loop: Header=BB2_1935 Depth=1
	flat_load_b32 v10, v[12:13] offset:4 glc
	s_waitcnt vmcnt(0) lgkmcnt(0)
	v_ashrrev_i32_e32 v11, 31, v10
.LBB2_1957:                             ;   in Loop: Header=BB2_1935 Depth=1
	s_or_b32 exec_lo, exec_lo, s22
	s_delay_alu instid0(SALU_CYCLE_1)
	s_or_not1_b32 s7, vcc_lo, exec_lo
.LBB2_1958:                             ;   in Loop: Header=BB2_1935 Depth=1
	s_or_b32 exec_lo, exec_lo, s21
	s_and_saveexec_b32 s21, s7
; %bb.1959:                             ;   in Loop: Header=BB2_1935 Depth=1
	v_mad_i64_i32 v[10:11], null, v28, v55, 0
; %bb.1960:                             ;   in Loop: Header=BB2_1935 Depth=1
	s_or_b32 exec_lo, exec_lo, s21
	s_delay_alu instid0(VALU_DEP_1) | instskip(SKIP_1) | instid1(VALU_DEP_3)
	v_add_co_u32 v10, vcc_lo, v20, v10
	v_and_b32_e32 v12, 0x2000, v30
	v_add_co_ci_u32_e32 v11, vcc_lo, v21, v11, vcc_lo
	s_mov_b32 s7, exec_lo
	ds_store_b64 v0, v[10:11] offset:728
	v_cmpx_ne_u32_e32 0, v12
	s_cbranch_execz .LBB2_1962
; %bb.1961:                             ;   in Loop: Header=BB2_1935 Depth=1
	ds_load_b64 v[10:11], v0 offset:584
	s_waitcnt lgkmcnt(0)
	v_add_co_u32 v10, vcc_lo, v10, 1
	v_add_co_ci_u32_e32 v11, vcc_lo, 0, v11, vcc_lo
	ds_store_b64 v0, v[10:11] offset:584
.LBB2_1962:                             ;   in Loop: Header=BB2_1935 Depth=1
	s_or_b32 exec_lo, exec_lo, s7
	v_add_co_u32 v8, vcc_lo, v8, 1
	v_add_co_ci_u32_e32 v9, vcc_lo, 0, v9, vcc_lo
.LBB2_1963:                             ;   in Loop: Header=BB2_1935 Depth=1
	s_or_b32 exec_lo, exec_lo, s10
	s_and_saveexec_b32 s7, s2
	s_cbranch_execz .LBB2_1985
; %bb.1964:                             ;   in Loop: Header=BB2_1935 Depth=1
	s_and_saveexec_b32 s10, s3
	s_delay_alu instid0(SALU_CYCLE_1)
	s_xor_b32 s10, exec_lo, s10
	s_cbranch_execz .LBB2_1982
; %bb.1965:                             ;   in Loop: Header=BB2_1935 Depth=1
	s_and_saveexec_b32 s21, s4
	s_cbranch_execz .LBB2_1981
; %bb.1966:                             ;   in Loop: Header=BB2_1935 Depth=1
	s_mov_b32 s23, exec_lo
	s_mov_b32 s22, exec_lo
	v_mbcnt_lo_u32_b32 v10, s23, 0
	s_waitcnt lgkmcnt(0)
	s_waitcnt_vscnt null, 0x0
	buffer_gl1_inv
	buffer_gl0_inv
	v_cmpx_eq_u32_e32 0, v10
	s_cbranch_execz .LBB2_1968
; %bb.1967:                             ;   in Loop: Header=BB2_1935 Depth=1
	s_bcnt1_i32_b32 s23, s23
	s_delay_alu instid0(SALU_CYCLE_1)
	v_mov_b32_e32 v28, s23
	ds_add_u64 v0, v[28:29]
	s_cbranch_execnz .LBB2_5103
.LBB2_1968:                             ;   in Loop: Header=BB2_1935 Depth=1
	s_or_b32 exec_lo, exec_lo, s22
	s_cbranch_execnz .LBB2_5091
; %bb.1969:                             ;   in Loop: Header=BB2_1935 Depth=1
	ds_load_b64 v[10:11], v0
	v_add_co_u32 v24, vcc_lo, v24, v39
	v_add_co_ci_u32_e32 v25, vcc_lo, 0, v25, vcc_lo
	s_mov_b32 s22, exec_lo
	s_waitcnt lgkmcnt(0)
	s_delay_alu instid0(VALU_DEP_1)
	v_cmpx_lt_u64_e64 v[10:11], v[24:25]
	s_cbranch_execz .LBB2_1980
; %bb.1970:                             ;   in Loop: Header=BB2_1935 Depth=1
	s_mov_b32 s23, 0
	s_mov_b32 s26, 0
                                        ; implicit-def: $sgpr24
                                        ; implicit-def: $sgpr25
	s_branch .LBB2_1972
.LBB2_1971:                             ;   in Loop: Header=BB2_1972 Depth=2
	s_or_b32 exec_lo, exec_lo, s29
	s_delay_alu instid0(SALU_CYCLE_1) | instskip(NEXT) | instid1(SALU_CYCLE_1)
	s_and_b32 s27, exec_lo, s28
	s_or_b32 s23, s27, s23
	s_and_not1_b32 s24, s24, exec_lo
	s_and_b32 s27, s25, exec_lo
	s_delay_alu instid0(SALU_CYCLE_1)
	s_or_b32 s24, s24, s27
	s_and_not1_b32 exec_lo, exec_lo, s23
	s_cbranch_execz .LBB2_1978
.LBB2_1972:                             ;   Parent Loop BB2_1935 Depth=1
                                        ; =>  This Inner Loop Header: Depth=2
	s_add_i32 s26, s26, 1
                                        ; implicit-def: $sgpr28
	s_delay_alu instid0(SALU_CYCLE_1) | instskip(SKIP_1) | instid1(SALU_CYCLE_1)
	s_cmpk_lg_i32 s26, 0x2710
	s_cselect_b32 s27, -1, 0
	s_and_b32 vcc_lo, exec_lo, s27
	s_cbranch_vccz .LBB2_1976
.LBB2_1973:                             ;   in Loop: Header=BB2_1972 Depth=2
	s_and_not1_b32 s25, s25, exec_lo
	s_and_b32 s29, s28, exec_lo
	s_mov_b32 s28, -1
	s_or_b32 s25, s25, s29
	s_and_saveexec_b32 s29, s27
	s_cbranch_execz .LBB2_1971
; %bb.1974:                             ;   in Loop: Header=BB2_1972 Depth=2
	s_sleep 1
	s_cbranch_execnz .LBB2_5137
; %bb.1975:                             ;   in Loop: Header=BB2_1972 Depth=2
	ds_load_b64 v[10:11], v0
	s_and_not1_b32 s25, s25, exec_lo
	s_waitcnt lgkmcnt(0)
	v_cmp_ge_u64_e32 vcc_lo, v[10:11], v[24:25]
	s_or_not1_b32 s28, vcc_lo, exec_lo
	s_branch .LBB2_1971
.LBB2_1976:                             ;   in Loop: Header=BB2_1972 Depth=2
	s_cbranch_execnz .LBB2_5153
; %bb.1977:                             ;   in Loop: Header=BB2_1972 Depth=2
	ds_load_b64 v[10:11], v0
	s_and_not1_b32 s27, s27, exec_lo
	s_mov_b32 s26, 0
	s_mov_b32 s28, -1
	s_waitcnt lgkmcnt(0)
	flat_load_b32 v10, v[10:11] glc
	s_waitcnt vmcnt(0) lgkmcnt(0)
	buffer_gl1_inv
	buffer_gl0_inv
	v_cmp_eq_u32_e32 vcc_lo, 0, v10
	s_and_b32 s29, vcc_lo, exec_lo
	s_delay_alu instid0(SALU_CYCLE_1)
	s_or_b32 s27, s27, s29
	s_branch .LBB2_1973
.LBB2_1978:                             ;   in Loop: Header=BB2_1935 Depth=1
	s_or_b32 exec_lo, exec_lo, s23
	s_and_saveexec_b32 s23, s24
	s_delay_alu instid0(SALU_CYCLE_1)
	s_xor_b32 s23, exec_lo, s23
	s_cbranch_execz .LBB2_1980
; %bb.1979:                             ;   in Loop: Header=BB2_1935 Depth=1
	ds_store_b32 v0, v71
	s_cbranch_execnz .LBB2_5233
.LBB2_1980:                             ;   in Loop: Header=BB2_1935 Depth=1
	s_or_b32 exec_lo, exec_lo, s22
	;;#ASMSTART
	s_wakeup
	;;#ASMEND
.LBB2_1981:                             ;   in Loop: Header=BB2_1935 Depth=1
	s_or_b32 exec_lo, exec_lo, s21
.LBB2_1982:                             ;   in Loop: Header=BB2_1935 Depth=1
	s_and_not1_saveexec_b32 s10, s10
	s_cbranch_execz .LBB2_1984
; %bb.1983:                             ;   in Loop: Header=BB2_1935 Depth=1
	s_waitcnt lgkmcnt(0)
	s_waitcnt_vscnt null, 0x0
	buffer_gl1_inv
	buffer_gl0_inv
	s_barrier
.LBB2_1984:                             ;   in Loop: Header=BB2_1935 Depth=1
	s_or_b32 exec_lo, exec_lo, s10
.LBB2_1985:                             ;   in Loop: Header=BB2_1935 Depth=1
	s_delay_alu instid0(SALU_CYCLE_1)
	s_or_b32 exec_lo, exec_lo, s7
	s_cbranch_execnz .LBB2_5028
; %bb.1986:                             ;   in Loop: Header=BB2_1935 Depth=1
	ds_load_b32 v10, v0
	v_and_b32_e32 v11, 0x4000, v30
	s_delay_alu instid0(VALU_DEP_1) | instskip(SKIP_1) | instid1(SALU_CYCLE_1)
	v_cmp_ne_u32_e32 vcc_lo, 0, v11
	s_and_b32 s10, s18, vcc_lo
	s_and_saveexec_b32 s7, s10
	s_cbranch_execz .LBB2_2008
; %bb.1987:                             ;   in Loop: Header=BB2_1935 Depth=1
	s_and_saveexec_b32 s10, s3
	s_delay_alu instid0(SALU_CYCLE_1)
	s_xor_b32 s10, exec_lo, s10
	s_cbranch_execz .LBB2_2005
; %bb.1988:                             ;   in Loop: Header=BB2_1935 Depth=1
	s_and_saveexec_b32 s21, s4
	s_cbranch_execz .LBB2_2004
; %bb.1989:                             ;   in Loop: Header=BB2_1935 Depth=1
	s_mov_b32 s23, exec_lo
	s_mov_b32 s22, exec_lo
	v_mbcnt_lo_u32_b32 v11, s23, 0
	s_waitcnt lgkmcnt(0)
	s_waitcnt_vscnt null, 0x0
	buffer_gl1_inv
	buffer_gl0_inv
	v_cmpx_eq_u32_e32 0, v11
	s_cbranch_execz .LBB2_1991
; %bb.1990:                             ;   in Loop: Header=BB2_1935 Depth=1
	s_bcnt1_i32_b32 s23, s23
	s_delay_alu instid0(SALU_CYCLE_1)
	v_mov_b32_e32 v28, s23
	ds_add_u64 v0, v[28:29]
	s_cbranch_execnz .LBB2_5133
.LBB2_1991:                             ;   in Loop: Header=BB2_1935 Depth=1
	s_or_b32 exec_lo, exec_lo, s22
	s_cbranch_execnz .LBB2_5119
; %bb.1992:                             ;   in Loop: Header=BB2_1935 Depth=1
	ds_load_b64 v[11:12], v0
	v_add_co_u32 v24, vcc_lo, v24, v39
	v_add_co_ci_u32_e32 v25, vcc_lo, 0, v25, vcc_lo
	s_mov_b32 s22, exec_lo
	s_waitcnt lgkmcnt(0)
	s_delay_alu instid0(VALU_DEP_1)
	v_cmpx_lt_u64_e64 v[11:12], v[24:25]
	s_cbranch_execz .LBB2_2003
; %bb.1993:                             ;   in Loop: Header=BB2_1935 Depth=1
	s_mov_b32 s23, 0
	s_mov_b32 s26, 0
                                        ; implicit-def: $sgpr24
                                        ; implicit-def: $sgpr25
	s_branch .LBB2_1995
.LBB2_1994:                             ;   in Loop: Header=BB2_1995 Depth=2
	s_or_b32 exec_lo, exec_lo, s29
	s_delay_alu instid0(SALU_CYCLE_1) | instskip(NEXT) | instid1(SALU_CYCLE_1)
	s_and_b32 s27, exec_lo, s28
	s_or_b32 s23, s27, s23
	s_and_not1_b32 s24, s24, exec_lo
	s_and_b32 s27, s25, exec_lo
	s_delay_alu instid0(SALU_CYCLE_1)
	s_or_b32 s24, s24, s27
	s_and_not1_b32 exec_lo, exec_lo, s23
	s_cbranch_execz .LBB2_2001
.LBB2_1995:                             ;   Parent Loop BB2_1935 Depth=1
                                        ; =>  This Inner Loop Header: Depth=2
	s_add_i32 s26, s26, 1
                                        ; implicit-def: $sgpr28
	s_delay_alu instid0(SALU_CYCLE_1) | instskip(SKIP_1) | instid1(SALU_CYCLE_1)
	s_cmpk_lg_i32 s26, 0x2710
	s_cselect_b32 s27, -1, 0
	s_and_b32 vcc_lo, exec_lo, s27
	s_cbranch_vccz .LBB2_1999
.LBB2_1996:                             ;   in Loop: Header=BB2_1995 Depth=2
	s_and_not1_b32 s25, s25, exec_lo
	s_and_b32 s29, s28, exec_lo
	s_mov_b32 s28, -1
	s_or_b32 s25, s25, s29
	s_and_saveexec_b32 s29, s27
	s_cbranch_execz .LBB2_1994
; %bb.1997:                             ;   in Loop: Header=BB2_1995 Depth=2
	s_sleep 1
	s_cbranch_execnz .LBB2_5191
; %bb.1998:                             ;   in Loop: Header=BB2_1995 Depth=2
	ds_load_b64 v[11:12], v0
	s_and_not1_b32 s25, s25, exec_lo
	s_waitcnt lgkmcnt(0)
	v_cmp_ge_u64_e32 vcc_lo, v[11:12], v[24:25]
	s_or_not1_b32 s28, vcc_lo, exec_lo
	s_branch .LBB2_1994
.LBB2_1999:                             ;   in Loop: Header=BB2_1995 Depth=2
	s_cbranch_execnz .LBB2_5199
; %bb.2000:                             ;   in Loop: Header=BB2_1995 Depth=2
	ds_load_b64 v[11:12], v0
	s_and_not1_b32 s27, s27, exec_lo
	s_mov_b32 s26, 0
	s_mov_b32 s28, -1
	s_waitcnt lgkmcnt(0)
	flat_load_b32 v11, v[11:12] glc
	s_waitcnt vmcnt(0) lgkmcnt(0)
	buffer_gl1_inv
	buffer_gl0_inv
	v_cmp_eq_u32_e32 vcc_lo, 0, v11
	s_and_b32 s29, vcc_lo, exec_lo
	s_delay_alu instid0(SALU_CYCLE_1)
	s_or_b32 s27, s27, s29
	s_branch .LBB2_1996
.LBB2_2001:                             ;   in Loop: Header=BB2_1935 Depth=1
	s_or_b32 exec_lo, exec_lo, s23
	s_and_saveexec_b32 s23, s24
	s_delay_alu instid0(SALU_CYCLE_1)
	s_xor_b32 s23, exec_lo, s23
	s_cbranch_execz .LBB2_2003
; %bb.2002:                             ;   in Loop: Header=BB2_1935 Depth=1
	ds_store_b32 v0, v71
	s_cbranch_execnz .LBB2_5243
.LBB2_2003:                             ;   in Loop: Header=BB2_1935 Depth=1
	s_or_b32 exec_lo, exec_lo, s22
	;;#ASMSTART
	s_wakeup
	;;#ASMEND
.LBB2_2004:                             ;   in Loop: Header=BB2_1935 Depth=1
	s_or_b32 exec_lo, exec_lo, s21
.LBB2_2005:                             ;   in Loop: Header=BB2_1935 Depth=1
	s_and_not1_saveexec_b32 s10, s10
	s_cbranch_execz .LBB2_2007
; %bb.2006:                             ;   in Loop: Header=BB2_1935 Depth=1
	s_waitcnt lgkmcnt(0)
	s_waitcnt_vscnt null, 0x0
	buffer_gl1_inv
	buffer_gl0_inv
	s_barrier
.LBB2_2007:                             ;   in Loop: Header=BB2_1935 Depth=1
	s_or_b32 exec_lo, exec_lo, s10
.LBB2_2008:                             ;   in Loop: Header=BB2_1935 Depth=1
	s_delay_alu instid0(SALU_CYCLE_1)
	s_or_b32 exec_lo, exec_lo, s7
	s_cbranch_execnz .LBB2_5061
; %bb.2009:                             ;   in Loop: Header=BB2_1935 Depth=1
	ds_load_b64 v[11:12], v0
	v_min_u32_e32 v80, v80, v34
	s_waitcnt lgkmcnt(0)
	v_cmp_eq_u64_e32 vcc_lo, 0, v[11:12]
	s_or_b32 s7, vcc_lo, vcc_lo
	s_delay_alu instid0(SALU_CYCLE_1)
	s_and_b32 vcc_lo, exec_lo, s7
	s_mov_b32 s7, 0
	s_cbranch_vccnz .LBB2_3718
; %bb.2010:                             ;   in Loop: Header=BB2_1935 Depth=1
	s_mov_b32 s7, -1
	s_and_saveexec_b32 s10, s5
	s_cbranch_execz .LBB2_2012
; %bb.2011:                             ;   in Loop: Header=BB2_1935 Depth=1
	ds_load_b32 v11, v0 offset:720
	s_waitcnt lgkmcnt(0)
	v_and_b32_e32 v11, 15, v11
	s_delay_alu instid0(VALU_DEP_1)
	v_cmp_eq_u32_e32 vcc_lo, 0, v11
	s_or_not1_b32 s7, vcc_lo, exec_lo
.LBB2_2012:                             ;   in Loop: Header=BB2_1935 Depth=1
	s_or_b32 exec_lo, exec_lo, s10
	s_and_saveexec_b32 s10, s6
	s_cbranch_execz .LBB2_2014
; %bb.2013:                             ;   in Loop: Header=BB2_1935 Depth=1
	ds_load_b32 v11, v0 offset:784
	s_waitcnt lgkmcnt(0)
	v_and_b32_e32 v11, 15, v11
	s_delay_alu instid0(VALU_DEP_1) | instskip(SKIP_3) | instid1(SALU_CYCLE_1)
	v_cmp_eq_u32_e32 vcc_lo, 0, v11
	s_and_b32 s21, s7, vcc_lo
	s_and_not1_b32 s7, s7, exec_lo
	s_and_b32 s21, s21, exec_lo
	s_or_b32 s7, s7, s21
.LBB2_2014:                             ;   in Loop: Header=BB2_1935 Depth=1
	s_or_b32 exec_lo, exec_lo, s10
	v_cmp_eq_u32_e32 vcc_lo, 0, v10
	s_xor_b32 s7, s7, -1
	v_mov_b32_e32 v48, v0
	v_cndmask_b32_e64 v11, 0, 1, s7
	;;#ASMSTART
	;;#ASMEND
	v_dual_cndmask_b32 v28, 0, v80 :: v_dual_mov_b32 v81, 0
	s_delay_alu instid0(VALU_DEP_2) | instskip(SKIP_1) | instid1(VALU_DEP_2)
	v_cmp_ne_u32_e32 vcc_lo, 0, v11
	s_mov_b32 s21, -1
	v_mov_b32_e32 v82, v28
	s_cbranch_vccnz .LBB2_3326
; %bb.2015:                             ;   in Loop: Header=BB2_1935 Depth=1
	v_and_b32_e32 v83, 0x1ff, v28
	v_lshrrev_b32_e32 v10, 9, v28
	v_sub_nc_u32_e32 v81, v28, v50
	s_mov_b32 s21, exec_lo
	s_delay_alu instid0(VALU_DEP_3) | instskip(NEXT) | instid1(VALU_DEP_1)
	v_cmp_lt_u32_e64 s7, 15, v83
	v_add_co_ci_u32_e64 v84, vcc_lo, v10, v64, s7
	s_delay_alu instid0(VALU_DEP_3)
	v_cmpx_lt_i32_e32 15, v81
	s_cbranch_execz .LBB2_2669
; %bb.2016:                             ;   in Loop: Header=BB2_1935 Depth=1
	s_cbranch_execnz .LBB2_5155
; %bb.2017:                             ;   in Loop: Header=BB2_1935 Depth=1
	ds_load_b64 v[85:86], v0
	ds_load_b128 v[10:13], v0
	s_waitcnt lgkmcnt(1)
	v_readfirstlane_b32 s10, v85
	s_waitcnt lgkmcnt(0)
	v_add_co_u32 v35, vcc_lo, v10, v50
	v_add_co_ci_u32_e32 v36, vcc_lo, v11, v53, vcc_lo
	s_delay_alu instid0(VALU_DEP_3)
	s_and_b32 s22, s10, 7
	s_bfe_u32 s25, s10, 0x40003
	s_clz_i32_u32 s23, s22
	v_add_co_u32 v37, vcc_lo, v12, v50
	s_min_u32 s23, s23, 32
	v_add_co_ci_u32_e32 v38, vcc_lo, v13, v53, vcc_lo
	s_sub_i32 s24, s23, 28
	s_sub_i32 s23, 29, s23
	s_lshl_b32 s24, s10, s24
	v_add_co_u32 v48, vcc_lo, v85, v50
	s_and_b32 s24, s24, 7
	s_cmp_eq_u32 s25, 0
	v_add_co_ci_u32_e32 v49, vcc_lo, v86, v53, vcc_lo
	s_cselect_b32 s23, s23, s25
	s_cselect_b32 s22, s24, s22
	s_lshl_b32 s10, s10, 24
	s_lshl_b32 s24, s22, 20
	s_lshl_b32 s22, s23, 23
	s_and_b32 s10, s10, 0x80000000
	s_add_i32 s22, s22, 0x3b800000
	v_and_b32_e32 v82, 0xff, v85
	s_or_b32 s10, s10, s22
	s_mov_b32 s22, 0
	s_or_b32 s23, s10, s24
	s_branch .LBB2_2021
.LBB2_2018:                             ;   in Loop: Header=BB2_2021 Depth=2
	s_or_b32 exec_lo, exec_lo, s10
	s_delay_alu instid0(VALU_DEP_1) | instskip(NEXT) | instid1(VALU_DEP_2)
	v_lshrrev_b32_e32 v98, 20, v98
	v_cmp_gt_i32_e32 vcc_lo, 16, v96
	v_min_i32_e32 v115, 15, v96
	v_lshrrev_b32_e32 v13, 24, v13
	s_delay_alu instid0(VALU_DEP_2) | instskip(NEXT) | instid1(VALU_DEP_2)
	v_dual_cndmask_b32 v98, 7, v98 :: v_dual_lshlrev_b32 v115, 3, v115
	v_and_b32_e32 v13, 0x80, v13
	s_delay_alu instid0(VALU_DEP_2) | instskip(SKIP_1) | instid1(VALU_DEP_2)
	v_or_b32_e32 v96, v96, v98
	v_and_b32_e32 v116, 7, v98
	v_cmp_ne_u32_e32 vcc_lo, 0, v96
	v_and_b32_e32 v115, 0xf8, v115
	s_delay_alu instid0(VALU_DEP_1) | instskip(NEXT) | instid1(VALU_DEP_1)
	v_or3_b32 v13, v13, v115, v116
	v_lshlrev_b32_e32 v13, 8, v13
	s_delay_alu instid0(VALU_DEP_1)
	v_cndmask_b32_e32 v96, 0, v13, vcc_lo
.LBB2_2019:                             ;   in Loop: Header=BB2_2021 Depth=2
	s_or_b32 exec_lo, exec_lo, s25
.LBB2_2020:                             ;   in Loop: Header=BB2_2021 Depth=2
	s_delay_alu instid0(SALU_CYCLE_1)
	s_or_b32 exec_lo, exec_lo, s24
	v_or_b32_e32 v11, v11, v112
	v_and_b32_e32 v13, 0xff, v103
	v_lshlrev_b32_e32 v97, 8, v97
	v_and_b32_e32 v99, 0xff, v99
	v_lshlrev_b32_e32 v100, 8, v100
	v_or_b32_e32 v86, v96, v86
	v_and_b32_e32 v98, 0xff, v113
	v_lshlrev_b32_e32 v10, 24, v10
	v_lshlrev_b32_e32 v11, 16, v11
	;; [unrolled: 1-line block ×3, first 2 shown]
	v_perm_b32 v85, v97, v85, 0xc0c0500
	v_lshlrev_b32_e32 v12, 24, v12
	v_lshlrev_b32_e32 v96, 16, v99
	v_perm_b32 v97, v100, v102, 0xc0c0500
	v_and_b32_e32 v87, 0xff, v87
	v_lshlrev_b32_e32 v86, 16, v86
	v_add_co_u32 v35, vcc_lo, v35, v65
	v_or3_b32 v11, v114, v98, v11
	v_or3_b32 v10, v10, v13, v85
	;; [unrolled: 1-line block ×4, first 2 shown]
	v_sub_nc_u32_e32 v81, v81, v51
	v_add_co_ci_u32_e32 v36, vcc_lo, v36, v66, vcc_lo
	v_add_co_u32 v37, vcc_lo, v37, v65
	v_add_co_ci_u32_e32 v38, vcc_lo, v38, v66, vcc_lo
	global_store_b128 v[48:49], v[10:13], off glc slc dlc
	v_cmp_gt_i32_e32 vcc_lo, 16, v81
	v_add_co_u32 v48, s10, v48, v65
	s_delay_alu instid0(VALU_DEP_1) | instskip(SKIP_2) | instid1(SALU_CYCLE_1)
	v_add_co_ci_u32_e64 v49, s10, v49, v66, s10
	v_sub_nc_u32_e32 v84, v84, v39
	s_or_b32 s22, vcc_lo, s22
	s_and_not1_b32 exec_lo, exec_lo, s22
	s_cbranch_execz .LBB2_2668
.LBB2_2021:                             ;   Parent Loop BB2_1935 Depth=1
                                        ; =>  This Inner Loop Header: Depth=2
	v_cmp_gt_i16_e32 vcc_lo, 0x80, v82
	s_cbranch_vccnz .LBB2_2025
; %bb.2022:                             ;   in Loop: Header=BB2_2021 Depth=2
	v_cmp_eq_u16_e32 vcc_lo, 0x80, v82
	s_mov_b32 s10, -1
                                        ; implicit-def: $sgpr24
	s_cbranch_vccz .LBB2_2024
; %bb.2023:                             ;   in Loop: Header=BB2_2021 Depth=2
	s_mov_b32 s10, 0
	s_mov_b32 s24, 0x7f800001
.LBB2_2024:                             ;   in Loop: Header=BB2_2021 Depth=2
	s_mov_b32 s25, 0
	s_branch .LBB2_2026
.LBB2_2025:                             ;   in Loop: Header=BB2_2021 Depth=2
	s_mov_b32 s25, -1
	s_mov_b32 s10, 0
                                        ; implicit-def: $sgpr24
.LBB2_2026:                             ;   in Loop: Header=BB2_2021 Depth=2
	s_and_b32 vcc_lo, exec_lo, s25
	s_cbranch_vccz .LBB2_2028
; %bb.2027:                             ;   in Loop: Header=BB2_2021 Depth=2
	v_cmp_ne_u16_e64 s10, 0, v82
	s_mov_b32 s24, 0
.LBB2_2028:                             ;   in Loop: Header=BB2_2021 Depth=2
	s_delay_alu instid0(VALU_DEP_1)
	s_and_not1_b32 vcc_lo, exec_lo, s10
	s_cbranch_vccnz .LBB2_2030
; %bb.2029:                             ;   in Loop: Header=BB2_2021 Depth=2
	s_mov_b32 s24, s23
.LBB2_2030:                             ;   in Loop: Header=BB2_2021 Depth=2
	global_load_b128 v[10:13], v[35:36], off slc dlc
	s_mov_b32 s10, 0
	s_mov_b32 s26, exec_lo
                                        ; implicit-def: $sgpr25
	s_waitcnt vmcnt(0)
	v_and_b32_e32 v86, 0xff, v10
	s_delay_alu instid0(VALU_DEP_1)
	v_cmpx_lt_i16_e32 0x7f, v86
	s_xor_b32 s26, exec_lo, s26
	s_cbranch_execnz .LBB2_2476
; %bb.2031:                             ;   in Loop: Header=BB2_2021 Depth=2
	s_or_saveexec_b32 s26, s26
	v_mov_b32_e32 v85, s25
	s_xor_b32 exec_lo, exec_lo, s26
	s_cbranch_execnz .LBB2_2479
.LBB2_2032:                             ;   in Loop: Header=BB2_2021 Depth=2
	s_or_b32 exec_lo, exec_lo, s26
	s_and_saveexec_b32 s25, s10
	s_cbranch_execz .LBB2_2034
.LBB2_2033:                             ;   in Loop: Header=BB2_2021 Depth=2
	v_and_b32_e32 v85, 7, v10
	v_bfe_u32 v96, v10, 3, 4
	v_lshlrev_b32_e32 v97, 24, v10
	s_delay_alu instid0(VALU_DEP_3) | instskip(NEXT) | instid1(VALU_DEP_3)
	v_clz_i32_u32_e32 v86, v85
	v_cmp_eq_u32_e32 vcc_lo, 0, v96
	s_delay_alu instid0(VALU_DEP_2) | instskip(NEXT) | instid1(VALU_DEP_1)
	v_min_u32_e32 v86, 32, v86
	v_subrev_nc_u32_e32 v87, 28, v86
	v_sub_nc_u32_e32 v86, 29, v86
	s_delay_alu instid0(VALU_DEP_2) | instskip(NEXT) | instid1(VALU_DEP_1)
	v_lshlrev_b32_e32 v87, v87, v10
	v_dual_cndmask_b32 v86, v96, v86 :: v_dual_and_b32 v87, 7, v87
	s_delay_alu instid0(VALU_DEP_1) | instskip(NEXT) | instid1(VALU_DEP_2)
	v_lshl_add_u32 v86, v86, 23, 0x3b800000
	v_cndmask_b32_e32 v85, v85, v87, vcc_lo
	v_and_b32_e32 v87, 0x80000000, v97
	s_delay_alu instid0(VALU_DEP_2) | instskip(NEXT) | instid1(VALU_DEP_1)
	v_lshlrev_b32_e32 v85, 20, v85
	v_or3_b32 v85, v87, v86, v85
.LBB2_2034:                             ;   in Loop: Header=BB2_2021 Depth=2
	s_or_b32 exec_lo, exec_lo, s25
	s_delay_alu instid0(VALU_DEP_1) | instskip(NEXT) | instid1(VALU_DEP_1)
	v_mul_f32_e32 v86, s24, v85
	v_and_b32_e32 v85, 0x7f800000, v86
	s_delay_alu instid0(VALU_DEP_1)
	v_cmp_ne_u32_e32 vcc_lo, 0x7f800000, v85
	v_mov_b32_e32 v85, 0x80
	s_and_saveexec_b32 s25, vcc_lo
	s_cbranch_execz .LBB2_2042
; %bb.2035:                             ;   in Loop: Header=BB2_2021 Depth=2
	v_mov_b32_e32 v85, 0
	s_mov_b32 s26, exec_lo
	v_cmpx_ne_u32_e32 0, v86
	s_cbranch_execz .LBB2_2041
; %bb.2036:                             ;   in Loop: Header=BB2_2021 Depth=2
	v_bfe_u32 v85, v86, 23, 8
	s_delay_alu instid0(VALU_DEP_1) | instskip(SKIP_1) | instid1(VALU_DEP_2)
	v_sub_nc_u32_e32 v96, 0x78, v85
	v_cmp_gt_u32_e32 vcc_lo, 0x79, v85
	v_dual_cndmask_b32 v96, 0, v96 :: v_dual_and_b32 v87, 0x7fffff, v86
	s_delay_alu instid0(VALU_DEP_1) | instskip(SKIP_2) | instid1(VALU_DEP_4)
	v_or_b32_e32 v97, 0x800000, v87
	v_cmp_eq_u32_e32 vcc_lo, 0, v85
	v_add_nc_u32_e32 v85, 0xffffff89, v85
	v_cndmask_b32_e64 v96, v96, 0x77, vcc_lo
	s_delay_alu instid0(VALU_DEP_2) | instskip(SKIP_1) | instid1(VALU_DEP_3)
	v_cndmask_b32_e64 v85, v85, 0xffffff8a, vcc_lo
	v_cndmask_b32_e32 v87, v97, v87, vcc_lo
	v_lshl_add_u32 v97, 0x100000, v96, -1
	v_lshlrev_b32_e64 v100, v96, 0x80000
	s_delay_alu instid0(VALU_DEP_3) | instskip(SKIP_1) | instid1(VALU_DEP_4)
	v_lshrrev_b32_e32 v98, v96, v87
	v_add_nc_u32_e32 v96, v96, v85
	v_and_b32_e32 v87, v97, v87
	s_delay_alu instid0(VALU_DEP_3) | instskip(NEXT) | instid1(VALU_DEP_2)
	v_bfe_u32 v99, v98, 20, 1
	v_cmp_eq_u32_e64 s10, v87, v100
	s_delay_alu instid0(VALU_DEP_2) | instskip(NEXT) | instid1(VALU_DEP_1)
	v_add_nc_u32_e32 v97, -1, v99
	v_cndmask_b32_e64 v87, 0, v97, s10
	v_lshrrev_b32_e32 v97, 23, v98
	s_mov_b32 s10, exec_lo
	s_delay_alu instid0(VALU_DEP_2) | instskip(NEXT) | instid1(VALU_DEP_2)
	v_add_nc_u32_e32 v87, v87, v98
	v_xor_b32_e32 v97, 1, v97
	s_delay_alu instid0(VALU_DEP_2) | instskip(NEXT) | instid1(VALU_DEP_1)
	v_and_b32_e32 v85, 0xfffff, v87
	v_add_nc_u32_e32 v87, v85, v98
                                        ; implicit-def: $vgpr85
	s_delay_alu instid0(VALU_DEP_3)
	v_cmpx_ne_u32_e64 v96, v97
	s_xor_b32 s10, exec_lo, s10
; %bb.2037:                             ;   in Loop: Header=BB2_2021 Depth=2
	s_delay_alu instid0(VALU_DEP_2) | instskip(SKIP_2) | instid1(VALU_DEP_2)
	v_cmp_lt_u32_e32 vcc_lo, 0xffffff, v87
	v_sub_nc_u32_e32 v85, v96, v97
	v_cndmask_b32_e64 v96, 0, 1, vcc_lo
	v_add_co_ci_u32_e32 v85, vcc_lo, 0, v85, vcc_lo
	s_delay_alu instid0(VALU_DEP_2)
	v_lshrrev_b32_e32 v87, v96, v87
; %bb.2038:                             ;   in Loop: Header=BB2_2021 Depth=2
	s_and_not1_saveexec_b32 s10, s10
; %bb.2039:                             ;   in Loop: Header=BB2_2021 Depth=2
	s_delay_alu instid0(VALU_DEP_1)
	v_bfe_u32 v85, v87, 23, 1
; %bb.2040:                             ;   in Loop: Header=BB2_2021 Depth=2
	s_or_b32 exec_lo, exec_lo, s10
	v_lshrrev_b32_e32 v87, 20, v87
	s_delay_alu instid0(VALU_DEP_2) | instskip(SKIP_2) | instid1(VALU_DEP_2)
	v_cmp_gt_i32_e32 vcc_lo, 16, v85
	v_lshrrev_b32_e32 v86, 24, v86
	v_min_i32_e32 v96, 15, v85
	v_dual_cndmask_b32 v87, 7, v87 :: v_dual_and_b32 v86, 0x80, v86
	s_delay_alu instid0(VALU_DEP_1) | instskip(SKIP_1) | instid1(VALU_DEP_2)
	v_or_b32_e32 v85, v85, v87
	v_and_b32_e32 v97, 7, v87
	v_cmp_ne_u32_e32 vcc_lo, 0, v85
	v_lshlrev_b32_e32 v96, 3, v96
	s_delay_alu instid0(VALU_DEP_1) | instskip(NEXT) | instid1(VALU_DEP_1)
	v_or3_b32 v86, v96, v86, v97
	v_cndmask_b32_e32 v85, 0, v86, vcc_lo
.LBB2_2041:                             ;   in Loop: Header=BB2_2021 Depth=2
	s_or_b32 exec_lo, exec_lo, s26
.LBB2_2042:                             ;   in Loop: Header=BB2_2021 Depth=2
	s_delay_alu instid0(SALU_CYCLE_1) | instskip(SKIP_3) | instid1(VALU_DEP_1)
	s_or_b32 exec_lo, exec_lo, s25
	v_lshrrev_b16 v86, 8, v10
	s_mov_b32 s10, 0
	s_mov_b32 s26, exec_lo
                                        ; implicit-def: $sgpr25
	v_cmpx_lt_i16_e32 0x7f, v86
	s_xor_b32 s26, exec_lo, s26
	s_cbranch_execnz .LBB2_2480
; %bb.2043:                             ;   in Loop: Header=BB2_2021 Depth=2
	s_or_saveexec_b32 s26, s26
	v_mov_b32_e32 v87, s25
	s_xor_b32 exec_lo, exec_lo, s26
	s_cbranch_execnz .LBB2_2483
.LBB2_2044:                             ;   in Loop: Header=BB2_2021 Depth=2
	s_or_b32 exec_lo, exec_lo, s26
	s_and_saveexec_b32 s25, s10
	s_cbranch_execz .LBB2_2046
.LBB2_2045:                             ;   in Loop: Header=BB2_2021 Depth=2
	v_and_b32_e32 v87, 0xffff, v86
	v_lshlrev_b32_e32 v86, 24, v86
	s_delay_alu instid0(VALU_DEP_2) | instskip(NEXT) | instid1(VALU_DEP_2)
	v_and_b32_e32 v96, 7, v87
	v_and_b32_e32 v86, 0x80000000, v86
	s_delay_alu instid0(VALU_DEP_2) | instskip(NEXT) | instid1(VALU_DEP_1)
	v_clz_i32_u32_e32 v97, v96
	v_min_u32_e32 v97, 32, v97
	s_delay_alu instid0(VALU_DEP_1) | instskip(SKIP_1) | instid1(VALU_DEP_2)
	v_subrev_nc_u32_e32 v98, 28, v97
	v_sub_nc_u32_e32 v97, 29, v97
	v_lshlrev_b32_e32 v98, v98, v87
	v_bfe_u32 v87, v87, 3, 4
	s_delay_alu instid0(VALU_DEP_2) | instskip(NEXT) | instid1(VALU_DEP_2)
	v_and_b32_e32 v98, 7, v98
	v_cmp_eq_u32_e32 vcc_lo, 0, v87
	s_delay_alu instid0(VALU_DEP_2) | instskip(NEXT) | instid1(VALU_DEP_1)
	v_dual_cndmask_b32 v87, v87, v97 :: v_dual_cndmask_b32 v96, v96, v98
	v_lshl_add_u32 v87, v87, 23, 0x3b800000
	s_delay_alu instid0(VALU_DEP_2) | instskip(NEXT) | instid1(VALU_DEP_1)
	v_lshlrev_b32_e32 v96, 20, v96
	v_or3_b32 v87, v86, v87, v96
.LBB2_2046:                             ;   in Loop: Header=BB2_2021 Depth=2
	s_or_b32 exec_lo, exec_lo, s25
	s_delay_alu instid0(VALU_DEP_1) | instskip(SKIP_1) | instid1(VALU_DEP_1)
	v_dual_mul_f32 v86, s24, v87 :: v_dual_mov_b32 v97, 0x80
	s_mov_b32 s25, exec_lo
	v_and_b32_e32 v87, 0x7f800000, v86
	s_delay_alu instid0(VALU_DEP_1)
	v_cmpx_ne_u32_e32 0x7f800000, v87
	s_cbranch_execz .LBB2_2054
; %bb.2047:                             ;   in Loop: Header=BB2_2021 Depth=2
	v_mov_b32_e32 v97, 0
	s_mov_b32 s26, exec_lo
	v_cmpx_ne_u32_e32 0, v86
	s_cbranch_execz .LBB2_2053
; %bb.2048:                             ;   in Loop: Header=BB2_2021 Depth=2
	v_bfe_u32 v87, v86, 23, 8
	s_delay_alu instid0(VALU_DEP_1) | instskip(SKIP_1) | instid1(VALU_DEP_2)
	v_sub_nc_u32_e32 v97, 0x78, v87
	v_cmp_gt_u32_e32 vcc_lo, 0x79, v87
	v_dual_cndmask_b32 v97, 0, v97 :: v_dual_and_b32 v96, 0x7fffff, v86
	s_delay_alu instid0(VALU_DEP_1) | instskip(SKIP_2) | instid1(VALU_DEP_4)
	v_or_b32_e32 v98, 0x800000, v96
	v_cmp_eq_u32_e32 vcc_lo, 0, v87
	v_add_nc_u32_e32 v87, 0xffffff89, v87
	v_cndmask_b32_e64 v97, v97, 0x77, vcc_lo
	s_delay_alu instid0(VALU_DEP_4) | instskip(NEXT) | instid1(VALU_DEP_3)
	v_cndmask_b32_e32 v96, v98, v96, vcc_lo
	v_cndmask_b32_e64 v87, v87, 0xffffff8a, vcc_lo
	s_delay_alu instid0(VALU_DEP_3) | instskip(NEXT) | instid1(VALU_DEP_3)
	v_lshl_add_u32 v98, 0x100000, v97, -1
	v_lshrrev_b32_e32 v99, v97, v96
	v_lshlrev_b32_e64 v101, v97, 0x80000
	s_delay_alu instid0(VALU_DEP_4) | instskip(NEXT) | instid1(VALU_DEP_4)
	v_add_nc_u32_e32 v97, v97, v87
	v_and_b32_e32 v96, v98, v96
	s_delay_alu instid0(VALU_DEP_4) | instskip(NEXT) | instid1(VALU_DEP_2)
	v_bfe_u32 v100, v99, 20, 1
	v_cmp_eq_u32_e64 s10, v96, v101
	s_delay_alu instid0(VALU_DEP_2) | instskip(NEXT) | instid1(VALU_DEP_1)
	v_add_nc_u32_e32 v98, -1, v100
	v_cndmask_b32_e64 v96, 0, v98, s10
	v_lshrrev_b32_e32 v98, 23, v99
	s_mov_b32 s10, exec_lo
	s_delay_alu instid0(VALU_DEP_2) | instskip(NEXT) | instid1(VALU_DEP_2)
	v_add_nc_u32_e32 v96, v96, v99
	v_xor_b32_e32 v98, 1, v98
	s_delay_alu instid0(VALU_DEP_2) | instskip(NEXT) | instid1(VALU_DEP_1)
	v_and_b32_e32 v87, 0xfffff, v96
	v_add_nc_u32_e32 v96, v87, v99
                                        ; implicit-def: $vgpr87
	s_delay_alu instid0(VALU_DEP_3)
	v_cmpx_ne_u32_e64 v97, v98
	s_xor_b32 s10, exec_lo, s10
; %bb.2049:                             ;   in Loop: Header=BB2_2021 Depth=2
	s_delay_alu instid0(VALU_DEP_2) | instskip(SKIP_2) | instid1(VALU_DEP_2)
	v_cmp_lt_u32_e32 vcc_lo, 0xffffff, v96
	v_sub_nc_u32_e32 v87, v97, v98
	v_cndmask_b32_e64 v97, 0, 1, vcc_lo
	v_add_co_ci_u32_e32 v87, vcc_lo, 0, v87, vcc_lo
	s_delay_alu instid0(VALU_DEP_2)
	v_lshrrev_b32_e32 v96, v97, v96
; %bb.2050:                             ;   in Loop: Header=BB2_2021 Depth=2
	s_and_not1_saveexec_b32 s10, s10
; %bb.2051:                             ;   in Loop: Header=BB2_2021 Depth=2
	s_delay_alu instid0(VALU_DEP_1)
	v_bfe_u32 v87, v96, 23, 1
; %bb.2052:                             ;   in Loop: Header=BB2_2021 Depth=2
	s_or_b32 exec_lo, exec_lo, s10
	v_lshrrev_b32_e32 v96, 20, v96
	s_delay_alu instid0(VALU_DEP_2) | instskip(SKIP_2) | instid1(VALU_DEP_2)
	v_cmp_gt_i32_e32 vcc_lo, 16, v87
	v_min_i32_e32 v97, 15, v87
	v_lshrrev_b32_e32 v86, 24, v86
	v_dual_cndmask_b32 v96, 7, v96 :: v_dual_lshlrev_b32 v97, 3, v97
	s_delay_alu instid0(VALU_DEP_2) | instskip(NEXT) | instid1(VALU_DEP_2)
	v_and_b32_e32 v86, 0x80, v86
	v_or_b32_e32 v87, v87, v96
	s_delay_alu instid0(VALU_DEP_1) | instskip(SKIP_1) | instid1(VALU_DEP_1)
	v_cmp_ne_u32_e32 vcc_lo, 0, v87
	v_and_b32_e32 v98, 7, v96
	v_or3_b32 v86, v97, v86, v98
	s_delay_alu instid0(VALU_DEP_1)
	v_cndmask_b32_e32 v97, 0, v86, vcc_lo
.LBB2_2053:                             ;   in Loop: Header=BB2_2021 Depth=2
	s_or_b32 exec_lo, exec_lo, s26
.LBB2_2054:                             ;   in Loop: Header=BB2_2021 Depth=2
	s_delay_alu instid0(SALU_CYCLE_1) | instskip(SKIP_3) | instid1(VALU_DEP_1)
	s_or_b32 exec_lo, exec_lo, s25
	v_lshrrev_b32_e32 v86, 16, v10
	s_mov_b32 s10, 0
	s_mov_b32 s26, exec_lo
                                        ; implicit-def: $sgpr25
	v_and_b32_e32 v96, 0xff, v86
	s_delay_alu instid0(VALU_DEP_1)
	v_cmpx_lt_i16_e32 0x7f, v96
	s_xor_b32 s26, exec_lo, s26
	s_cbranch_execnz .LBB2_2484
; %bb.2055:                             ;   in Loop: Header=BB2_2021 Depth=2
	s_or_saveexec_b32 s26, s26
	v_mov_b32_e32 v87, s25
	s_xor_b32 exec_lo, exec_lo, s26
	s_cbranch_execnz .LBB2_2487
.LBB2_2056:                             ;   in Loop: Header=BB2_2021 Depth=2
	s_or_b32 exec_lo, exec_lo, s26
	s_and_saveexec_b32 s25, s10
	s_cbranch_execz .LBB2_2058
.LBB2_2057:                             ;   in Loop: Header=BB2_2021 Depth=2
	v_bfe_u32 v87, v10, 16, 3
	s_delay_alu instid0(VALU_DEP_1) | instskip(NEXT) | instid1(VALU_DEP_1)
	v_clz_i32_u32_e32 v96, v87
	v_min_u32_e32 v96, 32, v96
	s_delay_alu instid0(VALU_DEP_1) | instskip(SKIP_1) | instid1(VALU_DEP_2)
	v_subrev_nc_u32_e32 v98, 28, v96
	v_sub_nc_u32_e32 v96, 29, v96
	v_lshlrev_b32_e32 v86, v98, v86
	v_bfe_u32 v98, v10, 19, 4
	s_delay_alu instid0(VALU_DEP_2) | instskip(NEXT) | instid1(VALU_DEP_2)
	v_and_b32_e32 v86, 7, v86
	v_cmp_eq_u32_e32 vcc_lo, 0, v98
	v_dual_cndmask_b32 v96, v98, v96 :: v_dual_lshlrev_b32 v99, 8, v10
	s_delay_alu instid0(VALU_DEP_1) | instskip(NEXT) | instid1(VALU_DEP_2)
	v_dual_cndmask_b32 v86, v87, v86 :: v_dual_and_b32 v87, 0x80000000, v99
	v_lshl_add_u32 v96, v96, 23, 0x3b800000
	s_delay_alu instid0(VALU_DEP_2) | instskip(NEXT) | instid1(VALU_DEP_1)
	v_lshlrev_b32_e32 v86, 20, v86
	v_or3_b32 v87, v87, v96, v86
.LBB2_2058:                             ;   in Loop: Header=BB2_2021 Depth=2
	s_or_b32 exec_lo, exec_lo, s25
	s_delay_alu instid0(VALU_DEP_1) | instskip(SKIP_1) | instid1(VALU_DEP_1)
	v_dual_mul_f32 v86, s24, v87 :: v_dual_mov_b32 v103, 0x80
	s_mov_b32 s25, exec_lo
	v_and_b32_e32 v87, 0x7f800000, v86
	s_delay_alu instid0(VALU_DEP_1)
	v_cmpx_ne_u32_e32 0x7f800000, v87
	s_cbranch_execz .LBB2_2066
; %bb.2059:                             ;   in Loop: Header=BB2_2021 Depth=2
	v_mov_b32_e32 v103, 0
	s_mov_b32 s26, exec_lo
	v_cmpx_ne_u32_e32 0, v86
	s_cbranch_execz .LBB2_2065
; %bb.2060:                             ;   in Loop: Header=BB2_2021 Depth=2
	v_bfe_u32 v87, v86, 23, 8
	v_and_b32_e32 v96, 0x7fffff, v86
	s_delay_alu instid0(VALU_DEP_2) | instskip(SKIP_1) | instid1(VALU_DEP_3)
	v_sub_nc_u32_e32 v98, 0x78, v87
	v_cmp_gt_u32_e32 vcc_lo, 0x79, v87
	v_or_b32_e32 v99, 0x800000, v96
	s_delay_alu instid0(VALU_DEP_3) | instskip(SKIP_2) | instid1(VALU_DEP_3)
	v_cndmask_b32_e32 v98, 0, v98, vcc_lo
	v_cmp_eq_u32_e32 vcc_lo, 0, v87
	v_add_nc_u32_e32 v87, 0xffffff89, v87
	v_cndmask_b32_e64 v98, v98, 0x77, vcc_lo
	v_cndmask_b32_e32 v96, v99, v96, vcc_lo
	s_delay_alu instid0(VALU_DEP_3) | instskip(NEXT) | instid1(VALU_DEP_3)
	v_cndmask_b32_e64 v87, v87, 0xffffff8a, vcc_lo
	v_lshl_add_u32 v99, 0x100000, v98, -1
	s_delay_alu instid0(VALU_DEP_3) | instskip(SKIP_1) | instid1(VALU_DEP_4)
	v_lshrrev_b32_e32 v100, v98, v96
	v_lshlrev_b32_e64 v102, v98, 0x80000
	v_add_nc_u32_e32 v98, v98, v87
	s_delay_alu instid0(VALU_DEP_4) | instskip(NEXT) | instid1(VALU_DEP_4)
	v_and_b32_e32 v96, v99, v96
	v_bfe_u32 v101, v100, 20, 1
	s_delay_alu instid0(VALU_DEP_2) | instskip(NEXT) | instid1(VALU_DEP_2)
	v_cmp_eq_u32_e64 s10, v96, v102
	v_add_nc_u32_e32 v99, -1, v101
	s_delay_alu instid0(VALU_DEP_1) | instskip(SKIP_2) | instid1(VALU_DEP_2)
	v_cndmask_b32_e64 v96, 0, v99, s10
	v_lshrrev_b32_e32 v99, 23, v100
	s_mov_b32 s10, exec_lo
	v_add_nc_u32_e32 v96, v96, v100
	s_delay_alu instid0(VALU_DEP_2) | instskip(NEXT) | instid1(VALU_DEP_2)
	v_xor_b32_e32 v99, 1, v99
	v_and_b32_e32 v87, 0xfffff, v96
	s_delay_alu instid0(VALU_DEP_1) | instskip(NEXT) | instid1(VALU_DEP_3)
	v_add_nc_u32_e32 v96, v87, v100
                                        ; implicit-def: $vgpr87
	v_cmpx_ne_u32_e64 v98, v99
	s_xor_b32 s10, exec_lo, s10
; %bb.2061:                             ;   in Loop: Header=BB2_2021 Depth=2
	s_delay_alu instid0(VALU_DEP_2) | instskip(SKIP_2) | instid1(VALU_DEP_2)
	v_cmp_lt_u32_e32 vcc_lo, 0xffffff, v96
	v_sub_nc_u32_e32 v87, v98, v99
	v_cndmask_b32_e64 v98, 0, 1, vcc_lo
	v_add_co_ci_u32_e32 v87, vcc_lo, 0, v87, vcc_lo
	s_delay_alu instid0(VALU_DEP_2)
	v_lshrrev_b32_e32 v96, v98, v96
; %bb.2062:                             ;   in Loop: Header=BB2_2021 Depth=2
	s_and_not1_saveexec_b32 s10, s10
; %bb.2063:                             ;   in Loop: Header=BB2_2021 Depth=2
	s_delay_alu instid0(VALU_DEP_1)
	v_bfe_u32 v87, v96, 23, 1
; %bb.2064:                             ;   in Loop: Header=BB2_2021 Depth=2
	s_or_b32 exec_lo, exec_lo, s10
	v_lshrrev_b32_e32 v96, 20, v96
	s_delay_alu instid0(VALU_DEP_2) | instskip(SKIP_2) | instid1(VALU_DEP_4)
	v_cmp_gt_i32_e32 vcc_lo, 16, v87
	v_lshrrev_b32_e32 v86, 24, v86
	v_min_i32_e32 v98, 15, v87
	v_cndmask_b32_e32 v96, 7, v96, vcc_lo
	s_delay_alu instid0(VALU_DEP_3) | instskip(NEXT) | instid1(VALU_DEP_3)
	v_and_b32_e32 v86, 0x80, v86
	v_lshlrev_b32_e32 v98, 3, v98
	s_delay_alu instid0(VALU_DEP_3) | instskip(SKIP_1) | instid1(VALU_DEP_2)
	v_and_b32_e32 v99, 7, v96
	v_or_b32_e32 v87, v87, v96
	v_or3_b32 v86, v98, v86, v99
	s_delay_alu instid0(VALU_DEP_2) | instskip(NEXT) | instid1(VALU_DEP_2)
	v_cmp_ne_u32_e32 vcc_lo, 0, v87
	v_cndmask_b32_e32 v103, 0, v86, vcc_lo
.LBB2_2065:                             ;   in Loop: Header=BB2_2021 Depth=2
	s_or_b32 exec_lo, exec_lo, s26
.LBB2_2066:                             ;   in Loop: Header=BB2_2021 Depth=2
	s_delay_alu instid0(SALU_CYCLE_1) | instskip(SKIP_3) | instid1(VALU_DEP_1)
	s_or_b32 exec_lo, exec_lo, s25
	v_lshrrev_b32_e32 v86, 24, v10
	s_mov_b32 s10, 0
	s_mov_b32 s26, exec_lo
                                        ; implicit-def: $sgpr25
	v_cmpx_lt_i16_e32 0x7f, v86
	s_xor_b32 s26, exec_lo, s26
	s_cbranch_execnz .LBB2_2488
; %bb.2067:                             ;   in Loop: Header=BB2_2021 Depth=2
	s_or_saveexec_b32 s26, s26
	v_mov_b32_e32 v87, s25
	s_xor_b32 exec_lo, exec_lo, s26
	s_cbranch_execnz .LBB2_2491
.LBB2_2068:                             ;   in Loop: Header=BB2_2021 Depth=2
	s_or_b32 exec_lo, exec_lo, s26
	s_and_saveexec_b32 s25, s10
	s_cbranch_execz .LBB2_2070
.LBB2_2069:                             ;   in Loop: Header=BB2_2021 Depth=2
	v_bfe_u32 v87, v10, 24, 3
	s_delay_alu instid0(VALU_DEP_1) | instskip(NEXT) | instid1(VALU_DEP_1)
	v_clz_i32_u32_e32 v96, v87
	v_min_u32_e32 v96, 32, v96
	s_delay_alu instid0(VALU_DEP_1) | instskip(SKIP_1) | instid1(VALU_DEP_2)
	v_subrev_nc_u32_e32 v98, 28, v96
	v_sub_nc_u32_e32 v96, 29, v96
	v_lshlrev_b32_e32 v86, v98, v86
	v_bfe_u32 v98, v10, 27, 4
	v_and_b32_e32 v10, 0x80000000, v10
	s_delay_alu instid0(VALU_DEP_3) | instskip(NEXT) | instid1(VALU_DEP_3)
	v_and_b32_e32 v86, 7, v86
	v_cmp_eq_u32_e32 vcc_lo, 0, v98
	v_cndmask_b32_e32 v96, v98, v96, vcc_lo
	s_delay_alu instid0(VALU_DEP_3) | instskip(NEXT) | instid1(VALU_DEP_2)
	v_cndmask_b32_e32 v86, v87, v86, vcc_lo
	v_lshl_add_u32 v87, v96, 23, 0x3b800000
	s_delay_alu instid0(VALU_DEP_2) | instskip(NEXT) | instid1(VALU_DEP_1)
	v_lshlrev_b32_e32 v86, 20, v86
	v_or3_b32 v87, v10, v87, v86
.LBB2_2070:                             ;   in Loop: Header=BB2_2021 Depth=2
	s_or_b32 exec_lo, exec_lo, s25
	s_delay_alu instid0(VALU_DEP_1) | instskip(SKIP_2) | instid1(VALU_DEP_2)
	v_mul_f32_e32 v10, s24, v87
	v_mov_b32_e32 v114, 0x80
	s_mov_b32 s25, exec_lo
	v_and_b32_e32 v86, 0x7f800000, v10
	s_delay_alu instid0(VALU_DEP_1)
	v_cmpx_ne_u32_e32 0x7f800000, v86
	s_cbranch_execz .LBB2_2078
; %bb.2071:                             ;   in Loop: Header=BB2_2021 Depth=2
	v_mov_b32_e32 v114, 0
	s_mov_b32 s26, exec_lo
	v_cmpx_ne_u32_e32 0, v10
	s_cbranch_execz .LBB2_2077
; %bb.2072:                             ;   in Loop: Header=BB2_2021 Depth=2
	v_bfe_u32 v86, v10, 23, 8
	s_delay_alu instid0(VALU_DEP_1) | instskip(SKIP_1) | instid1(VALU_DEP_2)
	v_sub_nc_u32_e32 v96, 0x78, v86
	v_cmp_gt_u32_e32 vcc_lo, 0x79, v86
	v_dual_cndmask_b32 v96, 0, v96 :: v_dual_and_b32 v87, 0x7fffff, v10
	s_delay_alu instid0(VALU_DEP_1) | instskip(SKIP_2) | instid1(VALU_DEP_4)
	v_or_b32_e32 v98, 0x800000, v87
	v_cmp_eq_u32_e32 vcc_lo, 0, v86
	v_add_nc_u32_e32 v86, 0xffffff89, v86
	v_cndmask_b32_e64 v96, v96, 0x77, vcc_lo
	s_delay_alu instid0(VALU_DEP_4) | instskip(NEXT) | instid1(VALU_DEP_3)
	v_cndmask_b32_e32 v87, v98, v87, vcc_lo
	v_cndmask_b32_e64 v86, v86, 0xffffff8a, vcc_lo
	s_delay_alu instid0(VALU_DEP_3) | instskip(NEXT) | instid1(VALU_DEP_3)
	v_lshl_add_u32 v98, 0x100000, v96, -1
	v_lshrrev_b32_e32 v99, v96, v87
	v_lshlrev_b32_e64 v101, v96, 0x80000
	s_delay_alu instid0(VALU_DEP_4) | instskip(NEXT) | instid1(VALU_DEP_4)
	v_add_nc_u32_e32 v96, v96, v86
	v_and_b32_e32 v87, v98, v87
	s_delay_alu instid0(VALU_DEP_4) | instskip(NEXT) | instid1(VALU_DEP_2)
	v_bfe_u32 v100, v99, 20, 1
	v_cmp_eq_u32_e64 s10, v87, v101
	s_delay_alu instid0(VALU_DEP_2) | instskip(NEXT) | instid1(VALU_DEP_1)
	v_add_nc_u32_e32 v98, -1, v100
	v_cndmask_b32_e64 v87, 0, v98, s10
	v_lshrrev_b32_e32 v98, 23, v99
	s_mov_b32 s10, exec_lo
	s_delay_alu instid0(VALU_DEP_2) | instskip(NEXT) | instid1(VALU_DEP_2)
	v_add_nc_u32_e32 v87, v87, v99
	v_xor_b32_e32 v98, 1, v98
	s_delay_alu instid0(VALU_DEP_2) | instskip(NEXT) | instid1(VALU_DEP_1)
	v_and_b32_e32 v86, 0xfffff, v87
	v_add_nc_u32_e32 v87, v86, v99
                                        ; implicit-def: $vgpr86
	s_delay_alu instid0(VALU_DEP_3)
	v_cmpx_ne_u32_e64 v96, v98
	s_xor_b32 s10, exec_lo, s10
; %bb.2073:                             ;   in Loop: Header=BB2_2021 Depth=2
	s_delay_alu instid0(VALU_DEP_2) | instskip(SKIP_2) | instid1(VALU_DEP_2)
	v_cmp_lt_u32_e32 vcc_lo, 0xffffff, v87
	v_sub_nc_u32_e32 v86, v96, v98
	v_cndmask_b32_e64 v96, 0, 1, vcc_lo
	v_add_co_ci_u32_e32 v86, vcc_lo, 0, v86, vcc_lo
	s_delay_alu instid0(VALU_DEP_2)
	v_lshrrev_b32_e32 v87, v96, v87
; %bb.2074:                             ;   in Loop: Header=BB2_2021 Depth=2
	s_and_not1_saveexec_b32 s10, s10
; %bb.2075:                             ;   in Loop: Header=BB2_2021 Depth=2
	s_delay_alu instid0(VALU_DEP_1)
	v_bfe_u32 v86, v87, 23, 1
; %bb.2076:                             ;   in Loop: Header=BB2_2021 Depth=2
	s_or_b32 exec_lo, exec_lo, s10
	v_lshrrev_b32_e32 v87, 20, v87
	s_delay_alu instid0(VALU_DEP_2) | instskip(SKIP_2) | instid1(VALU_DEP_2)
	v_cmp_gt_i32_e32 vcc_lo, 16, v86
	v_lshrrev_b32_e32 v10, 24, v10
	v_min_i32_e32 v96, 15, v86
	v_dual_cndmask_b32 v87, 7, v87 :: v_dual_and_b32 v10, 0x80, v10
	s_delay_alu instid0(VALU_DEP_2) | instskip(NEXT) | instid1(VALU_DEP_2)
	v_lshlrev_b32_e32 v96, 3, v96
	v_and_b32_e32 v98, 7, v87
	v_or_b32_e32 v86, v86, v87
	s_delay_alu instid0(VALU_DEP_2) | instskip(NEXT) | instid1(VALU_DEP_2)
	v_or3_b32 v10, v96, v10, v98
	v_cmp_ne_u32_e32 vcc_lo, 0, v86
	s_delay_alu instid0(VALU_DEP_2)
	v_cndmask_b32_e32 v114, 0, v10, vcc_lo
.LBB2_2077:                             ;   in Loop: Header=BB2_2021 Depth=2
	s_or_b32 exec_lo, exec_lo, s26
.LBB2_2078:                             ;   in Loop: Header=BB2_2021 Depth=2
	s_delay_alu instid0(SALU_CYCLE_1) | instskip(SKIP_3) | instid1(VALU_DEP_1)
	s_or_b32 exec_lo, exec_lo, s25
	v_and_b32_e32 v86, 0xff, v11
	s_mov_b32 s10, 0
	s_mov_b32 s26, exec_lo
                                        ; implicit-def: $sgpr25
	v_cmpx_lt_i16_e32 0x7f, v86
	s_xor_b32 s26, exec_lo, s26
	s_cbranch_execnz .LBB2_2492
; %bb.2079:                             ;   in Loop: Header=BB2_2021 Depth=2
	s_or_saveexec_b32 s26, s26
	v_mov_b32_e32 v10, s25
	s_xor_b32 exec_lo, exec_lo, s26
	s_cbranch_execnz .LBB2_2495
.LBB2_2080:                             ;   in Loop: Header=BB2_2021 Depth=2
	s_or_b32 exec_lo, exec_lo, s26
	s_and_saveexec_b32 s25, s10
	s_cbranch_execz .LBB2_2082
.LBB2_2081:                             ;   in Loop: Header=BB2_2021 Depth=2
	v_and_b32_e32 v10, 7, v11
	v_bfe_u32 v96, v11, 3, 4
	v_lshlrev_b32_e32 v98, 24, v11
	s_delay_alu instid0(VALU_DEP_3) | instskip(NEXT) | instid1(VALU_DEP_3)
	v_clz_i32_u32_e32 v86, v10
	v_cmp_eq_u32_e32 vcc_lo, 0, v96
	s_delay_alu instid0(VALU_DEP_2) | instskip(NEXT) | instid1(VALU_DEP_1)
	v_min_u32_e32 v86, 32, v86
	v_subrev_nc_u32_e32 v87, 28, v86
	v_sub_nc_u32_e32 v86, 29, v86
	s_delay_alu instid0(VALU_DEP_1) | instskip(NEXT) | instid1(VALU_DEP_1)
	v_dual_cndmask_b32 v86, v96, v86 :: v_dual_lshlrev_b32 v87, v87, v11
	v_and_b32_e32 v87, 7, v87
	s_delay_alu instid0(VALU_DEP_2) | instskip(NEXT) | instid1(VALU_DEP_2)
	v_lshl_add_u32 v86, v86, 23, 0x3b800000
	v_dual_cndmask_b32 v10, v10, v87 :: v_dual_and_b32 v87, 0x80000000, v98
	s_delay_alu instid0(VALU_DEP_1) | instskip(NEXT) | instid1(VALU_DEP_1)
	v_lshlrev_b32_e32 v10, 20, v10
	v_or3_b32 v10, v87, v86, v10
.LBB2_2082:                             ;   in Loop: Header=BB2_2021 Depth=2
	s_or_b32 exec_lo, exec_lo, s25
	s_delay_alu instid0(VALU_DEP_1) | instskip(SKIP_1) | instid1(VALU_DEP_1)
	v_dual_mul_f32 v10, s24, v10 :: v_dual_mov_b32 v113, 0x80
	s_mov_b32 s25, exec_lo
	v_and_b32_e32 v86, 0x7f800000, v10
	s_delay_alu instid0(VALU_DEP_1)
	v_cmpx_ne_u32_e32 0x7f800000, v86
	s_cbranch_execz .LBB2_2090
; %bb.2083:                             ;   in Loop: Header=BB2_2021 Depth=2
	v_mov_b32_e32 v113, 0
	s_mov_b32 s26, exec_lo
	v_cmpx_ne_u32_e32 0, v10
	s_cbranch_execz .LBB2_2089
; %bb.2084:                             ;   in Loop: Header=BB2_2021 Depth=2
	v_bfe_u32 v86, v10, 23, 8
	s_delay_alu instid0(VALU_DEP_1) | instskip(SKIP_1) | instid1(VALU_DEP_2)
	v_sub_nc_u32_e32 v96, 0x78, v86
	v_cmp_gt_u32_e32 vcc_lo, 0x79, v86
	v_dual_cndmask_b32 v96, 0, v96 :: v_dual_and_b32 v87, 0x7fffff, v10
	s_delay_alu instid0(VALU_DEP_1) | instskip(SKIP_2) | instid1(VALU_DEP_4)
	v_or_b32_e32 v98, 0x800000, v87
	v_cmp_eq_u32_e32 vcc_lo, 0, v86
	v_add_nc_u32_e32 v86, 0xffffff89, v86
	v_cndmask_b32_e64 v96, v96, 0x77, vcc_lo
	s_delay_alu instid0(VALU_DEP_4) | instskip(NEXT) | instid1(VALU_DEP_3)
	v_cndmask_b32_e32 v87, v98, v87, vcc_lo
	v_cndmask_b32_e64 v86, v86, 0xffffff8a, vcc_lo
	s_delay_alu instid0(VALU_DEP_3) | instskip(NEXT) | instid1(VALU_DEP_3)
	v_lshl_add_u32 v98, 0x100000, v96, -1
	v_lshrrev_b32_e32 v99, v96, v87
	v_lshlrev_b32_e64 v101, v96, 0x80000
	s_delay_alu instid0(VALU_DEP_4) | instskip(NEXT) | instid1(VALU_DEP_4)
	v_add_nc_u32_e32 v96, v96, v86
	v_and_b32_e32 v87, v98, v87
	s_delay_alu instid0(VALU_DEP_4) | instskip(NEXT) | instid1(VALU_DEP_2)
	v_bfe_u32 v100, v99, 20, 1
	v_cmp_eq_u32_e64 s10, v87, v101
	s_delay_alu instid0(VALU_DEP_2) | instskip(NEXT) | instid1(VALU_DEP_1)
	v_add_nc_u32_e32 v98, -1, v100
	v_cndmask_b32_e64 v87, 0, v98, s10
	v_lshrrev_b32_e32 v98, 23, v99
	s_mov_b32 s10, exec_lo
	s_delay_alu instid0(VALU_DEP_2) | instskip(NEXT) | instid1(VALU_DEP_2)
	v_add_nc_u32_e32 v87, v87, v99
	v_xor_b32_e32 v98, 1, v98
	s_delay_alu instid0(VALU_DEP_2) | instskip(NEXT) | instid1(VALU_DEP_1)
	v_and_b32_e32 v86, 0xfffff, v87
	v_add_nc_u32_e32 v87, v86, v99
                                        ; implicit-def: $vgpr86
	s_delay_alu instid0(VALU_DEP_3)
	v_cmpx_ne_u32_e64 v96, v98
	s_xor_b32 s10, exec_lo, s10
; %bb.2085:                             ;   in Loop: Header=BB2_2021 Depth=2
	s_delay_alu instid0(VALU_DEP_2) | instskip(SKIP_2) | instid1(VALU_DEP_2)
	v_cmp_lt_u32_e32 vcc_lo, 0xffffff, v87
	v_sub_nc_u32_e32 v86, v96, v98
	v_cndmask_b32_e64 v96, 0, 1, vcc_lo
	v_add_co_ci_u32_e32 v86, vcc_lo, 0, v86, vcc_lo
	s_delay_alu instid0(VALU_DEP_2)
	v_lshrrev_b32_e32 v87, v96, v87
; %bb.2086:                             ;   in Loop: Header=BB2_2021 Depth=2
	s_and_not1_saveexec_b32 s10, s10
; %bb.2087:                             ;   in Loop: Header=BB2_2021 Depth=2
	s_delay_alu instid0(VALU_DEP_1)
	v_bfe_u32 v86, v87, 23, 1
; %bb.2088:                             ;   in Loop: Header=BB2_2021 Depth=2
	s_or_b32 exec_lo, exec_lo, s10
	v_lshrrev_b32_e32 v87, 20, v87
	s_delay_alu instid0(VALU_DEP_2) | instskip(SKIP_2) | instid1(VALU_DEP_2)
	v_cmp_gt_i32_e32 vcc_lo, 16, v86
	v_min_i32_e32 v96, 15, v86
	v_lshrrev_b32_e32 v10, 24, v10
	v_dual_cndmask_b32 v87, 7, v87 :: v_dual_lshlrev_b32 v96, 3, v96
	s_delay_alu instid0(VALU_DEP_2) | instskip(NEXT) | instid1(VALU_DEP_2)
	v_and_b32_e32 v10, 0x80, v10
	v_or_b32_e32 v86, v86, v87
	s_delay_alu instid0(VALU_DEP_3) | instskip(NEXT) | instid1(VALU_DEP_2)
	v_and_b32_e32 v96, 0xf8, v96
	v_cmp_ne_u32_e32 vcc_lo, 0, v86
	v_and_b32_e32 v98, 7, v87
	s_delay_alu instid0(VALU_DEP_1) | instskip(NEXT) | instid1(VALU_DEP_1)
	v_or3_b32 v10, v96, v10, v98
	v_cndmask_b32_e32 v113, 0, v10, vcc_lo
.LBB2_2089:                             ;   in Loop: Header=BB2_2021 Depth=2
	s_or_b32 exec_lo, exec_lo, s26
.LBB2_2090:                             ;   in Loop: Header=BB2_2021 Depth=2
	s_delay_alu instid0(SALU_CYCLE_1) | instskip(SKIP_3) | instid1(VALU_DEP_1)
	s_or_b32 exec_lo, exec_lo, s25
	v_lshrrev_b16 v10, 8, v11
	s_mov_b32 s10, 0
	s_mov_b32 s26, exec_lo
                                        ; implicit-def: $sgpr25
	v_cmpx_lt_i16_e32 0x7f, v10
	s_xor_b32 s26, exec_lo, s26
	s_cbranch_execnz .LBB2_2496
; %bb.2091:                             ;   in Loop: Header=BB2_2021 Depth=2
	s_or_saveexec_b32 s26, s26
	v_mov_b32_e32 v86, s25
	s_xor_b32 exec_lo, exec_lo, s26
	s_cbranch_execnz .LBB2_2499
.LBB2_2092:                             ;   in Loop: Header=BB2_2021 Depth=2
	s_or_b32 exec_lo, exec_lo, s26
	s_and_saveexec_b32 s25, s10
	s_cbranch_execz .LBB2_2094
.LBB2_2093:                             ;   in Loop: Header=BB2_2021 Depth=2
	v_and_b32_e32 v86, 0xffff, v10
	v_lshlrev_b32_e32 v10, 24, v10
	s_delay_alu instid0(VALU_DEP_2) | instskip(NEXT) | instid1(VALU_DEP_2)
	v_and_b32_e32 v87, 7, v86
	v_and_b32_e32 v10, 0x80000000, v10
	s_delay_alu instid0(VALU_DEP_2) | instskip(NEXT) | instid1(VALU_DEP_1)
	v_clz_i32_u32_e32 v96, v87
	v_min_u32_e32 v96, 32, v96
	s_delay_alu instid0(VALU_DEP_1) | instskip(SKIP_1) | instid1(VALU_DEP_2)
	v_subrev_nc_u32_e32 v98, 28, v96
	v_sub_nc_u32_e32 v96, 29, v96
	v_lshlrev_b32_e32 v98, v98, v86
	v_bfe_u32 v86, v86, 3, 4
	s_delay_alu instid0(VALU_DEP_2) | instskip(NEXT) | instid1(VALU_DEP_2)
	v_and_b32_e32 v98, 7, v98
	v_cmp_eq_u32_e32 vcc_lo, 0, v86
	s_delay_alu instid0(VALU_DEP_2) | instskip(NEXT) | instid1(VALU_DEP_1)
	v_dual_cndmask_b32 v86, v86, v96 :: v_dual_cndmask_b32 v87, v87, v98
	v_lshl_add_u32 v86, v86, 23, 0x3b800000
	s_delay_alu instid0(VALU_DEP_2) | instskip(NEXT) | instid1(VALU_DEP_1)
	v_lshlrev_b32_e32 v87, 20, v87
	v_or3_b32 v86, v10, v86, v87
.LBB2_2094:                             ;   in Loop: Header=BB2_2021 Depth=2
	s_or_b32 exec_lo, exec_lo, s25
	s_delay_alu instid0(VALU_DEP_1) | instskip(SKIP_2) | instid1(VALU_DEP_2)
	v_mul_f32_e32 v10, s24, v86
	v_mov_b32_e32 v116, 0x8000
	s_mov_b32 s25, exec_lo
	v_and_b32_e32 v86, 0x7f800000, v10
	s_delay_alu instid0(VALU_DEP_1)
	v_cmpx_ne_u32_e32 0x7f800000, v86
	s_cbranch_execz .LBB2_2102
; %bb.2095:                             ;   in Loop: Header=BB2_2021 Depth=2
	v_mov_b32_e32 v116, 0
	s_mov_b32 s26, exec_lo
	v_cmpx_ne_u32_e32 0, v10
	s_cbranch_execz .LBB2_2101
; %bb.2096:                             ;   in Loop: Header=BB2_2021 Depth=2
	v_bfe_u32 v86, v10, 23, 8
	s_delay_alu instid0(VALU_DEP_1) | instskip(SKIP_1) | instid1(VALU_DEP_2)
	v_sub_nc_u32_e32 v96, 0x78, v86
	v_cmp_gt_u32_e32 vcc_lo, 0x79, v86
	v_dual_cndmask_b32 v96, 0, v96 :: v_dual_and_b32 v87, 0x7fffff, v10
	s_delay_alu instid0(VALU_DEP_1) | instskip(SKIP_2) | instid1(VALU_DEP_4)
	v_or_b32_e32 v98, 0x800000, v87
	v_cmp_eq_u32_e32 vcc_lo, 0, v86
	v_add_nc_u32_e32 v86, 0xffffff89, v86
	v_cndmask_b32_e64 v96, v96, 0x77, vcc_lo
	s_delay_alu instid0(VALU_DEP_4) | instskip(NEXT) | instid1(VALU_DEP_3)
	v_cndmask_b32_e32 v87, v98, v87, vcc_lo
	v_cndmask_b32_e64 v86, v86, 0xffffff8a, vcc_lo
	s_delay_alu instid0(VALU_DEP_3) | instskip(NEXT) | instid1(VALU_DEP_3)
	v_lshl_add_u32 v98, 0x100000, v96, -1
	v_lshrrev_b32_e32 v99, v96, v87
	v_lshlrev_b32_e64 v101, v96, 0x80000
	s_delay_alu instid0(VALU_DEP_4) | instskip(NEXT) | instid1(VALU_DEP_4)
	v_add_nc_u32_e32 v96, v96, v86
	v_and_b32_e32 v87, v98, v87
	s_delay_alu instid0(VALU_DEP_4) | instskip(NEXT) | instid1(VALU_DEP_2)
	v_bfe_u32 v100, v99, 20, 1
	v_cmp_eq_u32_e64 s10, v87, v101
	s_delay_alu instid0(VALU_DEP_2) | instskip(NEXT) | instid1(VALU_DEP_1)
	v_add_nc_u32_e32 v98, -1, v100
	v_cndmask_b32_e64 v87, 0, v98, s10
	v_lshrrev_b32_e32 v98, 23, v99
	s_mov_b32 s10, exec_lo
	s_delay_alu instid0(VALU_DEP_2) | instskip(NEXT) | instid1(VALU_DEP_2)
	v_add_nc_u32_e32 v87, v87, v99
	v_xor_b32_e32 v98, 1, v98
	s_delay_alu instid0(VALU_DEP_2) | instskip(NEXT) | instid1(VALU_DEP_1)
	v_and_b32_e32 v86, 0xfffff, v87
	v_add_nc_u32_e32 v87, v86, v99
                                        ; implicit-def: $vgpr86
	s_delay_alu instid0(VALU_DEP_3)
	v_cmpx_ne_u32_e64 v96, v98
	s_xor_b32 s10, exec_lo, s10
; %bb.2097:                             ;   in Loop: Header=BB2_2021 Depth=2
	s_delay_alu instid0(VALU_DEP_2) | instskip(SKIP_2) | instid1(VALU_DEP_2)
	v_cmp_lt_u32_e32 vcc_lo, 0xffffff, v87
	v_sub_nc_u32_e32 v86, v96, v98
	v_cndmask_b32_e64 v96, 0, 1, vcc_lo
	v_add_co_ci_u32_e32 v86, vcc_lo, 0, v86, vcc_lo
	s_delay_alu instid0(VALU_DEP_2)
	v_lshrrev_b32_e32 v87, v96, v87
; %bb.2098:                             ;   in Loop: Header=BB2_2021 Depth=2
	s_and_not1_saveexec_b32 s10, s10
; %bb.2099:                             ;   in Loop: Header=BB2_2021 Depth=2
	s_delay_alu instid0(VALU_DEP_1)
	v_bfe_u32 v86, v87, 23, 1
; %bb.2100:                             ;   in Loop: Header=BB2_2021 Depth=2
	s_or_b32 exec_lo, exec_lo, s10
	v_lshrrev_b32_e32 v87, 20, v87
	s_delay_alu instid0(VALU_DEP_2) | instskip(SKIP_2) | instid1(VALU_DEP_3)
	v_min_i32_e32 v96, 15, v86
	v_cmp_gt_i32_e32 vcc_lo, 16, v86
	v_lshrrev_b32_e32 v10, 24, v10
	v_dual_cndmask_b32 v87, 7, v87 :: v_dual_lshlrev_b32 v96, 3, v96
	s_delay_alu instid0(VALU_DEP_2) | instskip(NEXT) | instid1(VALU_DEP_2)
	v_and_b32_e32 v10, 0x80, v10
	v_and_b32_e32 v96, 0xf8, v96
	s_delay_alu instid0(VALU_DEP_3) | instskip(SKIP_1) | instid1(VALU_DEP_2)
	v_and_b32_e32 v98, 7, v87
	v_or_b32_e32 v86, v86, v87
	v_or3_b32 v10, v10, v96, v98
	s_delay_alu instid0(VALU_DEP_2) | instskip(NEXT) | instid1(VALU_DEP_2)
	v_cmp_ne_u32_e32 vcc_lo, 0, v86
	v_lshlrev_b32_e32 v10, 8, v10
	s_delay_alu instid0(VALU_DEP_1)
	v_cndmask_b32_e32 v116, 0, v10, vcc_lo
.LBB2_2101:                             ;   in Loop: Header=BB2_2021 Depth=2
	s_or_b32 exec_lo, exec_lo, s26
.LBB2_2102:                             ;   in Loop: Header=BB2_2021 Depth=2
	s_delay_alu instid0(SALU_CYCLE_1) | instskip(SKIP_3) | instid1(VALU_DEP_1)
	s_or_b32 exec_lo, exec_lo, s25
	v_lshrrev_b32_e32 v10, 16, v11
	s_mov_b32 s10, 0
	s_mov_b32 s26, exec_lo
                                        ; implicit-def: $sgpr25
	v_and_b32_e32 v87, 0xff, v10
	s_delay_alu instid0(VALU_DEP_1)
	v_cmpx_lt_i16_e32 0x7f, v87
	s_xor_b32 s26, exec_lo, s26
	s_cbranch_execnz .LBB2_2500
; %bb.2103:                             ;   in Loop: Header=BB2_2021 Depth=2
	s_or_saveexec_b32 s26, s26
	v_mov_b32_e32 v86, s25
	s_xor_b32 exec_lo, exec_lo, s26
	s_cbranch_execnz .LBB2_2503
.LBB2_2104:                             ;   in Loop: Header=BB2_2021 Depth=2
	s_or_b32 exec_lo, exec_lo, s26
	s_and_saveexec_b32 s25, s10
	s_cbranch_execz .LBB2_2106
.LBB2_2105:                             ;   in Loop: Header=BB2_2021 Depth=2
	v_bfe_u32 v86, v11, 16, 3
	v_lshlrev_b32_e32 v98, 8, v11
	s_delay_alu instid0(VALU_DEP_2) | instskip(NEXT) | instid1(VALU_DEP_1)
	v_clz_i32_u32_e32 v87, v86
	v_min_u32_e32 v87, 32, v87
	s_delay_alu instid0(VALU_DEP_1) | instskip(SKIP_1) | instid1(VALU_DEP_2)
	v_subrev_nc_u32_e32 v96, 28, v87
	v_sub_nc_u32_e32 v87, 29, v87
	v_lshlrev_b32_e32 v10, v96, v10
	v_bfe_u32 v96, v11, 19, 4
	s_delay_alu instid0(VALU_DEP_1) | instskip(NEXT) | instid1(VALU_DEP_3)
	v_cmp_eq_u32_e32 vcc_lo, 0, v96
	v_dual_cndmask_b32 v87, v96, v87 :: v_dual_and_b32 v10, 7, v10
	s_delay_alu instid0(VALU_DEP_1) | instskip(SKIP_1) | instid1(VALU_DEP_3)
	v_cndmask_b32_e32 v10, v86, v10, vcc_lo
	v_and_b32_e32 v86, 0x80000000, v98
	v_lshl_add_u32 v87, v87, 23, 0x3b800000
	s_delay_alu instid0(VALU_DEP_3) | instskip(NEXT) | instid1(VALU_DEP_1)
	v_lshlrev_b32_e32 v10, 20, v10
	v_or3_b32 v86, v86, v87, v10
.LBB2_2106:                             ;   in Loop: Header=BB2_2021 Depth=2
	s_or_b32 exec_lo, exec_lo, s25
	s_delay_alu instid0(VALU_DEP_1) | instskip(SKIP_2) | instid1(VALU_DEP_2)
	v_mul_f32_e32 v10, s24, v86
	v_mov_b32_e32 v112, 0x80
	s_mov_b32 s25, exec_lo
	v_and_b32_e32 v86, 0x7f800000, v10
	s_delay_alu instid0(VALU_DEP_1)
	v_cmpx_ne_u32_e32 0x7f800000, v86
	s_cbranch_execz .LBB2_2114
; %bb.2107:                             ;   in Loop: Header=BB2_2021 Depth=2
	v_mov_b32_e32 v112, 0
	s_mov_b32 s26, exec_lo
	v_cmpx_ne_u32_e32 0, v10
	s_cbranch_execz .LBB2_2113
; %bb.2108:                             ;   in Loop: Header=BB2_2021 Depth=2
	v_bfe_u32 v86, v10, 23, 8
	s_delay_alu instid0(VALU_DEP_1) | instskip(SKIP_1) | instid1(VALU_DEP_2)
	v_sub_nc_u32_e32 v96, 0x78, v86
	v_cmp_gt_u32_e32 vcc_lo, 0x79, v86
	v_dual_cndmask_b32 v96, 0, v96 :: v_dual_and_b32 v87, 0x7fffff, v10
	s_delay_alu instid0(VALU_DEP_1) | instskip(SKIP_2) | instid1(VALU_DEP_4)
	v_or_b32_e32 v98, 0x800000, v87
	v_cmp_eq_u32_e32 vcc_lo, 0, v86
	v_add_nc_u32_e32 v86, 0xffffff89, v86
	v_cndmask_b32_e64 v96, v96, 0x77, vcc_lo
	s_delay_alu instid0(VALU_DEP_4) | instskip(NEXT) | instid1(VALU_DEP_3)
	v_cndmask_b32_e32 v87, v98, v87, vcc_lo
	v_cndmask_b32_e64 v86, v86, 0xffffff8a, vcc_lo
	s_delay_alu instid0(VALU_DEP_3) | instskip(NEXT) | instid1(VALU_DEP_3)
	v_lshl_add_u32 v98, 0x100000, v96, -1
	v_lshrrev_b32_e32 v99, v96, v87
	v_lshlrev_b32_e64 v101, v96, 0x80000
	s_delay_alu instid0(VALU_DEP_4) | instskip(NEXT) | instid1(VALU_DEP_4)
	v_add_nc_u32_e32 v96, v96, v86
	v_and_b32_e32 v87, v98, v87
	s_delay_alu instid0(VALU_DEP_4) | instskip(NEXT) | instid1(VALU_DEP_2)
	v_bfe_u32 v100, v99, 20, 1
	v_cmp_eq_u32_e64 s10, v87, v101
	s_delay_alu instid0(VALU_DEP_2) | instskip(NEXT) | instid1(VALU_DEP_1)
	v_add_nc_u32_e32 v98, -1, v100
	v_cndmask_b32_e64 v87, 0, v98, s10
	v_lshrrev_b32_e32 v98, 23, v99
	s_mov_b32 s10, exec_lo
	s_delay_alu instid0(VALU_DEP_2) | instskip(NEXT) | instid1(VALU_DEP_2)
	v_add_nc_u32_e32 v87, v87, v99
	v_xor_b32_e32 v98, 1, v98
	s_delay_alu instid0(VALU_DEP_2) | instskip(NEXT) | instid1(VALU_DEP_1)
	v_and_b32_e32 v86, 0xfffff, v87
	v_add_nc_u32_e32 v87, v86, v99
                                        ; implicit-def: $vgpr86
	s_delay_alu instid0(VALU_DEP_3)
	v_cmpx_ne_u32_e64 v96, v98
	s_xor_b32 s10, exec_lo, s10
; %bb.2109:                             ;   in Loop: Header=BB2_2021 Depth=2
	s_delay_alu instid0(VALU_DEP_2) | instskip(SKIP_2) | instid1(VALU_DEP_2)
	v_cmp_lt_u32_e32 vcc_lo, 0xffffff, v87
	v_sub_nc_u32_e32 v86, v96, v98
	v_cndmask_b32_e64 v96, 0, 1, vcc_lo
	v_add_co_ci_u32_e32 v86, vcc_lo, 0, v86, vcc_lo
	s_delay_alu instid0(VALU_DEP_2)
	v_lshrrev_b32_e32 v87, v96, v87
; %bb.2110:                             ;   in Loop: Header=BB2_2021 Depth=2
	s_and_not1_saveexec_b32 s10, s10
; %bb.2111:                             ;   in Loop: Header=BB2_2021 Depth=2
	s_delay_alu instid0(VALU_DEP_1)
	v_bfe_u32 v86, v87, 23, 1
; %bb.2112:                             ;   in Loop: Header=BB2_2021 Depth=2
	s_or_b32 exec_lo, exec_lo, s10
	v_lshrrev_b32_e32 v87, 20, v87
	s_delay_alu instid0(VALU_DEP_2) | instskip(SKIP_2) | instid1(VALU_DEP_3)
	v_min_i32_e32 v96, 15, v86
	v_cmp_gt_i32_e32 vcc_lo, 16, v86
	v_lshrrev_b32_e32 v10, 24, v10
	v_dual_cndmask_b32 v87, 7, v87 :: v_dual_lshlrev_b32 v96, 3, v96
	s_delay_alu instid0(VALU_DEP_2) | instskip(NEXT) | instid1(VALU_DEP_2)
	v_and_b32_e32 v10, 0x80, v10
	v_and_b32_e32 v96, 0xf8, v96
	s_delay_alu instid0(VALU_DEP_3) | instskip(SKIP_1) | instid1(VALU_DEP_2)
	v_and_b32_e32 v98, 7, v87
	v_or_b32_e32 v86, v86, v87
	v_or3_b32 v10, v96, v10, v98
	s_delay_alu instid0(VALU_DEP_2) | instskip(NEXT) | instid1(VALU_DEP_2)
	v_cmp_ne_u32_e32 vcc_lo, 0, v86
	v_cndmask_b32_e32 v112, 0, v10, vcc_lo
.LBB2_2113:                             ;   in Loop: Header=BB2_2021 Depth=2
	s_or_b32 exec_lo, exec_lo, s26
.LBB2_2114:                             ;   in Loop: Header=BB2_2021 Depth=2
	s_delay_alu instid0(SALU_CYCLE_1) | instskip(SKIP_3) | instid1(VALU_DEP_1)
	s_or_b32 exec_lo, exec_lo, s25
	v_lshrrev_b32_e32 v10, 24, v11
	s_mov_b32 s10, 0
	s_mov_b32 s26, exec_lo
                                        ; implicit-def: $sgpr25
	v_cmpx_lt_i16_e32 0x7f, v10
	s_xor_b32 s26, exec_lo, s26
	s_cbranch_execnz .LBB2_2504
; %bb.2115:                             ;   in Loop: Header=BB2_2021 Depth=2
	s_or_saveexec_b32 s26, s26
	v_mov_b32_e32 v86, s25
	s_xor_b32 exec_lo, exec_lo, s26
	s_cbranch_execnz .LBB2_2507
.LBB2_2116:                             ;   in Loop: Header=BB2_2021 Depth=2
	s_or_b32 exec_lo, exec_lo, s26
	s_and_saveexec_b32 s25, s10
	s_cbranch_execz .LBB2_2118
.LBB2_2117:                             ;   in Loop: Header=BB2_2021 Depth=2
	v_bfe_u32 v86, v11, 24, 3
	s_delay_alu instid0(VALU_DEP_1) | instskip(NEXT) | instid1(VALU_DEP_1)
	v_clz_i32_u32_e32 v87, v86
	v_min_u32_e32 v87, 32, v87
	s_delay_alu instid0(VALU_DEP_1) | instskip(SKIP_1) | instid1(VALU_DEP_2)
	v_subrev_nc_u32_e32 v96, 28, v87
	v_sub_nc_u32_e32 v87, 29, v87
	v_lshlrev_b32_e32 v10, v96, v10
	v_bfe_u32 v96, v11, 27, 4
	v_and_b32_e32 v11, 0x80000000, v11
	s_delay_alu instid0(VALU_DEP_2) | instskip(NEXT) | instid1(VALU_DEP_4)
	v_cmp_eq_u32_e32 vcc_lo, 0, v96
	v_dual_cndmask_b32 v87, v96, v87 :: v_dual_and_b32 v10, 7, v10
	s_delay_alu instid0(VALU_DEP_1) | instskip(NEXT) | instid1(VALU_DEP_2)
	v_cndmask_b32_e32 v10, v86, v10, vcc_lo
	v_lshl_add_u32 v86, v87, 23, 0x3b800000
	s_delay_alu instid0(VALU_DEP_2) | instskip(NEXT) | instid1(VALU_DEP_1)
	v_lshlrev_b32_e32 v10, 20, v10
	v_or3_b32 v86, v11, v86, v10
.LBB2_2118:                             ;   in Loop: Header=BB2_2021 Depth=2
	s_or_b32 exec_lo, exec_lo, s25
	s_delay_alu instid0(VALU_DEP_1) | instskip(SKIP_1) | instid1(VALU_DEP_1)
	v_dual_mul_f32 v10, s24, v86 :: v_dual_mov_b32 v115, 0x8000
	s_mov_b32 s25, exec_lo
	v_and_b32_e32 v11, 0x7f800000, v10
	s_delay_alu instid0(VALU_DEP_1)
	v_cmpx_ne_u32_e32 0x7f800000, v11
	s_cbranch_execz .LBB2_2126
; %bb.2119:                             ;   in Loop: Header=BB2_2021 Depth=2
	v_mov_b32_e32 v115, 0
	s_mov_b32 s26, exec_lo
	v_cmpx_ne_u32_e32 0, v10
	s_cbranch_execz .LBB2_2125
; %bb.2120:                             ;   in Loop: Header=BB2_2021 Depth=2
	v_bfe_u32 v11, v10, 23, 8
	s_delay_alu instid0(VALU_DEP_1) | instskip(SKIP_1) | instid1(VALU_DEP_2)
	v_sub_nc_u32_e32 v87, 0x78, v11
	v_cmp_gt_u32_e32 vcc_lo, 0x79, v11
	v_dual_cndmask_b32 v87, 0, v87 :: v_dual_and_b32 v86, 0x7fffff, v10
	s_delay_alu instid0(VALU_DEP_1) | instskip(SKIP_2) | instid1(VALU_DEP_4)
	v_or_b32_e32 v96, 0x800000, v86
	v_cmp_eq_u32_e32 vcc_lo, 0, v11
	v_add_nc_u32_e32 v11, 0xffffff89, v11
	v_cndmask_b32_e64 v87, v87, 0x77, vcc_lo
	s_delay_alu instid0(VALU_DEP_4) | instskip(NEXT) | instid1(VALU_DEP_3)
	v_cndmask_b32_e32 v86, v96, v86, vcc_lo
	v_cndmask_b32_e64 v11, v11, 0xffffff8a, vcc_lo
	s_delay_alu instid0(VALU_DEP_3) | instskip(NEXT) | instid1(VALU_DEP_3)
	v_lshl_add_u32 v96, 0x100000, v87, -1
	v_lshrrev_b32_e32 v98, v87, v86
	v_lshlrev_b32_e64 v100, v87, 0x80000
	s_delay_alu instid0(VALU_DEP_4) | instskip(NEXT) | instid1(VALU_DEP_4)
	v_add_nc_u32_e32 v87, v87, v11
	v_and_b32_e32 v86, v96, v86
	s_delay_alu instid0(VALU_DEP_4) | instskip(NEXT) | instid1(VALU_DEP_2)
	v_bfe_u32 v99, v98, 20, 1
	v_cmp_eq_u32_e64 s10, v86, v100
	s_delay_alu instid0(VALU_DEP_2) | instskip(NEXT) | instid1(VALU_DEP_1)
	v_add_nc_u32_e32 v96, -1, v99
	v_cndmask_b32_e64 v86, 0, v96, s10
	v_lshrrev_b32_e32 v96, 23, v98
	s_mov_b32 s10, exec_lo
	s_delay_alu instid0(VALU_DEP_2) | instskip(NEXT) | instid1(VALU_DEP_2)
	v_add_nc_u32_e32 v86, v86, v98
	v_xor_b32_e32 v96, 1, v96
	s_delay_alu instid0(VALU_DEP_2) | instskip(NEXT) | instid1(VALU_DEP_1)
	v_and_b32_e32 v11, 0xfffff, v86
	v_add_nc_u32_e32 v86, v11, v98
                                        ; implicit-def: $vgpr11
	s_delay_alu instid0(VALU_DEP_3)
	v_cmpx_ne_u32_e64 v87, v96
	s_xor_b32 s10, exec_lo, s10
; %bb.2121:                             ;   in Loop: Header=BB2_2021 Depth=2
	s_delay_alu instid0(VALU_DEP_2) | instskip(SKIP_2) | instid1(VALU_DEP_2)
	v_cmp_lt_u32_e32 vcc_lo, 0xffffff, v86
	v_sub_nc_u32_e32 v11, v87, v96
	v_cndmask_b32_e64 v87, 0, 1, vcc_lo
	v_add_co_ci_u32_e32 v11, vcc_lo, 0, v11, vcc_lo
	s_delay_alu instid0(VALU_DEP_2)
	v_lshrrev_b32_e32 v86, v87, v86
; %bb.2122:                             ;   in Loop: Header=BB2_2021 Depth=2
	s_and_not1_saveexec_b32 s10, s10
; %bb.2123:                             ;   in Loop: Header=BB2_2021 Depth=2
	s_delay_alu instid0(VALU_DEP_1)
	v_bfe_u32 v11, v86, 23, 1
; %bb.2124:                             ;   in Loop: Header=BB2_2021 Depth=2
	s_or_b32 exec_lo, exec_lo, s10
	v_lshrrev_b32_e32 v86, 20, v86
	s_delay_alu instid0(VALU_DEP_2) | instskip(SKIP_2) | instid1(VALU_DEP_3)
	v_min_i32_e32 v87, 15, v11
	v_cmp_gt_i32_e32 vcc_lo, 16, v11
	v_lshrrev_b32_e32 v10, 24, v10
	v_dual_cndmask_b32 v86, 7, v86 :: v_dual_lshlrev_b32 v87, 3, v87
	s_delay_alu instid0(VALU_DEP_2) | instskip(NEXT) | instid1(VALU_DEP_2)
	v_and_b32_e32 v10, 0x80, v10
	v_and_b32_e32 v87, 0xf8, v87
	s_delay_alu instid0(VALU_DEP_3) | instskip(SKIP_1) | instid1(VALU_DEP_2)
	v_and_b32_e32 v96, 7, v86
	v_or_b32_e32 v11, v11, v86
	v_or3_b32 v10, v10, v87, v96
	s_delay_alu instid0(VALU_DEP_2) | instskip(NEXT) | instid1(VALU_DEP_2)
	v_cmp_ne_u32_e32 vcc_lo, 0, v11
	v_lshlrev_b32_e32 v10, 8, v10
	s_delay_alu instid0(VALU_DEP_1)
	v_cndmask_b32_e32 v115, 0, v10, vcc_lo
.LBB2_2125:                             ;   in Loop: Header=BB2_2021 Depth=2
	s_or_b32 exec_lo, exec_lo, s26
.LBB2_2126:                             ;   in Loop: Header=BB2_2021 Depth=2
	s_delay_alu instid0(SALU_CYCLE_1) | instskip(SKIP_3) | instid1(VALU_DEP_1)
	s_or_b32 exec_lo, exec_lo, s25
	v_and_b32_e32 v11, 0xff, v12
	s_mov_b32 s10, 0
	s_mov_b32 s26, exec_lo
                                        ; implicit-def: $sgpr25
	v_cmpx_lt_i16_e32 0x7f, v11
	s_xor_b32 s26, exec_lo, s26
	s_cbranch_execnz .LBB2_2508
; %bb.2127:                             ;   in Loop: Header=BB2_2021 Depth=2
	s_or_saveexec_b32 s26, s26
	v_mov_b32_e32 v10, s25
	s_xor_b32 exec_lo, exec_lo, s26
	s_cbranch_execnz .LBB2_2511
.LBB2_2128:                             ;   in Loop: Header=BB2_2021 Depth=2
	s_or_b32 exec_lo, exec_lo, s26
	s_and_saveexec_b32 s25, s10
	s_cbranch_execz .LBB2_2130
.LBB2_2129:                             ;   in Loop: Header=BB2_2021 Depth=2
	v_bfe_u32 v87, v12, 3, 4
	v_lshlrev_b32_e32 v96, 24, v12
	s_delay_alu instid0(VALU_DEP_2) | instskip(SKIP_1) | instid1(VALU_DEP_1)
	v_cmp_eq_u32_e32 vcc_lo, 0, v87
	v_and_b32_e32 v10, 7, v12
	v_clz_i32_u32_e32 v11, v10
	s_delay_alu instid0(VALU_DEP_1) | instskip(NEXT) | instid1(VALU_DEP_1)
	v_min_u32_e32 v11, 32, v11
	v_subrev_nc_u32_e32 v86, 28, v11
	v_sub_nc_u32_e32 v11, 29, v11
	s_delay_alu instid0(VALU_DEP_1) | instskip(NEXT) | instid1(VALU_DEP_1)
	v_dual_cndmask_b32 v11, v87, v11 :: v_dual_lshlrev_b32 v86, v86, v12
	v_and_b32_e32 v86, 7, v86
	s_delay_alu instid0(VALU_DEP_2) | instskip(NEXT) | instid1(VALU_DEP_2)
	v_lshl_add_u32 v11, v11, 23, 0x3b800000
	v_cndmask_b32_e32 v10, v10, v86, vcc_lo
	v_and_b32_e32 v86, 0x80000000, v96
	s_delay_alu instid0(VALU_DEP_2) | instskip(NEXT) | instid1(VALU_DEP_1)
	v_lshlrev_b32_e32 v10, 20, v10
	v_or3_b32 v10, v86, v11, v10
.LBB2_2130:                             ;   in Loop: Header=BB2_2021 Depth=2
	s_or_b32 exec_lo, exec_lo, s25
	s_delay_alu instid0(VALU_DEP_1) | instskip(SKIP_2) | instid1(VALU_DEP_2)
	v_mul_f32_e32 v10, s24, v10
	v_mov_b32_e32 v102, 0x80
	s_mov_b32 s25, exec_lo
	v_and_b32_e32 v11, 0x7f800000, v10
	s_delay_alu instid0(VALU_DEP_1)
	v_cmpx_ne_u32_e32 0x7f800000, v11
	s_cbranch_execz .LBB2_2138
; %bb.2131:                             ;   in Loop: Header=BB2_2021 Depth=2
	v_mov_b32_e32 v102, 0
	s_mov_b32 s26, exec_lo
	v_cmpx_ne_u32_e32 0, v10
	s_cbranch_execz .LBB2_2137
; %bb.2132:                             ;   in Loop: Header=BB2_2021 Depth=2
	v_bfe_u32 v11, v10, 23, 8
	s_delay_alu instid0(VALU_DEP_1) | instskip(SKIP_1) | instid1(VALU_DEP_2)
	v_sub_nc_u32_e32 v87, 0x78, v11
	v_cmp_gt_u32_e32 vcc_lo, 0x79, v11
	v_dual_cndmask_b32 v87, 0, v87 :: v_dual_and_b32 v86, 0x7fffff, v10
	s_delay_alu instid0(VALU_DEP_1) | instskip(SKIP_2) | instid1(VALU_DEP_4)
	v_or_b32_e32 v96, 0x800000, v86
	v_cmp_eq_u32_e32 vcc_lo, 0, v11
	v_add_nc_u32_e32 v11, 0xffffff89, v11
	v_cndmask_b32_e64 v87, v87, 0x77, vcc_lo
	s_delay_alu instid0(VALU_DEP_4) | instskip(NEXT) | instid1(VALU_DEP_3)
	v_cndmask_b32_e32 v86, v96, v86, vcc_lo
	v_cndmask_b32_e64 v11, v11, 0xffffff8a, vcc_lo
	s_delay_alu instid0(VALU_DEP_3) | instskip(NEXT) | instid1(VALU_DEP_3)
	v_lshl_add_u32 v96, 0x100000, v87, -1
	v_lshrrev_b32_e32 v98, v87, v86
	v_lshlrev_b32_e64 v100, v87, 0x80000
	s_delay_alu instid0(VALU_DEP_4) | instskip(NEXT) | instid1(VALU_DEP_4)
	v_add_nc_u32_e32 v87, v87, v11
	v_and_b32_e32 v86, v96, v86
	s_delay_alu instid0(VALU_DEP_4) | instskip(NEXT) | instid1(VALU_DEP_2)
	v_bfe_u32 v99, v98, 20, 1
	v_cmp_eq_u32_e64 s10, v86, v100
	s_delay_alu instid0(VALU_DEP_2) | instskip(NEXT) | instid1(VALU_DEP_1)
	v_add_nc_u32_e32 v96, -1, v99
	v_cndmask_b32_e64 v86, 0, v96, s10
	v_lshrrev_b32_e32 v96, 23, v98
	s_mov_b32 s10, exec_lo
	s_delay_alu instid0(VALU_DEP_2) | instskip(NEXT) | instid1(VALU_DEP_2)
	v_add_nc_u32_e32 v86, v86, v98
	v_xor_b32_e32 v96, 1, v96
	s_delay_alu instid0(VALU_DEP_2) | instskip(NEXT) | instid1(VALU_DEP_1)
	v_and_b32_e32 v11, 0xfffff, v86
	v_add_nc_u32_e32 v86, v11, v98
                                        ; implicit-def: $vgpr11
	s_delay_alu instid0(VALU_DEP_3)
	v_cmpx_ne_u32_e64 v87, v96
	s_xor_b32 s10, exec_lo, s10
; %bb.2133:                             ;   in Loop: Header=BB2_2021 Depth=2
	s_delay_alu instid0(VALU_DEP_2) | instskip(SKIP_2) | instid1(VALU_DEP_2)
	v_cmp_lt_u32_e32 vcc_lo, 0xffffff, v86
	v_sub_nc_u32_e32 v11, v87, v96
	v_cndmask_b32_e64 v87, 0, 1, vcc_lo
	v_add_co_ci_u32_e32 v11, vcc_lo, 0, v11, vcc_lo
	s_delay_alu instid0(VALU_DEP_2)
	v_lshrrev_b32_e32 v86, v87, v86
; %bb.2134:                             ;   in Loop: Header=BB2_2021 Depth=2
	s_and_not1_saveexec_b32 s10, s10
; %bb.2135:                             ;   in Loop: Header=BB2_2021 Depth=2
	s_delay_alu instid0(VALU_DEP_1)
	v_bfe_u32 v11, v86, 23, 1
; %bb.2136:                             ;   in Loop: Header=BB2_2021 Depth=2
	s_or_b32 exec_lo, exec_lo, s10
	v_lshrrev_b32_e32 v86, 20, v86
	s_delay_alu instid0(VALU_DEP_2) | instskip(SKIP_2) | instid1(VALU_DEP_4)
	v_cmp_gt_i32_e32 vcc_lo, 16, v11
	v_lshrrev_b32_e32 v10, 24, v10
	v_min_i32_e32 v87, 15, v11
	v_cndmask_b32_e32 v86, 7, v86, vcc_lo
	s_delay_alu instid0(VALU_DEP_3) | instskip(NEXT) | instid1(VALU_DEP_3)
	v_and_b32_e32 v10, 0x80, v10
	v_lshlrev_b32_e32 v87, 3, v87
	s_delay_alu instid0(VALU_DEP_3) | instskip(SKIP_1) | instid1(VALU_DEP_2)
	v_and_b32_e32 v96, 7, v86
	v_or_b32_e32 v11, v11, v86
	v_or3_b32 v10, v87, v10, v96
	s_delay_alu instid0(VALU_DEP_2) | instskip(NEXT) | instid1(VALU_DEP_2)
	v_cmp_ne_u32_e32 vcc_lo, 0, v11
	v_cndmask_b32_e32 v102, 0, v10, vcc_lo
.LBB2_2137:                             ;   in Loop: Header=BB2_2021 Depth=2
	s_or_b32 exec_lo, exec_lo, s26
.LBB2_2138:                             ;   in Loop: Header=BB2_2021 Depth=2
	s_delay_alu instid0(SALU_CYCLE_1) | instskip(SKIP_3) | instid1(VALU_DEP_1)
	s_or_b32 exec_lo, exec_lo, s25
	v_lshrrev_b16 v10, 8, v12
	s_mov_b32 s10, 0
	s_mov_b32 s26, exec_lo
                                        ; implicit-def: $sgpr25
	v_cmpx_lt_i16_e32 0x7f, v10
	s_xor_b32 s26, exec_lo, s26
	s_cbranch_execnz .LBB2_2512
; %bb.2139:                             ;   in Loop: Header=BB2_2021 Depth=2
	s_or_saveexec_b32 s26, s26
	v_mov_b32_e32 v11, s25
	s_xor_b32 exec_lo, exec_lo, s26
	s_cbranch_execnz .LBB2_2515
.LBB2_2140:                             ;   in Loop: Header=BB2_2021 Depth=2
	s_or_b32 exec_lo, exec_lo, s26
	s_and_saveexec_b32 s25, s10
	s_cbranch_execz .LBB2_2142
.LBB2_2141:                             ;   in Loop: Header=BB2_2021 Depth=2
	v_and_b32_e32 v11, 0xffff, v10
	v_lshlrev_b32_e32 v10, 24, v10
	s_delay_alu instid0(VALU_DEP_2) | instskip(NEXT) | instid1(VALU_DEP_2)
	v_and_b32_e32 v86, 7, v11
	v_and_b32_e32 v10, 0x80000000, v10
	s_delay_alu instid0(VALU_DEP_2) | instskip(NEXT) | instid1(VALU_DEP_1)
	v_clz_i32_u32_e32 v87, v86
	v_min_u32_e32 v87, 32, v87
	s_delay_alu instid0(VALU_DEP_1) | instskip(SKIP_1) | instid1(VALU_DEP_2)
	v_subrev_nc_u32_e32 v96, 28, v87
	v_sub_nc_u32_e32 v87, 29, v87
	v_lshlrev_b32_e32 v96, v96, v11
	v_bfe_u32 v11, v11, 3, 4
	s_delay_alu instid0(VALU_DEP_1) | instskip(NEXT) | instid1(VALU_DEP_3)
	v_cmp_eq_u32_e32 vcc_lo, 0, v11
	v_dual_cndmask_b32 v11, v11, v87 :: v_dual_and_b32 v96, 7, v96
	s_delay_alu instid0(VALU_DEP_1) | instskip(NEXT) | instid1(VALU_DEP_2)
	v_cndmask_b32_e32 v86, v86, v96, vcc_lo
	v_lshl_add_u32 v11, v11, 23, 0x3b800000
	s_delay_alu instid0(VALU_DEP_2) | instskip(NEXT) | instid1(VALU_DEP_1)
	v_lshlrev_b32_e32 v86, 20, v86
	v_or3_b32 v11, v10, v11, v86
.LBB2_2142:                             ;   in Loop: Header=BB2_2021 Depth=2
	s_or_b32 exec_lo, exec_lo, s25
	s_delay_alu instid0(VALU_DEP_1) | instskip(SKIP_2) | instid1(VALU_DEP_2)
	v_mul_f32_e32 v10, s24, v11
	v_mov_b32_e32 v100, 0x80
	s_mov_b32 s25, exec_lo
	v_and_b32_e32 v11, 0x7f800000, v10
	s_delay_alu instid0(VALU_DEP_1)
	v_cmpx_ne_u32_e32 0x7f800000, v11
	s_cbranch_execz .LBB2_2150
; %bb.2143:                             ;   in Loop: Header=BB2_2021 Depth=2
	v_mov_b32_e32 v100, 0
	s_mov_b32 s26, exec_lo
	v_cmpx_ne_u32_e32 0, v10
	s_cbranch_execz .LBB2_2149
; %bb.2144:                             ;   in Loop: Header=BB2_2021 Depth=2
	v_bfe_u32 v11, v10, 23, 8
	s_delay_alu instid0(VALU_DEP_1) | instskip(SKIP_1) | instid1(VALU_DEP_2)
	v_sub_nc_u32_e32 v87, 0x78, v11
	v_cmp_gt_u32_e32 vcc_lo, 0x79, v11
	v_dual_cndmask_b32 v87, 0, v87 :: v_dual_and_b32 v86, 0x7fffff, v10
	s_delay_alu instid0(VALU_DEP_1) | instskip(SKIP_2) | instid1(VALU_DEP_4)
	v_or_b32_e32 v96, 0x800000, v86
	v_cmp_eq_u32_e32 vcc_lo, 0, v11
	v_add_nc_u32_e32 v11, 0xffffff89, v11
	v_cndmask_b32_e64 v87, v87, 0x77, vcc_lo
	s_delay_alu instid0(VALU_DEP_4) | instskip(NEXT) | instid1(VALU_DEP_3)
	v_cndmask_b32_e32 v86, v96, v86, vcc_lo
	v_cndmask_b32_e64 v11, v11, 0xffffff8a, vcc_lo
	s_delay_alu instid0(VALU_DEP_3) | instskip(NEXT) | instid1(VALU_DEP_3)
	v_lshl_add_u32 v96, 0x100000, v87, -1
	v_lshrrev_b32_e32 v98, v87, v86
	v_lshlrev_b32_e64 v100, v87, 0x80000
	s_delay_alu instid0(VALU_DEP_4) | instskip(NEXT) | instid1(VALU_DEP_4)
	v_add_nc_u32_e32 v87, v87, v11
	v_and_b32_e32 v86, v96, v86
	s_delay_alu instid0(VALU_DEP_4) | instskip(NEXT) | instid1(VALU_DEP_2)
	v_bfe_u32 v99, v98, 20, 1
	v_cmp_eq_u32_e64 s10, v86, v100
	s_delay_alu instid0(VALU_DEP_2) | instskip(NEXT) | instid1(VALU_DEP_1)
	v_add_nc_u32_e32 v96, -1, v99
	v_cndmask_b32_e64 v86, 0, v96, s10
	v_lshrrev_b32_e32 v96, 23, v98
	s_mov_b32 s10, exec_lo
	s_delay_alu instid0(VALU_DEP_2) | instskip(NEXT) | instid1(VALU_DEP_2)
	v_add_nc_u32_e32 v86, v86, v98
	v_xor_b32_e32 v96, 1, v96
	s_delay_alu instid0(VALU_DEP_2) | instskip(NEXT) | instid1(VALU_DEP_1)
	v_and_b32_e32 v11, 0xfffff, v86
	v_add_nc_u32_e32 v86, v11, v98
                                        ; implicit-def: $vgpr11
	s_delay_alu instid0(VALU_DEP_3)
	v_cmpx_ne_u32_e64 v87, v96
	s_xor_b32 s10, exec_lo, s10
; %bb.2145:                             ;   in Loop: Header=BB2_2021 Depth=2
	s_delay_alu instid0(VALU_DEP_2) | instskip(SKIP_2) | instid1(VALU_DEP_2)
	v_cmp_lt_u32_e32 vcc_lo, 0xffffff, v86
	v_sub_nc_u32_e32 v11, v87, v96
	v_cndmask_b32_e64 v87, 0, 1, vcc_lo
	v_add_co_ci_u32_e32 v11, vcc_lo, 0, v11, vcc_lo
	s_delay_alu instid0(VALU_DEP_2)
	v_lshrrev_b32_e32 v86, v87, v86
; %bb.2146:                             ;   in Loop: Header=BB2_2021 Depth=2
	s_and_not1_saveexec_b32 s10, s10
; %bb.2147:                             ;   in Loop: Header=BB2_2021 Depth=2
	s_delay_alu instid0(VALU_DEP_1)
	v_bfe_u32 v11, v86, 23, 1
; %bb.2148:                             ;   in Loop: Header=BB2_2021 Depth=2
	s_or_b32 exec_lo, exec_lo, s10
	v_lshrrev_b32_e32 v86, 20, v86
	s_delay_alu instid0(VALU_DEP_2) | instskip(SKIP_2) | instid1(VALU_DEP_4)
	v_cmp_gt_i32_e32 vcc_lo, 16, v11
	v_lshrrev_b32_e32 v10, 24, v10
	v_min_i32_e32 v87, 15, v11
	v_cndmask_b32_e32 v86, 7, v86, vcc_lo
	s_delay_alu instid0(VALU_DEP_3) | instskip(NEXT) | instid1(VALU_DEP_3)
	v_and_b32_e32 v10, 0x80, v10
	v_lshlrev_b32_e32 v87, 3, v87
	s_delay_alu instid0(VALU_DEP_3) | instskip(SKIP_1) | instid1(VALU_DEP_2)
	v_and_b32_e32 v96, 7, v86
	v_or_b32_e32 v11, v11, v86
	v_or3_b32 v10, v87, v10, v96
	s_delay_alu instid0(VALU_DEP_2) | instskip(NEXT) | instid1(VALU_DEP_2)
	v_cmp_ne_u32_e32 vcc_lo, 0, v11
	v_cndmask_b32_e32 v100, 0, v10, vcc_lo
.LBB2_2149:                             ;   in Loop: Header=BB2_2021 Depth=2
	s_or_b32 exec_lo, exec_lo, s26
.LBB2_2150:                             ;   in Loop: Header=BB2_2021 Depth=2
	s_delay_alu instid0(SALU_CYCLE_1) | instskip(SKIP_3) | instid1(VALU_DEP_1)
	s_or_b32 exec_lo, exec_lo, s25
	v_lshrrev_b32_e32 v10, 16, v12
	s_mov_b32 s10, 0
	s_mov_b32 s26, exec_lo
                                        ; implicit-def: $sgpr25
	v_and_b32_e32 v86, 0xff, v10
	s_delay_alu instid0(VALU_DEP_1)
	v_cmpx_lt_i16_e32 0x7f, v86
	s_xor_b32 s26, exec_lo, s26
	s_cbranch_execnz .LBB2_2516
; %bb.2151:                             ;   in Loop: Header=BB2_2021 Depth=2
	s_or_saveexec_b32 s26, s26
	v_mov_b32_e32 v11, s25
	s_xor_b32 exec_lo, exec_lo, s26
	s_cbranch_execnz .LBB2_2519
.LBB2_2152:                             ;   in Loop: Header=BB2_2021 Depth=2
	s_or_b32 exec_lo, exec_lo, s26
	s_and_saveexec_b32 s25, s10
	s_cbranch_execz .LBB2_2154
.LBB2_2153:                             ;   in Loop: Header=BB2_2021 Depth=2
	v_bfe_u32 v11, v12, 16, 3
	v_lshlrev_b32_e32 v96, 8, v12
	s_delay_alu instid0(VALU_DEP_2) | instskip(NEXT) | instid1(VALU_DEP_1)
	v_clz_i32_u32_e32 v86, v11
	v_min_u32_e32 v86, 32, v86
	s_delay_alu instid0(VALU_DEP_1) | instskip(SKIP_1) | instid1(VALU_DEP_2)
	v_subrev_nc_u32_e32 v87, 28, v86
	v_sub_nc_u32_e32 v86, 29, v86
	v_lshlrev_b32_e32 v10, v87, v10
	v_bfe_u32 v87, v12, 19, 4
	s_delay_alu instid0(VALU_DEP_2) | instskip(NEXT) | instid1(VALU_DEP_2)
	v_and_b32_e32 v10, 7, v10
	v_cmp_eq_u32_e32 vcc_lo, 0, v87
	v_cndmask_b32_e32 v86, v87, v86, vcc_lo
	s_delay_alu instid0(VALU_DEP_3) | instskip(NEXT) | instid1(VALU_DEP_2)
	v_dual_cndmask_b32 v10, v11, v10 :: v_dual_and_b32 v11, 0x80000000, v96
	v_lshl_add_u32 v86, v86, 23, 0x3b800000
	s_delay_alu instid0(VALU_DEP_2) | instskip(NEXT) | instid1(VALU_DEP_1)
	v_lshlrev_b32_e32 v10, 20, v10
	v_or3_b32 v11, v11, v86, v10
.LBB2_2154:                             ;   in Loop: Header=BB2_2021 Depth=2
	s_or_b32 exec_lo, exec_lo, s25
	s_delay_alu instid0(VALU_DEP_1) | instskip(SKIP_1) | instid1(VALU_DEP_1)
	v_dual_mul_f32 v10, s24, v11 :: v_dual_mov_b32 v99, 0x80
	s_mov_b32 s25, exec_lo
	v_and_b32_e32 v11, 0x7f800000, v10
	s_delay_alu instid0(VALU_DEP_1)
	v_cmpx_ne_u32_e32 0x7f800000, v11
	s_cbranch_execz .LBB2_2162
; %bb.2155:                             ;   in Loop: Header=BB2_2021 Depth=2
	v_mov_b32_e32 v99, 0
	s_mov_b32 s26, exec_lo
	v_cmpx_ne_u32_e32 0, v10
	s_cbranch_execz .LBB2_2161
; %bb.2156:                             ;   in Loop: Header=BB2_2021 Depth=2
	v_bfe_u32 v11, v10, 23, 8
	s_delay_alu instid0(VALU_DEP_1) | instskip(SKIP_1) | instid1(VALU_DEP_2)
	v_sub_nc_u32_e32 v87, 0x78, v11
	v_cmp_gt_u32_e32 vcc_lo, 0x79, v11
	v_dual_cndmask_b32 v87, 0, v87 :: v_dual_and_b32 v86, 0x7fffff, v10
	s_delay_alu instid0(VALU_DEP_1) | instskip(SKIP_2) | instid1(VALU_DEP_4)
	v_or_b32_e32 v96, 0x800000, v86
	v_cmp_eq_u32_e32 vcc_lo, 0, v11
	v_add_nc_u32_e32 v11, 0xffffff89, v11
	v_cndmask_b32_e64 v87, v87, 0x77, vcc_lo
	s_delay_alu instid0(VALU_DEP_4) | instskip(NEXT) | instid1(VALU_DEP_3)
	v_cndmask_b32_e32 v86, v96, v86, vcc_lo
	v_cndmask_b32_e64 v11, v11, 0xffffff8a, vcc_lo
	s_delay_alu instid0(VALU_DEP_3) | instskip(NEXT) | instid1(VALU_DEP_3)
	v_lshl_add_u32 v96, 0x100000, v87, -1
	v_lshrrev_b32_e32 v98, v87, v86
	v_lshlrev_b32_e64 v101, v87, 0x80000
	s_delay_alu instid0(VALU_DEP_4) | instskip(NEXT) | instid1(VALU_DEP_4)
	v_add_nc_u32_e32 v87, v87, v11
	v_and_b32_e32 v86, v96, v86
	s_delay_alu instid0(VALU_DEP_4) | instskip(NEXT) | instid1(VALU_DEP_2)
	v_bfe_u32 v99, v98, 20, 1
	v_cmp_eq_u32_e64 s10, v86, v101
	s_delay_alu instid0(VALU_DEP_2) | instskip(NEXT) | instid1(VALU_DEP_1)
	v_add_nc_u32_e32 v96, -1, v99
	v_cndmask_b32_e64 v86, 0, v96, s10
	v_lshrrev_b32_e32 v96, 23, v98
	s_mov_b32 s10, exec_lo
	s_delay_alu instid0(VALU_DEP_2) | instskip(NEXT) | instid1(VALU_DEP_2)
	v_add_nc_u32_e32 v86, v86, v98
	v_xor_b32_e32 v96, 1, v96
	s_delay_alu instid0(VALU_DEP_2) | instskip(NEXT) | instid1(VALU_DEP_1)
	v_and_b32_e32 v11, 0xfffff, v86
	v_add_nc_u32_e32 v86, v11, v98
                                        ; implicit-def: $vgpr11
	s_delay_alu instid0(VALU_DEP_3)
	v_cmpx_ne_u32_e64 v87, v96
	s_xor_b32 s10, exec_lo, s10
; %bb.2157:                             ;   in Loop: Header=BB2_2021 Depth=2
	s_delay_alu instid0(VALU_DEP_2) | instskip(SKIP_2) | instid1(VALU_DEP_2)
	v_cmp_lt_u32_e32 vcc_lo, 0xffffff, v86
	v_sub_nc_u32_e32 v11, v87, v96
	v_cndmask_b32_e64 v87, 0, 1, vcc_lo
	v_add_co_ci_u32_e32 v11, vcc_lo, 0, v11, vcc_lo
	s_delay_alu instid0(VALU_DEP_2)
	v_lshrrev_b32_e32 v86, v87, v86
; %bb.2158:                             ;   in Loop: Header=BB2_2021 Depth=2
	s_and_not1_saveexec_b32 s10, s10
; %bb.2159:                             ;   in Loop: Header=BB2_2021 Depth=2
	s_delay_alu instid0(VALU_DEP_1)
	v_bfe_u32 v11, v86, 23, 1
; %bb.2160:                             ;   in Loop: Header=BB2_2021 Depth=2
	s_or_b32 exec_lo, exec_lo, s10
	v_lshrrev_b32_e32 v86, 20, v86
	s_delay_alu instid0(VALU_DEP_2) | instskip(SKIP_2) | instid1(VALU_DEP_4)
	v_cmp_gt_i32_e32 vcc_lo, 16, v11
	v_lshrrev_b32_e32 v10, 24, v10
	v_min_i32_e32 v87, 15, v11
	v_cndmask_b32_e32 v86, 7, v86, vcc_lo
	s_delay_alu instid0(VALU_DEP_3) | instskip(NEXT) | instid1(VALU_DEP_3)
	v_and_b32_e32 v10, 0x80, v10
	v_lshlrev_b32_e32 v87, 3, v87
	s_delay_alu instid0(VALU_DEP_3) | instskip(SKIP_1) | instid1(VALU_DEP_2)
	v_and_b32_e32 v96, 7, v86
	v_or_b32_e32 v11, v11, v86
	v_or3_b32 v10, v87, v10, v96
	s_delay_alu instid0(VALU_DEP_2) | instskip(NEXT) | instid1(VALU_DEP_2)
	v_cmp_ne_u32_e32 vcc_lo, 0, v11
	v_cndmask_b32_e32 v99, 0, v10, vcc_lo
.LBB2_2161:                             ;   in Loop: Header=BB2_2021 Depth=2
	s_or_b32 exec_lo, exec_lo, s26
.LBB2_2162:                             ;   in Loop: Header=BB2_2021 Depth=2
	s_delay_alu instid0(SALU_CYCLE_1) | instskip(SKIP_3) | instid1(VALU_DEP_1)
	s_or_b32 exec_lo, exec_lo, s25
	v_lshrrev_b32_e32 v10, 24, v12
	s_mov_b32 s10, 0
	s_mov_b32 s26, exec_lo
                                        ; implicit-def: $sgpr25
	v_cmpx_lt_i16_e32 0x7f, v10
	s_xor_b32 s26, exec_lo, s26
	s_cbranch_execnz .LBB2_2520
; %bb.2163:                             ;   in Loop: Header=BB2_2021 Depth=2
	s_or_saveexec_b32 s26, s26
	v_mov_b32_e32 v11, s25
	s_xor_b32 exec_lo, exec_lo, s26
	s_cbranch_execnz .LBB2_2523
.LBB2_2164:                             ;   in Loop: Header=BB2_2021 Depth=2
	s_or_b32 exec_lo, exec_lo, s26
	s_and_saveexec_b32 s25, s10
	s_cbranch_execz .LBB2_2166
.LBB2_2165:                             ;   in Loop: Header=BB2_2021 Depth=2
	v_bfe_u32 v11, v12, 24, 3
	s_delay_alu instid0(VALU_DEP_1) | instskip(NEXT) | instid1(VALU_DEP_1)
	v_clz_i32_u32_e32 v86, v11
	v_min_u32_e32 v86, 32, v86
	s_delay_alu instid0(VALU_DEP_1) | instskip(SKIP_1) | instid1(VALU_DEP_2)
	v_subrev_nc_u32_e32 v87, 28, v86
	v_sub_nc_u32_e32 v86, 29, v86
	v_lshlrev_b32_e32 v10, v87, v10
	v_bfe_u32 v87, v12, 27, 4
	s_delay_alu instid0(VALU_DEP_2) | instskip(NEXT) | instid1(VALU_DEP_2)
	v_and_b32_e32 v10, 7, v10
	v_cmp_eq_u32_e32 vcc_lo, 0, v87
	v_cndmask_b32_e32 v86, v87, v86, vcc_lo
	s_delay_alu instid0(VALU_DEP_3) | instskip(NEXT) | instid1(VALU_DEP_2)
	v_dual_cndmask_b32 v10, v11, v10 :: v_dual_and_b32 v11, 0x80000000, v12
	v_lshl_add_u32 v12, v86, 23, 0x3b800000
	s_delay_alu instid0(VALU_DEP_2) | instskip(NEXT) | instid1(VALU_DEP_1)
	v_lshlrev_b32_e32 v10, 20, v10
	v_or3_b32 v11, v11, v12, v10
.LBB2_2166:                             ;   in Loop: Header=BB2_2021 Depth=2
	s_or_b32 exec_lo, exec_lo, s25
	s_delay_alu instid0(VALU_DEP_1) | instskip(SKIP_2) | instid1(VALU_DEP_2)
	v_mul_f32_e32 v10, s24, v11
	v_mov_b32_e32 v96, 0x80
	s_mov_b32 s25, exec_lo
	v_and_b32_e32 v11, 0x7f800000, v10
	s_delay_alu instid0(VALU_DEP_1)
	v_cmpx_ne_u32_e32 0x7f800000, v11
	s_cbranch_execz .LBB2_2174
; %bb.2167:                             ;   in Loop: Header=BB2_2021 Depth=2
	v_mov_b32_e32 v96, 0
	s_mov_b32 s26, exec_lo
	v_cmpx_ne_u32_e32 0, v10
	s_cbranch_execz .LBB2_2173
; %bb.2168:                             ;   in Loop: Header=BB2_2021 Depth=2
	v_bfe_u32 v11, v10, 23, 8
	v_and_b32_e32 v12, 0x7fffff, v10
	s_delay_alu instid0(VALU_DEP_2) | instskip(SKIP_1) | instid1(VALU_DEP_3)
	v_sub_nc_u32_e32 v86, 0x78, v11
	v_cmp_gt_u32_e32 vcc_lo, 0x79, v11
	v_or_b32_e32 v87, 0x800000, v12
	s_delay_alu instid0(VALU_DEP_3) | instskip(SKIP_2) | instid1(VALU_DEP_3)
	v_cndmask_b32_e32 v86, 0, v86, vcc_lo
	v_cmp_eq_u32_e32 vcc_lo, 0, v11
	v_add_nc_u32_e32 v11, 0xffffff89, v11
	v_cndmask_b32_e64 v86, v86, 0x77, vcc_lo
	v_cndmask_b32_e32 v12, v87, v12, vcc_lo
	s_delay_alu instid0(VALU_DEP_3) | instskip(NEXT) | instid1(VALU_DEP_3)
	v_cndmask_b32_e64 v11, v11, 0xffffff8a, vcc_lo
	v_lshl_add_u32 v87, 0x100000, v86, -1
	s_delay_alu instid0(VALU_DEP_3) | instskip(SKIP_1) | instid1(VALU_DEP_4)
	v_lshrrev_b32_e32 v96, v86, v12
	v_lshlrev_b32_e64 v101, v86, 0x80000
	v_add_nc_u32_e32 v86, v86, v11
	s_delay_alu instid0(VALU_DEP_4) | instskip(NEXT) | instid1(VALU_DEP_4)
	v_and_b32_e32 v12, v87, v12
	v_bfe_u32 v98, v96, 20, 1
	s_delay_alu instid0(VALU_DEP_2) | instskip(NEXT) | instid1(VALU_DEP_2)
	v_cmp_eq_u32_e64 s10, v12, v101
	v_add_nc_u32_e32 v87, -1, v98
	s_delay_alu instid0(VALU_DEP_1) | instskip(SKIP_2) | instid1(VALU_DEP_2)
	v_cndmask_b32_e64 v12, 0, v87, s10
	v_lshrrev_b32_e32 v87, 23, v96
	s_mov_b32 s10, exec_lo
	v_add_nc_u32_e32 v12, v12, v96
	s_delay_alu instid0(VALU_DEP_2) | instskip(NEXT) | instid1(VALU_DEP_2)
	v_xor_b32_e32 v87, 1, v87
	v_and_b32_e32 v11, 0xfffff, v12
	s_delay_alu instid0(VALU_DEP_1) | instskip(NEXT) | instid1(VALU_DEP_3)
	v_add_nc_u32_e32 v12, v11, v96
                                        ; implicit-def: $vgpr11
	v_cmpx_ne_u32_e64 v86, v87
	s_xor_b32 s10, exec_lo, s10
; %bb.2169:                             ;   in Loop: Header=BB2_2021 Depth=2
	s_delay_alu instid0(VALU_DEP_2) | instskip(SKIP_2) | instid1(VALU_DEP_2)
	v_cmp_lt_u32_e32 vcc_lo, 0xffffff, v12
	v_sub_nc_u32_e32 v11, v86, v87
	v_cndmask_b32_e64 v86, 0, 1, vcc_lo
	v_add_co_ci_u32_e32 v11, vcc_lo, 0, v11, vcc_lo
	s_delay_alu instid0(VALU_DEP_2)
	v_lshrrev_b32_e32 v12, v86, v12
; %bb.2170:                             ;   in Loop: Header=BB2_2021 Depth=2
	s_and_not1_saveexec_b32 s10, s10
; %bb.2171:                             ;   in Loop: Header=BB2_2021 Depth=2
	s_delay_alu instid0(VALU_DEP_1)
	v_bfe_u32 v11, v12, 23, 1
; %bb.2172:                             ;   in Loop: Header=BB2_2021 Depth=2
	s_or_b32 exec_lo, exec_lo, s10
	v_lshrrev_b32_e32 v12, 20, v12
	s_delay_alu instid0(VALU_DEP_2) | instskip(SKIP_2) | instid1(VALU_DEP_4)
	v_cmp_gt_i32_e32 vcc_lo, 16, v11
	v_lshrrev_b32_e32 v10, 24, v10
	v_min_i32_e32 v86, 15, v11
	v_cndmask_b32_e32 v12, 7, v12, vcc_lo
	s_delay_alu instid0(VALU_DEP_3) | instskip(NEXT) | instid1(VALU_DEP_3)
	v_and_b32_e32 v10, 0x80, v10
	v_lshlrev_b32_e32 v86, 3, v86
	s_delay_alu instid0(VALU_DEP_3) | instskip(NEXT) | instid1(VALU_DEP_1)
	v_or_b32_e32 v11, v11, v12
	v_cmp_ne_u32_e32 vcc_lo, 0, v11
	v_and_b32_e32 v87, 7, v12
	s_delay_alu instid0(VALU_DEP_1) | instskip(NEXT) | instid1(VALU_DEP_1)
	v_or3_b32 v10, v86, v10, v87
	v_cndmask_b32_e32 v96, 0, v10, vcc_lo
.LBB2_2173:                             ;   in Loop: Header=BB2_2021 Depth=2
	s_or_b32 exec_lo, exec_lo, s26
.LBB2_2174:                             ;   in Loop: Header=BB2_2021 Depth=2
	s_delay_alu instid0(SALU_CYCLE_1) | instskip(SKIP_3) | instid1(VALU_DEP_1)
	s_or_b32 exec_lo, exec_lo, s25
	v_and_b32_e32 v11, 0xff, v13
	s_mov_b32 s10, 0
	s_mov_b32 s26, exec_lo
                                        ; implicit-def: $sgpr25
	v_cmpx_lt_i16_e32 0x7f, v11
	s_xor_b32 s26, exec_lo, s26
	s_cbranch_execnz .LBB2_2524
; %bb.2175:                             ;   in Loop: Header=BB2_2021 Depth=2
	s_or_saveexec_b32 s26, s26
	v_mov_b32_e32 v10, s25
	s_xor_b32 exec_lo, exec_lo, s26
	s_cbranch_execnz .LBB2_2527
.LBB2_2176:                             ;   in Loop: Header=BB2_2021 Depth=2
	s_or_b32 exec_lo, exec_lo, s26
	s_and_saveexec_b32 s25, s10
	s_cbranch_execz .LBB2_2178
.LBB2_2177:                             ;   in Loop: Header=BB2_2021 Depth=2
	v_bfe_u32 v86, v13, 3, 4
	s_delay_alu instid0(VALU_DEP_1) | instskip(SKIP_1) | instid1(VALU_DEP_1)
	v_cmp_eq_u32_e32 vcc_lo, 0, v86
	v_and_b32_e32 v10, 7, v13
	v_clz_i32_u32_e32 v11, v10
	s_delay_alu instid0(VALU_DEP_1) | instskip(NEXT) | instid1(VALU_DEP_1)
	v_min_u32_e32 v11, 32, v11
	v_subrev_nc_u32_e32 v12, 28, v11
	v_sub_nc_u32_e32 v11, 29, v11
	s_delay_alu instid0(VALU_DEP_1) | instskip(NEXT) | instid1(VALU_DEP_1)
	v_dual_cndmask_b32 v11, v86, v11 :: v_dual_lshlrev_b32 v12, v12, v13
	v_and_b32_e32 v12, 7, v12
	v_lshlrev_b32_e32 v87, 24, v13
	s_delay_alu instid0(VALU_DEP_3) | instskip(NEXT) | instid1(VALU_DEP_3)
	v_lshl_add_u32 v11, v11, 23, 0x3b800000
	v_cndmask_b32_e32 v10, v10, v12, vcc_lo
	s_delay_alu instid0(VALU_DEP_3) | instskip(NEXT) | instid1(VALU_DEP_2)
	v_and_b32_e32 v12, 0x80000000, v87
	v_lshlrev_b32_e32 v10, 20, v10
	s_delay_alu instid0(VALU_DEP_1)
	v_or3_b32 v10, v12, v11, v10
.LBB2_2178:                             ;   in Loop: Header=BB2_2021 Depth=2
	s_or_b32 exec_lo, exec_lo, s25
	s_delay_alu instid0(VALU_DEP_1) | instskip(SKIP_1) | instid1(VALU_DEP_1)
	v_dual_mul_f32 v10, s24, v10 :: v_dual_mov_b32 v87, 0x80
	s_mov_b32 s25, exec_lo
	v_and_b32_e32 v11, 0x7f800000, v10
	s_delay_alu instid0(VALU_DEP_1)
	v_cmpx_ne_u32_e32 0x7f800000, v11
	s_cbranch_execz .LBB2_2186
; %bb.2179:                             ;   in Loop: Header=BB2_2021 Depth=2
	v_mov_b32_e32 v87, 0
	s_mov_b32 s26, exec_lo
	v_cmpx_ne_u32_e32 0, v10
	s_cbranch_execz .LBB2_2185
; %bb.2180:                             ;   in Loop: Header=BB2_2021 Depth=2
	v_bfe_u32 v11, v10, 23, 8
	v_and_b32_e32 v12, 0x7fffff, v10
	s_delay_alu instid0(VALU_DEP_2) | instskip(SKIP_1) | instid1(VALU_DEP_3)
	v_sub_nc_u32_e32 v86, 0x78, v11
	v_cmp_gt_u32_e32 vcc_lo, 0x79, v11
	v_or_b32_e32 v87, 0x800000, v12
	s_delay_alu instid0(VALU_DEP_3) | instskip(SKIP_2) | instid1(VALU_DEP_3)
	v_cndmask_b32_e32 v86, 0, v86, vcc_lo
	v_cmp_eq_u32_e32 vcc_lo, 0, v11
	v_add_nc_u32_e32 v11, 0xffffff89, v11
	v_cndmask_b32_e64 v86, v86, 0x77, vcc_lo
	v_cndmask_b32_e32 v12, v87, v12, vcc_lo
	s_delay_alu instid0(VALU_DEP_3) | instskip(NEXT) | instid1(VALU_DEP_3)
	v_cndmask_b32_e64 v11, v11, 0xffffff8a, vcc_lo
	v_lshl_add_u32 v87, 0x100000, v86, -1
	s_delay_alu instid0(VALU_DEP_3) | instskip(SKIP_1) | instid1(VALU_DEP_4)
	v_lshrrev_b32_e32 v98, v86, v12
	v_lshlrev_b32_e64 v117, v86, 0x80000
	v_add_nc_u32_e32 v86, v86, v11
	s_delay_alu instid0(VALU_DEP_4) | instskip(NEXT) | instid1(VALU_DEP_4)
	v_and_b32_e32 v12, v87, v12
	v_bfe_u32 v101, v98, 20, 1
	s_delay_alu instid0(VALU_DEP_2) | instskip(NEXT) | instid1(VALU_DEP_2)
	v_cmp_eq_u32_e64 s10, v12, v117
	v_add_nc_u32_e32 v87, -1, v101
	s_delay_alu instid0(VALU_DEP_1) | instskip(SKIP_2) | instid1(VALU_DEP_2)
	v_cndmask_b32_e64 v12, 0, v87, s10
	v_lshrrev_b32_e32 v87, 23, v98
	s_mov_b32 s10, exec_lo
	v_add_nc_u32_e32 v12, v12, v98
	s_delay_alu instid0(VALU_DEP_2) | instskip(NEXT) | instid1(VALU_DEP_2)
	v_xor_b32_e32 v87, 1, v87
	v_and_b32_e32 v11, 0xfffff, v12
	s_delay_alu instid0(VALU_DEP_1) | instskip(NEXT) | instid1(VALU_DEP_3)
	v_add_nc_u32_e32 v12, v11, v98
                                        ; implicit-def: $vgpr11
	v_cmpx_ne_u32_e64 v86, v87
	s_xor_b32 s10, exec_lo, s10
; %bb.2181:                             ;   in Loop: Header=BB2_2021 Depth=2
	s_delay_alu instid0(VALU_DEP_2) | instskip(SKIP_2) | instid1(VALU_DEP_2)
	v_cmp_lt_u32_e32 vcc_lo, 0xffffff, v12
	v_sub_nc_u32_e32 v11, v86, v87
	v_cndmask_b32_e64 v86, 0, 1, vcc_lo
	v_add_co_ci_u32_e32 v11, vcc_lo, 0, v11, vcc_lo
	s_delay_alu instid0(VALU_DEP_2)
	v_lshrrev_b32_e32 v12, v86, v12
; %bb.2182:                             ;   in Loop: Header=BB2_2021 Depth=2
	s_and_not1_saveexec_b32 s10, s10
; %bb.2183:                             ;   in Loop: Header=BB2_2021 Depth=2
	s_delay_alu instid0(VALU_DEP_1)
	v_bfe_u32 v11, v12, 23, 1
; %bb.2184:                             ;   in Loop: Header=BB2_2021 Depth=2
	s_or_b32 exec_lo, exec_lo, s10
	v_lshrrev_b32_e32 v12, 20, v12
	s_delay_alu instid0(VALU_DEP_2) | instskip(SKIP_2) | instid1(VALU_DEP_3)
	v_min_i32_e32 v86, 15, v11
	v_cmp_gt_i32_e32 vcc_lo, 16, v11
	v_lshrrev_b32_e32 v10, 24, v10
	v_lshlrev_b32_e32 v86, 3, v86
	v_cndmask_b32_e32 v12, 7, v12, vcc_lo
	s_delay_alu instid0(VALU_DEP_3) | instskip(NEXT) | instid1(VALU_DEP_3)
	v_and_b32_e32 v10, 0x80, v10
	v_and_b32_e32 v86, 0xf8, v86
	s_delay_alu instid0(VALU_DEP_3) | instskip(SKIP_1) | instid1(VALU_DEP_2)
	v_and_b32_e32 v87, 7, v12
	v_or_b32_e32 v11, v11, v12
	v_or3_b32 v10, v86, v10, v87
	s_delay_alu instid0(VALU_DEP_2) | instskip(NEXT) | instid1(VALU_DEP_2)
	v_cmp_ne_u32_e32 vcc_lo, 0, v11
	v_cndmask_b32_e32 v87, 0, v10, vcc_lo
.LBB2_2185:                             ;   in Loop: Header=BB2_2021 Depth=2
	s_or_b32 exec_lo, exec_lo, s26
.LBB2_2186:                             ;   in Loop: Header=BB2_2021 Depth=2
	s_delay_alu instid0(SALU_CYCLE_1) | instskip(SKIP_3) | instid1(VALU_DEP_1)
	s_or_b32 exec_lo, exec_lo, s25
	v_lshrrev_b16 v10, 8, v13
	s_mov_b32 s10, 0
	s_mov_b32 s26, exec_lo
                                        ; implicit-def: $sgpr25
	v_cmpx_lt_i16_e32 0x7f, v10
	s_xor_b32 s26, exec_lo, s26
	s_cbranch_execnz .LBB2_2528
; %bb.2187:                             ;   in Loop: Header=BB2_2021 Depth=2
	s_or_saveexec_b32 s26, s26
	v_mov_b32_e32 v11, s25
	s_xor_b32 exec_lo, exec_lo, s26
	s_cbranch_execnz .LBB2_2531
.LBB2_2188:                             ;   in Loop: Header=BB2_2021 Depth=2
	s_or_b32 exec_lo, exec_lo, s26
	s_and_saveexec_b32 s25, s10
	s_cbranch_execz .LBB2_2190
.LBB2_2189:                             ;   in Loop: Header=BB2_2021 Depth=2
	v_and_b32_e32 v11, 0xffff, v10
	v_lshlrev_b32_e32 v10, 24, v10
	s_delay_alu instid0(VALU_DEP_2) | instskip(NEXT) | instid1(VALU_DEP_2)
	v_and_b32_e32 v12, 7, v11
	v_and_b32_e32 v10, 0x80000000, v10
	s_delay_alu instid0(VALU_DEP_2) | instskip(NEXT) | instid1(VALU_DEP_1)
	v_clz_i32_u32_e32 v86, v12
	v_min_u32_e32 v86, 32, v86
	s_delay_alu instid0(VALU_DEP_1) | instskip(SKIP_1) | instid1(VALU_DEP_2)
	v_subrev_nc_u32_e32 v98, 28, v86
	v_sub_nc_u32_e32 v86, 29, v86
	v_lshlrev_b32_e32 v98, v98, v11
	v_bfe_u32 v11, v11, 3, 4
	s_delay_alu instid0(VALU_DEP_2) | instskip(NEXT) | instid1(VALU_DEP_2)
	v_and_b32_e32 v98, 7, v98
	v_cmp_eq_u32_e32 vcc_lo, 0, v11
	v_cndmask_b32_e32 v11, v11, v86, vcc_lo
	s_delay_alu instid0(VALU_DEP_3) | instskip(NEXT) | instid1(VALU_DEP_2)
	v_cndmask_b32_e32 v12, v12, v98, vcc_lo
	v_lshl_add_u32 v11, v11, 23, 0x3b800000
	s_delay_alu instid0(VALU_DEP_2) | instskip(NEXT) | instid1(VALU_DEP_1)
	v_lshlrev_b32_e32 v12, 20, v12
	v_or3_b32 v11, v10, v11, v12
.LBB2_2190:                             ;   in Loop: Header=BB2_2021 Depth=2
	s_or_b32 exec_lo, exec_lo, s25
	s_delay_alu instid0(VALU_DEP_1) | instskip(SKIP_1) | instid1(VALU_DEP_1)
	v_dual_mul_f32 v10, s24, v11 :: v_dual_mov_b32 v101, 0x8000
	s_mov_b32 s25, exec_lo
	v_and_b32_e32 v11, 0x7f800000, v10
	s_delay_alu instid0(VALU_DEP_1)
	v_cmpx_ne_u32_e32 0x7f800000, v11
	s_cbranch_execz .LBB2_2198
; %bb.2191:                             ;   in Loop: Header=BB2_2021 Depth=2
	v_mov_b32_e32 v101, 0
	s_mov_b32 s26, exec_lo
	v_cmpx_ne_u32_e32 0, v10
	s_cbranch_execz .LBB2_2197
; %bb.2192:                             ;   in Loop: Header=BB2_2021 Depth=2
	v_bfe_u32 v11, v10, 23, 8
	v_and_b32_e32 v12, 0x7fffff, v10
	s_delay_alu instid0(VALU_DEP_2) | instskip(SKIP_1) | instid1(VALU_DEP_3)
	v_sub_nc_u32_e32 v86, 0x78, v11
	v_cmp_gt_u32_e32 vcc_lo, 0x79, v11
	v_or_b32_e32 v98, 0x800000, v12
	s_delay_alu instid0(VALU_DEP_3) | instskip(SKIP_2) | instid1(VALU_DEP_3)
	v_cndmask_b32_e32 v86, 0, v86, vcc_lo
	v_cmp_eq_u32_e32 vcc_lo, 0, v11
	v_add_nc_u32_e32 v11, 0xffffff89, v11
	v_cndmask_b32_e64 v86, v86, 0x77, vcc_lo
	v_cndmask_b32_e32 v12, v98, v12, vcc_lo
	s_delay_alu instid0(VALU_DEP_3) | instskip(NEXT) | instid1(VALU_DEP_3)
	v_cndmask_b32_e64 v11, v11, 0xffffff8a, vcc_lo
	v_lshl_add_u32 v98, 0x100000, v86, -1
	s_delay_alu instid0(VALU_DEP_3) | instskip(SKIP_1) | instid1(VALU_DEP_4)
	v_lshrrev_b32_e32 v101, v86, v12
	v_lshlrev_b32_e64 v118, v86, 0x80000
	v_add_nc_u32_e32 v86, v86, v11
	s_delay_alu instid0(VALU_DEP_4) | instskip(NEXT) | instid1(VALU_DEP_4)
	v_and_b32_e32 v12, v98, v12
	v_bfe_u32 v117, v101, 20, 1
	s_delay_alu instid0(VALU_DEP_2) | instskip(NEXT) | instid1(VALU_DEP_2)
	v_cmp_eq_u32_e64 s10, v12, v118
	v_add_nc_u32_e32 v98, -1, v117
	s_delay_alu instid0(VALU_DEP_1) | instskip(SKIP_2) | instid1(VALU_DEP_2)
	v_cndmask_b32_e64 v12, 0, v98, s10
	v_lshrrev_b32_e32 v98, 23, v101
	s_mov_b32 s10, exec_lo
	v_add_nc_u32_e32 v12, v12, v101
	s_delay_alu instid0(VALU_DEP_2) | instskip(NEXT) | instid1(VALU_DEP_2)
	v_xor_b32_e32 v98, 1, v98
	v_and_b32_e32 v11, 0xfffff, v12
	s_delay_alu instid0(VALU_DEP_1) | instskip(NEXT) | instid1(VALU_DEP_3)
	v_add_nc_u32_e32 v12, v11, v101
                                        ; implicit-def: $vgpr11
	v_cmpx_ne_u32_e64 v86, v98
	s_xor_b32 s10, exec_lo, s10
; %bb.2193:                             ;   in Loop: Header=BB2_2021 Depth=2
	s_delay_alu instid0(VALU_DEP_2) | instskip(SKIP_2) | instid1(VALU_DEP_2)
	v_cmp_lt_u32_e32 vcc_lo, 0xffffff, v12
	v_sub_nc_u32_e32 v11, v86, v98
	v_cndmask_b32_e64 v86, 0, 1, vcc_lo
	v_add_co_ci_u32_e32 v11, vcc_lo, 0, v11, vcc_lo
	s_delay_alu instid0(VALU_DEP_2)
	v_lshrrev_b32_e32 v12, v86, v12
; %bb.2194:                             ;   in Loop: Header=BB2_2021 Depth=2
	s_and_not1_saveexec_b32 s10, s10
; %bb.2195:                             ;   in Loop: Header=BB2_2021 Depth=2
	s_delay_alu instid0(VALU_DEP_1)
	v_bfe_u32 v11, v12, 23, 1
; %bb.2196:                             ;   in Loop: Header=BB2_2021 Depth=2
	s_or_b32 exec_lo, exec_lo, s10
	v_lshrrev_b32_e32 v12, 20, v12
	s_delay_alu instid0(VALU_DEP_2) | instskip(SKIP_2) | instid1(VALU_DEP_3)
	v_min_i32_e32 v86, 15, v11
	v_cmp_gt_i32_e32 vcc_lo, 16, v11
	v_lshrrev_b32_e32 v10, 24, v10
	v_lshlrev_b32_e32 v86, 3, v86
	v_cndmask_b32_e32 v12, 7, v12, vcc_lo
	s_delay_alu instid0(VALU_DEP_3) | instskip(NEXT) | instid1(VALU_DEP_3)
	v_and_b32_e32 v10, 0x80, v10
	v_and_b32_e32 v86, 0xf8, v86
	s_delay_alu instid0(VALU_DEP_3) | instskip(SKIP_1) | instid1(VALU_DEP_2)
	v_and_b32_e32 v98, 7, v12
	v_or_b32_e32 v11, v11, v12
	v_or3_b32 v10, v10, v86, v98
	s_delay_alu instid0(VALU_DEP_2) | instskip(NEXT) | instid1(VALU_DEP_2)
	v_cmp_ne_u32_e32 vcc_lo, 0, v11
	v_lshlrev_b32_e32 v10, 8, v10
	s_delay_alu instid0(VALU_DEP_1)
	v_cndmask_b32_e32 v101, 0, v10, vcc_lo
.LBB2_2197:                             ;   in Loop: Header=BB2_2021 Depth=2
	s_or_b32 exec_lo, exec_lo, s26
.LBB2_2198:                             ;   in Loop: Header=BB2_2021 Depth=2
	s_delay_alu instid0(SALU_CYCLE_1) | instskip(SKIP_3) | instid1(VALU_DEP_1)
	s_or_b32 exec_lo, exec_lo, s25
	v_lshrrev_b32_e32 v10, 16, v13
	s_mov_b32 s10, 0
	s_mov_b32 s26, exec_lo
                                        ; implicit-def: $sgpr25
	v_and_b32_e32 v12, 0xff, v10
	s_delay_alu instid0(VALU_DEP_1)
	v_cmpx_lt_i16_e32 0x7f, v12
	s_xor_b32 s26, exec_lo, s26
	s_cbranch_execnz .LBB2_2532
; %bb.2199:                             ;   in Loop: Header=BB2_2021 Depth=2
	s_or_saveexec_b32 s26, s26
	v_mov_b32_e32 v11, s25
	s_xor_b32 exec_lo, exec_lo, s26
	s_cbranch_execnz .LBB2_2535
.LBB2_2200:                             ;   in Loop: Header=BB2_2021 Depth=2
	s_or_b32 exec_lo, exec_lo, s26
	s_and_saveexec_b32 s25, s10
	s_cbranch_execz .LBB2_2202
.LBB2_2201:                             ;   in Loop: Header=BB2_2021 Depth=2
	v_bfe_u32 v11, v13, 16, 3
	v_lshlrev_b32_e32 v98, 8, v13
	s_delay_alu instid0(VALU_DEP_2) | instskip(NEXT) | instid1(VALU_DEP_1)
	v_clz_i32_u32_e32 v12, v11
	v_min_u32_e32 v12, 32, v12
	s_delay_alu instid0(VALU_DEP_1) | instskip(SKIP_1) | instid1(VALU_DEP_2)
	v_subrev_nc_u32_e32 v86, 28, v12
	v_sub_nc_u32_e32 v12, 29, v12
	v_lshlrev_b32_e32 v10, v86, v10
	v_bfe_u32 v86, v13, 19, 4
	s_delay_alu instid0(VALU_DEP_2) | instskip(NEXT) | instid1(VALU_DEP_2)
	v_and_b32_e32 v10, 7, v10
	v_cmp_eq_u32_e32 vcc_lo, 0, v86
	v_cndmask_b32_e32 v12, v86, v12, vcc_lo
	s_delay_alu instid0(VALU_DEP_3) | instskip(SKIP_1) | instid1(VALU_DEP_3)
	v_cndmask_b32_e32 v10, v11, v10, vcc_lo
	v_and_b32_e32 v11, 0x80000000, v98
	v_lshl_add_u32 v12, v12, 23, 0x3b800000
	s_delay_alu instid0(VALU_DEP_3) | instskip(NEXT) | instid1(VALU_DEP_1)
	v_lshlrev_b32_e32 v10, 20, v10
	v_or3_b32 v11, v11, v12, v10
.LBB2_2202:                             ;   in Loop: Header=BB2_2021 Depth=2
	s_or_b32 exec_lo, exec_lo, s25
	s_delay_alu instid0(VALU_DEP_1) | instskip(SKIP_2) | instid1(VALU_DEP_2)
	v_mul_f32_e32 v10, s24, v11
	v_mov_b32_e32 v86, 0x80
	s_mov_b32 s25, exec_lo
	v_and_b32_e32 v11, 0x7f800000, v10
	s_delay_alu instid0(VALU_DEP_1)
	v_cmpx_ne_u32_e32 0x7f800000, v11
	s_cbranch_execz .LBB2_2210
; %bb.2203:                             ;   in Loop: Header=BB2_2021 Depth=2
	v_mov_b32_e32 v86, 0
	s_mov_b32 s26, exec_lo
	v_cmpx_ne_u32_e32 0, v10
	s_cbranch_execz .LBB2_2209
; %bb.2204:                             ;   in Loop: Header=BB2_2021 Depth=2
	v_bfe_u32 v11, v10, 23, 8
	v_and_b32_e32 v12, 0x7fffff, v10
	s_delay_alu instid0(VALU_DEP_2) | instskip(SKIP_1) | instid1(VALU_DEP_3)
	v_sub_nc_u32_e32 v86, 0x78, v11
	v_cmp_gt_u32_e32 vcc_lo, 0x79, v11
	v_or_b32_e32 v98, 0x800000, v12
	s_delay_alu instid0(VALU_DEP_3) | instskip(SKIP_2) | instid1(VALU_DEP_3)
	v_cndmask_b32_e32 v86, 0, v86, vcc_lo
	v_cmp_eq_u32_e32 vcc_lo, 0, v11
	v_add_nc_u32_e32 v11, 0xffffff89, v11
	v_cndmask_b32_e64 v86, v86, 0x77, vcc_lo
	v_cndmask_b32_e32 v12, v98, v12, vcc_lo
	s_delay_alu instid0(VALU_DEP_3) | instskip(NEXT) | instid1(VALU_DEP_3)
	v_cndmask_b32_e64 v11, v11, 0xffffff8a, vcc_lo
	v_lshl_add_u32 v98, 0x100000, v86, -1
	s_delay_alu instid0(VALU_DEP_3) | instskip(SKIP_1) | instid1(VALU_DEP_4)
	v_lshrrev_b32_e32 v117, v86, v12
	v_lshlrev_b32_e64 v119, v86, 0x80000
	v_add_nc_u32_e32 v86, v86, v11
	s_delay_alu instid0(VALU_DEP_4) | instskip(NEXT) | instid1(VALU_DEP_4)
	v_and_b32_e32 v12, v98, v12
	v_bfe_u32 v118, v117, 20, 1
	s_delay_alu instid0(VALU_DEP_2) | instskip(NEXT) | instid1(VALU_DEP_2)
	v_cmp_eq_u32_e64 s10, v12, v119
	v_add_nc_u32_e32 v98, -1, v118
	s_delay_alu instid0(VALU_DEP_1) | instskip(SKIP_2) | instid1(VALU_DEP_2)
	v_cndmask_b32_e64 v12, 0, v98, s10
	v_lshrrev_b32_e32 v98, 23, v117
	s_mov_b32 s10, exec_lo
	v_add_nc_u32_e32 v12, v12, v117
	s_delay_alu instid0(VALU_DEP_2) | instskip(NEXT) | instid1(VALU_DEP_2)
	v_xor_b32_e32 v98, 1, v98
	v_and_b32_e32 v11, 0xfffff, v12
	s_delay_alu instid0(VALU_DEP_1) | instskip(NEXT) | instid1(VALU_DEP_3)
	v_add_nc_u32_e32 v12, v11, v117
                                        ; implicit-def: $vgpr11
	v_cmpx_ne_u32_e64 v86, v98
	s_xor_b32 s10, exec_lo, s10
; %bb.2205:                             ;   in Loop: Header=BB2_2021 Depth=2
	s_delay_alu instid0(VALU_DEP_2) | instskip(SKIP_2) | instid1(VALU_DEP_2)
	v_cmp_lt_u32_e32 vcc_lo, 0xffffff, v12
	v_sub_nc_u32_e32 v11, v86, v98
	v_cndmask_b32_e64 v86, 0, 1, vcc_lo
	v_add_co_ci_u32_e32 v11, vcc_lo, 0, v11, vcc_lo
	s_delay_alu instid0(VALU_DEP_2)
	v_lshrrev_b32_e32 v12, v86, v12
; %bb.2206:                             ;   in Loop: Header=BB2_2021 Depth=2
	s_and_not1_saveexec_b32 s10, s10
; %bb.2207:                             ;   in Loop: Header=BB2_2021 Depth=2
	s_delay_alu instid0(VALU_DEP_1)
	v_bfe_u32 v11, v12, 23, 1
; %bb.2208:                             ;   in Loop: Header=BB2_2021 Depth=2
	s_or_b32 exec_lo, exec_lo, s10
	v_lshrrev_b32_e32 v12, 20, v12
	s_delay_alu instid0(VALU_DEP_2) | instskip(SKIP_2) | instid1(VALU_DEP_3)
	v_min_i32_e32 v86, 15, v11
	v_cmp_gt_i32_e32 vcc_lo, 16, v11
	v_lshrrev_b32_e32 v10, 24, v10
	v_lshlrev_b32_e32 v86, 3, v86
	v_cndmask_b32_e32 v12, 7, v12, vcc_lo
	s_delay_alu instid0(VALU_DEP_3) | instskip(NEXT) | instid1(VALU_DEP_3)
	v_and_b32_e32 v10, 0x80, v10
	v_and_b32_e32 v86, 0xf8, v86
	s_delay_alu instid0(VALU_DEP_3) | instskip(SKIP_1) | instid1(VALU_DEP_2)
	v_and_b32_e32 v98, 7, v12
	v_or_b32_e32 v11, v11, v12
	v_or3_b32 v10, v86, v10, v98
	s_delay_alu instid0(VALU_DEP_2) | instskip(NEXT) | instid1(VALU_DEP_2)
	v_cmp_ne_u32_e32 vcc_lo, 0, v11
	v_cndmask_b32_e32 v86, 0, v10, vcc_lo
.LBB2_2209:                             ;   in Loop: Header=BB2_2021 Depth=2
	s_or_b32 exec_lo, exec_lo, s26
.LBB2_2210:                             ;   in Loop: Header=BB2_2021 Depth=2
	s_delay_alu instid0(SALU_CYCLE_1) | instskip(SKIP_3) | instid1(VALU_DEP_1)
	s_or_b32 exec_lo, exec_lo, s25
	v_lshrrev_b32_e32 v10, 24, v13
	s_mov_b32 s10, 0
	s_mov_b32 s26, exec_lo
                                        ; implicit-def: $sgpr25
	v_cmpx_lt_i16_e32 0x7f, v10
	s_xor_b32 s26, exec_lo, s26
	s_cbranch_execnz .LBB2_2536
; %bb.2211:                             ;   in Loop: Header=BB2_2021 Depth=2
	s_or_saveexec_b32 s26, s26
	v_mov_b32_e32 v11, s25
	s_xor_b32 exec_lo, exec_lo, s26
	s_cbranch_execnz .LBB2_2539
.LBB2_2212:                             ;   in Loop: Header=BB2_2021 Depth=2
	s_or_b32 exec_lo, exec_lo, s26
	s_and_saveexec_b32 s25, s10
	s_cbranch_execz .LBB2_2214
.LBB2_2213:                             ;   in Loop: Header=BB2_2021 Depth=2
	v_bfe_u32 v11, v13, 24, 3
	s_delay_alu instid0(VALU_DEP_1) | instskip(NEXT) | instid1(VALU_DEP_1)
	v_clz_i32_u32_e32 v12, v11
	v_min_u32_e32 v12, 32, v12
	s_delay_alu instid0(VALU_DEP_1) | instskip(SKIP_1) | instid1(VALU_DEP_2)
	v_subrev_nc_u32_e32 v98, 28, v12
	v_sub_nc_u32_e32 v12, 29, v12
	v_lshlrev_b32_e32 v10, v98, v10
	v_bfe_u32 v98, v13, 27, 4
	s_delay_alu instid0(VALU_DEP_2) | instskip(NEXT) | instid1(VALU_DEP_2)
	v_and_b32_e32 v10, 7, v10
	v_cmp_eq_u32_e32 vcc_lo, 0, v98
	v_cndmask_b32_e32 v12, v98, v12, vcc_lo
	s_delay_alu instid0(VALU_DEP_3) | instskip(NEXT) | instid1(VALU_DEP_2)
	v_dual_cndmask_b32 v10, v11, v10 :: v_dual_and_b32 v11, 0x80000000, v13
	v_lshl_add_u32 v12, v12, 23, 0x3b800000
	s_delay_alu instid0(VALU_DEP_2) | instskip(NEXT) | instid1(VALU_DEP_1)
	v_lshlrev_b32_e32 v10, 20, v10
	v_or3_b32 v11, v11, v12, v10
.LBB2_2214:                             ;   in Loop: Header=BB2_2021 Depth=2
	s_or_b32 exec_lo, exec_lo, s25
	s_delay_alu instid0(VALU_DEP_1) | instskip(SKIP_2) | instid1(VALU_DEP_2)
	v_mul_f32_e32 v10, s24, v11
	v_mov_b32_e32 v98, 0x8000
	s_mov_b32 s24, exec_lo
	v_and_b32_e32 v11, 0x7f800000, v10
	s_delay_alu instid0(VALU_DEP_1)
	v_cmpx_ne_u32_e32 0x7f800000, v11
	s_cbranch_execz .LBB2_2222
; %bb.2215:                             ;   in Loop: Header=BB2_2021 Depth=2
	v_mov_b32_e32 v98, 0
	s_mov_b32 s25, exec_lo
	v_cmpx_ne_u32_e32 0, v10
	s_cbranch_execz .LBB2_2221
; %bb.2216:                             ;   in Loop: Header=BB2_2021 Depth=2
	v_bfe_u32 v11, v10, 23, 8
	s_delay_alu instid0(VALU_DEP_1) | instskip(SKIP_1) | instid1(VALU_DEP_2)
	v_sub_nc_u32_e32 v13, 0x78, v11
	v_cmp_gt_u32_e32 vcc_lo, 0x79, v11
	v_dual_cndmask_b32 v13, 0, v13 :: v_dual_and_b32 v12, 0x7fffff, v10
	s_delay_alu instid0(VALU_DEP_1) | instskip(SKIP_2) | instid1(VALU_DEP_4)
	v_or_b32_e32 v98, 0x800000, v12
	v_cmp_eq_u32_e32 vcc_lo, 0, v11
	v_add_nc_u32_e32 v11, 0xffffff89, v11
	v_cndmask_b32_e64 v13, v13, 0x77, vcc_lo
	s_delay_alu instid0(VALU_DEP_4) | instskip(NEXT) | instid1(VALU_DEP_3)
	v_cndmask_b32_e32 v12, v98, v12, vcc_lo
	v_cndmask_b32_e64 v11, v11, 0xffffff8a, vcc_lo
	s_delay_alu instid0(VALU_DEP_3) | instskip(NEXT) | instid1(VALU_DEP_3)
	v_lshl_add_u32 v98, 0x100000, v13, -1
	v_lshrrev_b32_e32 v117, v13, v12
	v_lshlrev_b32_e64 v119, v13, 0x80000
	s_delay_alu instid0(VALU_DEP_4) | instskip(NEXT) | instid1(VALU_DEP_4)
	v_add_nc_u32_e32 v13, v13, v11
	v_and_b32_e32 v12, v98, v12
	s_delay_alu instid0(VALU_DEP_4) | instskip(NEXT) | instid1(VALU_DEP_2)
	v_bfe_u32 v118, v117, 20, 1
	v_cmp_eq_u32_e64 s10, v12, v119
	s_delay_alu instid0(VALU_DEP_2) | instskip(NEXT) | instid1(VALU_DEP_1)
	v_add_nc_u32_e32 v98, -1, v118
	v_cndmask_b32_e64 v12, 0, v98, s10
	v_lshrrev_b32_e32 v98, 23, v117
	s_mov_b32 s10, exec_lo
	s_delay_alu instid0(VALU_DEP_2) | instskip(NEXT) | instid1(VALU_DEP_2)
	v_add_nc_u32_e32 v12, v12, v117
	v_xor_b32_e32 v98, 1, v98
	s_delay_alu instid0(VALU_DEP_2) | instskip(NEXT) | instid1(VALU_DEP_1)
	v_and_b32_e32 v11, 0xfffff, v12
	v_add_nc_u32_e32 v12, v11, v117
                                        ; implicit-def: $vgpr11
	s_delay_alu instid0(VALU_DEP_3)
	v_cmpx_ne_u32_e64 v13, v98
	s_xor_b32 s10, exec_lo, s10
; %bb.2217:                             ;   in Loop: Header=BB2_2021 Depth=2
	s_delay_alu instid0(VALU_DEP_2) | instskip(SKIP_2) | instid1(VALU_DEP_2)
	v_cmp_lt_u32_e32 vcc_lo, 0xffffff, v12
	v_sub_nc_u32_e32 v11, v13, v98
	v_cndmask_b32_e64 v13, 0, 1, vcc_lo
	v_add_co_ci_u32_e32 v11, vcc_lo, 0, v11, vcc_lo
	s_delay_alu instid0(VALU_DEP_2)
	v_lshrrev_b32_e32 v12, v13, v12
; %bb.2218:                             ;   in Loop: Header=BB2_2021 Depth=2
	s_and_not1_saveexec_b32 s10, s10
; %bb.2219:                             ;   in Loop: Header=BB2_2021 Depth=2
	s_delay_alu instid0(VALU_DEP_1)
	v_bfe_u32 v11, v12, 23, 1
; %bb.2220:                             ;   in Loop: Header=BB2_2021 Depth=2
	s_or_b32 exec_lo, exec_lo, s10
	v_lshrrev_b32_e32 v12, 20, v12
	s_delay_alu instid0(VALU_DEP_2) | instskip(SKIP_2) | instid1(VALU_DEP_2)
	v_cmp_gt_i32_e32 vcc_lo, 16, v11
	v_min_i32_e32 v13, 15, v11
	v_lshrrev_b32_e32 v10, 24, v10
	v_dual_cndmask_b32 v12, 7, v12 :: v_dual_lshlrev_b32 v13, 3, v13
	s_delay_alu instid0(VALU_DEP_2) | instskip(NEXT) | instid1(VALU_DEP_2)
	v_and_b32_e32 v10, 0x80, v10
	v_or_b32_e32 v11, v11, v12
	v_and_b32_e32 v98, 7, v12
	s_delay_alu instid0(VALU_DEP_2) | instskip(SKIP_1) | instid1(VALU_DEP_1)
	v_cmp_ne_u32_e32 vcc_lo, 0, v11
	v_and_b32_e32 v13, 0xf8, v13
	v_or3_b32 v10, v10, v13, v98
	s_delay_alu instid0(VALU_DEP_1) | instskip(NEXT) | instid1(VALU_DEP_1)
	v_lshlrev_b32_e32 v10, 8, v10
	v_cndmask_b32_e32 v98, 0, v10, vcc_lo
.LBB2_2221:                             ;   in Loop: Header=BB2_2021 Depth=2
	s_or_b32 exec_lo, exec_lo, s25
.LBB2_2222:                             ;   in Loop: Header=BB2_2021 Depth=2
	s_delay_alu instid0(SALU_CYCLE_1) | instskip(SKIP_4) | instid1(VALU_DEP_1)
	s_or_b32 exec_lo, exec_lo, s24
	global_load_b128 v[10:13], v[37:38], off slc dlc
	v_and_b32_e32 v118, 0xff, v85
	s_mov_b32 s10, 0
	s_mov_b32 s25, exec_lo
                                        ; implicit-def: $sgpr24
	v_cmpx_lt_i16_e32 0x7f, v118
	s_xor_b32 s25, exec_lo, s25
	s_cbranch_execnz .LBB2_2540
; %bb.2223:                             ;   in Loop: Header=BB2_2021 Depth=2
	s_or_saveexec_b32 s25, s25
	v_mov_b32_e32 v117, s24
	s_xor_b32 exec_lo, exec_lo, s25
	s_cbranch_execnz .LBB2_2543
.LBB2_2224:                             ;   in Loop: Header=BB2_2021 Depth=2
	s_or_b32 exec_lo, exec_lo, s25
	s_and_saveexec_b32 s24, s10
	s_cbranch_execz .LBB2_2226
.LBB2_2225:                             ;   in Loop: Header=BB2_2021 Depth=2
	v_bfe_u32 v128, v85, 3, 4
	s_delay_alu instid0(VALU_DEP_1) | instskip(SKIP_1) | instid1(VALU_DEP_1)
	v_cmp_eq_u32_e32 vcc_lo, 0, v128
	v_and_b32_e32 v117, 7, v85
	v_clz_i32_u32_e32 v118, v117
	s_delay_alu instid0(VALU_DEP_1) | instskip(NEXT) | instid1(VALU_DEP_1)
	v_min_u32_e32 v118, 32, v118
	v_subrev_nc_u32_e32 v119, 28, v118
	v_sub_nc_u32_e32 v118, 29, v118
	s_delay_alu instid0(VALU_DEP_1) | instskip(SKIP_1) | instid1(VALU_DEP_2)
	v_dual_cndmask_b32 v118, v128, v118 :: v_dual_lshlrev_b32 v119, v119, v85
	v_lshlrev_b32_e32 v85, 24, v85
	v_and_b32_e32 v119, 7, v119
	s_delay_alu instid0(VALU_DEP_3) | instskip(NEXT) | instid1(VALU_DEP_3)
	v_lshl_add_u32 v118, v118, 23, 0x3b800000
	v_and_b32_e32 v85, 0x80000000, v85
	s_delay_alu instid0(VALU_DEP_3) | instskip(NEXT) | instid1(VALU_DEP_1)
	v_cndmask_b32_e32 v117, v117, v119, vcc_lo
	v_lshlrev_b32_e32 v117, 20, v117
	s_delay_alu instid0(VALU_DEP_1)
	v_or3_b32 v117, v85, v118, v117
.LBB2_2226:                             ;   in Loop: Header=BB2_2021 Depth=2
	s_or_b32 exec_lo, exec_lo, s24
	s_waitcnt vmcnt(0)
	v_and_b32_e32 v118, 0xff, v10
	s_mov_b32 s10, 0
	s_mov_b32 s25, exec_lo
                                        ; implicit-def: $sgpr24
	s_delay_alu instid0(VALU_DEP_1)
	v_cmpx_lt_i16_e32 0x7f, v118
	s_xor_b32 s25, exec_lo, s25
	s_cbranch_execnz .LBB2_2544
; %bb.2227:                             ;   in Loop: Header=BB2_2021 Depth=2
	s_or_saveexec_b32 s25, s25
	v_mov_b32_e32 v85, s24
	s_xor_b32 exec_lo, exec_lo, s25
	s_cbranch_execnz .LBB2_2547
.LBB2_2228:                             ;   in Loop: Header=BB2_2021 Depth=2
	s_or_b32 exec_lo, exec_lo, s25
	s_and_saveexec_b32 s24, s10
	s_cbranch_execz .LBB2_2230
.LBB2_2229:                             ;   in Loop: Header=BB2_2021 Depth=2
	v_and_b32_e32 v85, 7, v10
	v_bfe_u32 v128, v10, 3, 4
	v_lshlrev_b32_e32 v129, 24, v10
	s_delay_alu instid0(VALU_DEP_3) | instskip(NEXT) | instid1(VALU_DEP_3)
	v_clz_i32_u32_e32 v118, v85
	v_cmp_eq_u32_e32 vcc_lo, 0, v128
	s_delay_alu instid0(VALU_DEP_2) | instskip(NEXT) | instid1(VALU_DEP_1)
	v_min_u32_e32 v118, 32, v118
	v_subrev_nc_u32_e32 v119, 28, v118
	v_sub_nc_u32_e32 v118, 29, v118
	s_delay_alu instid0(VALU_DEP_2) | instskip(NEXT) | instid1(VALU_DEP_1)
	v_lshlrev_b32_e32 v119, v119, v10
	v_dual_cndmask_b32 v118, v128, v118 :: v_dual_and_b32 v119, 7, v119
	s_delay_alu instid0(VALU_DEP_1) | instskip(NEXT) | instid1(VALU_DEP_2)
	v_lshl_add_u32 v118, v118, 23, 0x3b800000
	v_cndmask_b32_e32 v85, v85, v119, vcc_lo
	v_and_b32_e32 v119, 0x80000000, v129
	s_delay_alu instid0(VALU_DEP_2) | instskip(NEXT) | instid1(VALU_DEP_1)
	v_lshlrev_b32_e32 v85, 20, v85
	v_or3_b32 v85, v119, v118, v85
.LBB2_2230:                             ;   in Loop: Header=BB2_2021 Depth=2
	s_or_b32 exec_lo, exec_lo, s24
	s_delay_alu instid0(VALU_DEP_1) | instskip(NEXT) | instid1(VALU_DEP_1)
	v_add_f32_e32 v117, v117, v85
	v_and_b32_e32 v85, 0x7f800000, v117
	s_delay_alu instid0(VALU_DEP_1)
	v_cmp_ne_u32_e32 vcc_lo, 0x7f800000, v85
	v_mov_b32_e32 v85, 0x80
	s_and_saveexec_b32 s24, vcc_lo
	s_cbranch_execz .LBB2_2238
; %bb.2231:                             ;   in Loop: Header=BB2_2021 Depth=2
	v_mov_b32_e32 v85, 0
	s_mov_b32 s25, exec_lo
	v_cmpx_ne_u32_e32 0, v117
	s_cbranch_execz .LBB2_2237
; %bb.2232:                             ;   in Loop: Header=BB2_2021 Depth=2
	v_bfe_u32 v85, v117, 23, 8
	s_delay_alu instid0(VALU_DEP_1) | instskip(SKIP_1) | instid1(VALU_DEP_2)
	v_sub_nc_u32_e32 v119, 0x78, v85
	v_cmp_gt_u32_e32 vcc_lo, 0x79, v85
	v_dual_cndmask_b32 v119, 0, v119 :: v_dual_and_b32 v118, 0x7fffff, v117
	s_delay_alu instid0(VALU_DEP_1) | instskip(SKIP_2) | instid1(VALU_DEP_4)
	v_or_b32_e32 v128, 0x800000, v118
	v_cmp_eq_u32_e32 vcc_lo, 0, v85
	v_add_nc_u32_e32 v85, 0xffffff89, v85
	v_cndmask_b32_e64 v119, v119, 0x77, vcc_lo
	s_delay_alu instid0(VALU_DEP_4) | instskip(NEXT) | instid1(VALU_DEP_3)
	v_cndmask_b32_e32 v118, v128, v118, vcc_lo
	v_cndmask_b32_e64 v85, v85, 0xffffff8a, vcc_lo
	s_delay_alu instid0(VALU_DEP_3) | instskip(NEXT) | instid1(VALU_DEP_3)
	v_lshl_add_u32 v128, 0x100000, v119, -1
	v_lshrrev_b32_e32 v129, v119, v118
	v_lshlrev_b32_e64 v131, v119, 0x80000
	s_delay_alu instid0(VALU_DEP_4) | instskip(NEXT) | instid1(VALU_DEP_4)
	v_add_nc_u32_e32 v119, v119, v85
	v_and_b32_e32 v118, v128, v118
	s_delay_alu instid0(VALU_DEP_4) | instskip(NEXT) | instid1(VALU_DEP_2)
	v_bfe_u32 v130, v129, 20, 1
	v_cmp_eq_u32_e64 s10, v118, v131
	s_delay_alu instid0(VALU_DEP_2) | instskip(NEXT) | instid1(VALU_DEP_1)
	v_add_nc_u32_e32 v128, -1, v130
	v_cndmask_b32_e64 v118, 0, v128, s10
	v_lshrrev_b32_e32 v128, 23, v129
	s_mov_b32 s10, exec_lo
	s_delay_alu instid0(VALU_DEP_2) | instskip(NEXT) | instid1(VALU_DEP_2)
	v_add_nc_u32_e32 v118, v118, v129
	v_xor_b32_e32 v128, 1, v128
	s_delay_alu instid0(VALU_DEP_2) | instskip(NEXT) | instid1(VALU_DEP_1)
	v_and_b32_e32 v85, 0xfffff, v118
	v_add_nc_u32_e32 v118, v85, v129
                                        ; implicit-def: $vgpr85
	s_delay_alu instid0(VALU_DEP_3)
	v_cmpx_ne_u32_e64 v119, v128
	s_xor_b32 s10, exec_lo, s10
; %bb.2233:                             ;   in Loop: Header=BB2_2021 Depth=2
	s_delay_alu instid0(VALU_DEP_2) | instskip(SKIP_2) | instid1(VALU_DEP_2)
	v_cmp_lt_u32_e32 vcc_lo, 0xffffff, v118
	v_sub_nc_u32_e32 v85, v119, v128
	v_cndmask_b32_e64 v119, 0, 1, vcc_lo
	v_add_co_ci_u32_e32 v85, vcc_lo, 0, v85, vcc_lo
	s_delay_alu instid0(VALU_DEP_2)
	v_lshrrev_b32_e32 v118, v119, v118
; %bb.2234:                             ;   in Loop: Header=BB2_2021 Depth=2
	s_and_not1_saveexec_b32 s10, s10
; %bb.2235:                             ;   in Loop: Header=BB2_2021 Depth=2
	s_delay_alu instid0(VALU_DEP_1)
	v_bfe_u32 v85, v118, 23, 1
; %bb.2236:                             ;   in Loop: Header=BB2_2021 Depth=2
	s_or_b32 exec_lo, exec_lo, s10
	v_lshrrev_b32_e32 v118, 20, v118
	s_delay_alu instid0(VALU_DEP_2) | instskip(SKIP_2) | instid1(VALU_DEP_2)
	v_cmp_gt_i32_e32 vcc_lo, 16, v85
	v_lshrrev_b32_e32 v117, 24, v117
	v_min_i32_e32 v119, 15, v85
	v_dual_cndmask_b32 v118, 7, v118 :: v_dual_and_b32 v117, 0x80, v117
	s_delay_alu instid0(VALU_DEP_2) | instskip(NEXT) | instid1(VALU_DEP_2)
	v_lshlrev_b32_e32 v119, 3, v119
	v_or_b32_e32 v85, v85, v118
	s_delay_alu instid0(VALU_DEP_1) | instskip(SKIP_1) | instid1(VALU_DEP_1)
	v_cmp_ne_u32_e32 vcc_lo, 0, v85
	v_and_b32_e32 v128, 7, v118
	v_or3_b32 v117, v119, v117, v128
	s_delay_alu instid0(VALU_DEP_1)
	v_cndmask_b32_e32 v85, 0, v117, vcc_lo
.LBB2_2237:                             ;   in Loop: Header=BB2_2021 Depth=2
	s_or_b32 exec_lo, exec_lo, s25
.LBB2_2238:                             ;   in Loop: Header=BB2_2021 Depth=2
	s_delay_alu instid0(SALU_CYCLE_1) | instskip(SKIP_3) | instid1(VALU_DEP_1)
	s_or_b32 exec_lo, exec_lo, s24
	v_and_b32_e32 v118, 0xff, v97
	s_mov_b32 s10, 0
	s_mov_b32 s25, exec_lo
                                        ; implicit-def: $sgpr24
	v_cmpx_lt_i16_e32 0x7f, v118
	s_xor_b32 s25, exec_lo, s25
	s_cbranch_execnz .LBB2_2548
; %bb.2239:                             ;   in Loop: Header=BB2_2021 Depth=2
	s_or_saveexec_b32 s25, s25
	v_mov_b32_e32 v117, s24
	s_xor_b32 exec_lo, exec_lo, s25
	s_cbranch_execnz .LBB2_2551
.LBB2_2240:                             ;   in Loop: Header=BB2_2021 Depth=2
	s_or_b32 exec_lo, exec_lo, s25
	s_and_saveexec_b32 s24, s10
	s_cbranch_execz .LBB2_2242
.LBB2_2241:                             ;   in Loop: Header=BB2_2021 Depth=2
	v_bfe_u32 v128, v97, 3, 4
	s_delay_alu instid0(VALU_DEP_1) | instskip(SKIP_1) | instid1(VALU_DEP_1)
	v_cmp_eq_u32_e32 vcc_lo, 0, v128
	v_and_b32_e32 v117, 7, v97
	v_clz_i32_u32_e32 v118, v117
	s_delay_alu instid0(VALU_DEP_1) | instskip(NEXT) | instid1(VALU_DEP_1)
	v_min_u32_e32 v118, 32, v118
	v_subrev_nc_u32_e32 v119, 28, v118
	v_sub_nc_u32_e32 v118, 29, v118
	s_delay_alu instid0(VALU_DEP_1) | instskip(SKIP_1) | instid1(VALU_DEP_2)
	v_dual_cndmask_b32 v118, v128, v118 :: v_dual_lshlrev_b32 v119, v119, v97
	v_lshlrev_b32_e32 v97, 24, v97
	v_and_b32_e32 v119, 7, v119
	s_delay_alu instid0(VALU_DEP_3) | instskip(NEXT) | instid1(VALU_DEP_3)
	v_lshl_add_u32 v118, v118, 23, 0x3b800000
	v_and_b32_e32 v97, 0x80000000, v97
	s_delay_alu instid0(VALU_DEP_3) | instskip(NEXT) | instid1(VALU_DEP_1)
	v_cndmask_b32_e32 v117, v117, v119, vcc_lo
	v_lshlrev_b32_e32 v117, 20, v117
	s_delay_alu instid0(VALU_DEP_1)
	v_or3_b32 v117, v97, v118, v117
.LBB2_2242:                             ;   in Loop: Header=BB2_2021 Depth=2
	s_or_b32 exec_lo, exec_lo, s24
	v_lshrrev_b16 v97, 8, v10
	s_mov_b32 s10, 0
	s_mov_b32 s25, exec_lo
                                        ; implicit-def: $sgpr24
	s_delay_alu instid0(VALU_DEP_1)
	v_cmpx_lt_i16_e32 0x7f, v97
	s_xor_b32 s25, exec_lo, s25
	s_cbranch_execnz .LBB2_2552
; %bb.2243:                             ;   in Loop: Header=BB2_2021 Depth=2
	s_or_saveexec_b32 s25, s25
	v_mov_b32_e32 v118, s24
	s_xor_b32 exec_lo, exec_lo, s25
	s_cbranch_execnz .LBB2_2555
.LBB2_2244:                             ;   in Loop: Header=BB2_2021 Depth=2
	s_or_b32 exec_lo, exec_lo, s25
	s_and_saveexec_b32 s24, s10
	s_cbranch_execz .LBB2_2246
.LBB2_2245:                             ;   in Loop: Header=BB2_2021 Depth=2
	v_and_b32_e32 v118, 0xffff, v97
	v_lshlrev_b32_e32 v97, 24, v97
	s_delay_alu instid0(VALU_DEP_2) | instskip(NEXT) | instid1(VALU_DEP_2)
	v_and_b32_e32 v119, 7, v118
	v_and_b32_e32 v97, 0x80000000, v97
	s_delay_alu instid0(VALU_DEP_2) | instskip(NEXT) | instid1(VALU_DEP_1)
	v_clz_i32_u32_e32 v128, v119
	v_min_u32_e32 v128, 32, v128
	s_delay_alu instid0(VALU_DEP_1) | instskip(SKIP_1) | instid1(VALU_DEP_2)
	v_subrev_nc_u32_e32 v129, 28, v128
	v_sub_nc_u32_e32 v128, 29, v128
	v_lshlrev_b32_e32 v129, v129, v118
	v_bfe_u32 v118, v118, 3, 4
	s_delay_alu instid0(VALU_DEP_2) | instskip(NEXT) | instid1(VALU_DEP_2)
	v_and_b32_e32 v129, 7, v129
	v_cmp_eq_u32_e32 vcc_lo, 0, v118
	s_delay_alu instid0(VALU_DEP_2) | instskip(NEXT) | instid1(VALU_DEP_1)
	v_dual_cndmask_b32 v118, v118, v128 :: v_dual_cndmask_b32 v119, v119, v129
	v_lshl_add_u32 v118, v118, 23, 0x3b800000
	s_delay_alu instid0(VALU_DEP_2) | instskip(NEXT) | instid1(VALU_DEP_1)
	v_lshlrev_b32_e32 v119, 20, v119
	v_or3_b32 v118, v97, v118, v119
.LBB2_2246:                             ;   in Loop: Header=BB2_2021 Depth=2
	s_or_b32 exec_lo, exec_lo, s24
	s_delay_alu instid0(VALU_DEP_1) | instskip(NEXT) | instid1(VALU_DEP_1)
	v_add_f32_e32 v117, v117, v118
	v_and_b32_e32 v97, 0x7f800000, v117
	s_delay_alu instid0(VALU_DEP_1)
	v_cmp_ne_u32_e32 vcc_lo, 0x7f800000, v97
	v_mov_b32_e32 v97, 0x80
	s_and_saveexec_b32 s24, vcc_lo
	s_cbranch_execz .LBB2_2254
; %bb.2247:                             ;   in Loop: Header=BB2_2021 Depth=2
	v_mov_b32_e32 v97, 0
	s_mov_b32 s25, exec_lo
	v_cmpx_ne_u32_e32 0, v117
	s_cbranch_execz .LBB2_2253
; %bb.2248:                             ;   in Loop: Header=BB2_2021 Depth=2
	v_bfe_u32 v97, v117, 23, 8
	s_delay_alu instid0(VALU_DEP_1) | instskip(SKIP_1) | instid1(VALU_DEP_2)
	v_sub_nc_u32_e32 v119, 0x78, v97
	v_cmp_gt_u32_e32 vcc_lo, 0x79, v97
	v_dual_cndmask_b32 v119, 0, v119 :: v_dual_and_b32 v118, 0x7fffff, v117
	s_delay_alu instid0(VALU_DEP_1) | instskip(SKIP_2) | instid1(VALU_DEP_4)
	v_or_b32_e32 v128, 0x800000, v118
	v_cmp_eq_u32_e32 vcc_lo, 0, v97
	v_add_nc_u32_e32 v97, 0xffffff89, v97
	v_cndmask_b32_e64 v119, v119, 0x77, vcc_lo
	s_delay_alu instid0(VALU_DEP_4) | instskip(NEXT) | instid1(VALU_DEP_3)
	v_cndmask_b32_e32 v118, v128, v118, vcc_lo
	v_cndmask_b32_e64 v97, v97, 0xffffff8a, vcc_lo
	s_delay_alu instid0(VALU_DEP_3) | instskip(NEXT) | instid1(VALU_DEP_3)
	v_lshl_add_u32 v128, 0x100000, v119, -1
	v_lshrrev_b32_e32 v129, v119, v118
	v_lshlrev_b32_e64 v131, v119, 0x80000
	s_delay_alu instid0(VALU_DEP_4) | instskip(NEXT) | instid1(VALU_DEP_4)
	v_add_nc_u32_e32 v119, v119, v97
	v_and_b32_e32 v118, v128, v118
	s_delay_alu instid0(VALU_DEP_4) | instskip(NEXT) | instid1(VALU_DEP_2)
	v_bfe_u32 v130, v129, 20, 1
	v_cmp_eq_u32_e64 s10, v118, v131
	s_delay_alu instid0(VALU_DEP_2) | instskip(NEXT) | instid1(VALU_DEP_1)
	v_add_nc_u32_e32 v128, -1, v130
	v_cndmask_b32_e64 v118, 0, v128, s10
	v_lshrrev_b32_e32 v128, 23, v129
	s_mov_b32 s10, exec_lo
	s_delay_alu instid0(VALU_DEP_2) | instskip(NEXT) | instid1(VALU_DEP_2)
	v_add_nc_u32_e32 v118, v118, v129
	v_xor_b32_e32 v128, 1, v128
	s_delay_alu instid0(VALU_DEP_2) | instskip(NEXT) | instid1(VALU_DEP_1)
	v_and_b32_e32 v97, 0xfffff, v118
	v_add_nc_u32_e32 v118, v97, v129
                                        ; implicit-def: $vgpr97
	s_delay_alu instid0(VALU_DEP_3)
	v_cmpx_ne_u32_e64 v119, v128
	s_xor_b32 s10, exec_lo, s10
; %bb.2249:                             ;   in Loop: Header=BB2_2021 Depth=2
	s_delay_alu instid0(VALU_DEP_2) | instskip(SKIP_2) | instid1(VALU_DEP_2)
	v_cmp_lt_u32_e32 vcc_lo, 0xffffff, v118
	v_sub_nc_u32_e32 v97, v119, v128
	v_cndmask_b32_e64 v119, 0, 1, vcc_lo
	v_add_co_ci_u32_e32 v97, vcc_lo, 0, v97, vcc_lo
	s_delay_alu instid0(VALU_DEP_2)
	v_lshrrev_b32_e32 v118, v119, v118
; %bb.2250:                             ;   in Loop: Header=BB2_2021 Depth=2
	s_and_not1_saveexec_b32 s10, s10
; %bb.2251:                             ;   in Loop: Header=BB2_2021 Depth=2
	s_delay_alu instid0(VALU_DEP_1)
	v_bfe_u32 v97, v118, 23, 1
; %bb.2252:                             ;   in Loop: Header=BB2_2021 Depth=2
	s_or_b32 exec_lo, exec_lo, s10
	v_lshrrev_b32_e32 v118, 20, v118
	s_delay_alu instid0(VALU_DEP_2) | instskip(SKIP_2) | instid1(VALU_DEP_2)
	v_cmp_gt_i32_e32 vcc_lo, 16, v97
	v_lshrrev_b32_e32 v117, 24, v117
	v_min_i32_e32 v119, 15, v97
	v_dual_cndmask_b32 v118, 7, v118 :: v_dual_and_b32 v117, 0x80, v117
	s_delay_alu instid0(VALU_DEP_2) | instskip(NEXT) | instid1(VALU_DEP_2)
	v_lshlrev_b32_e32 v119, 3, v119
	v_or_b32_e32 v97, v97, v118
	s_delay_alu instid0(VALU_DEP_1) | instskip(SKIP_1) | instid1(VALU_DEP_1)
	v_cmp_ne_u32_e32 vcc_lo, 0, v97
	v_and_b32_e32 v128, 7, v118
	v_or3_b32 v117, v119, v117, v128
	s_delay_alu instid0(VALU_DEP_1)
	v_cndmask_b32_e32 v97, 0, v117, vcc_lo
.LBB2_2253:                             ;   in Loop: Header=BB2_2021 Depth=2
	s_or_b32 exec_lo, exec_lo, s25
.LBB2_2254:                             ;   in Loop: Header=BB2_2021 Depth=2
	s_delay_alu instid0(SALU_CYCLE_1) | instskip(SKIP_3) | instid1(VALU_DEP_1)
	s_or_b32 exec_lo, exec_lo, s24
	v_and_b32_e32 v118, 0xff, v103
	s_mov_b32 s10, 0
	s_mov_b32 s25, exec_lo
                                        ; implicit-def: $sgpr24
	v_cmpx_lt_i16_e32 0x7f, v118
	s_xor_b32 s25, exec_lo, s25
	s_cbranch_execnz .LBB2_2556
; %bb.2255:                             ;   in Loop: Header=BB2_2021 Depth=2
	s_or_saveexec_b32 s25, s25
	v_mov_b32_e32 v117, s24
	s_xor_b32 exec_lo, exec_lo, s25
	s_cbranch_execnz .LBB2_2559
.LBB2_2256:                             ;   in Loop: Header=BB2_2021 Depth=2
	s_or_b32 exec_lo, exec_lo, s25
	s_and_saveexec_b32 s24, s10
	s_cbranch_execz .LBB2_2258
.LBB2_2257:                             ;   in Loop: Header=BB2_2021 Depth=2
	v_bfe_u32 v128, v103, 3, 4
	s_delay_alu instid0(VALU_DEP_1) | instskip(SKIP_1) | instid1(VALU_DEP_1)
	v_cmp_eq_u32_e32 vcc_lo, 0, v128
	v_and_b32_e32 v117, 7, v103
	v_clz_i32_u32_e32 v118, v117
	s_delay_alu instid0(VALU_DEP_1) | instskip(NEXT) | instid1(VALU_DEP_1)
	v_min_u32_e32 v118, 32, v118
	v_subrev_nc_u32_e32 v119, 28, v118
	v_sub_nc_u32_e32 v118, 29, v118
	s_delay_alu instid0(VALU_DEP_1) | instskip(SKIP_1) | instid1(VALU_DEP_2)
	v_dual_cndmask_b32 v118, v128, v118 :: v_dual_lshlrev_b32 v119, v119, v103
	v_lshlrev_b32_e32 v103, 24, v103
	v_and_b32_e32 v119, 7, v119
	s_delay_alu instid0(VALU_DEP_3) | instskip(NEXT) | instid1(VALU_DEP_3)
	v_lshl_add_u32 v118, v118, 23, 0x3b800000
	v_and_b32_e32 v103, 0x80000000, v103
	s_delay_alu instid0(VALU_DEP_3) | instskip(NEXT) | instid1(VALU_DEP_1)
	v_cndmask_b32_e32 v117, v117, v119, vcc_lo
	v_lshlrev_b32_e32 v117, 20, v117
	s_delay_alu instid0(VALU_DEP_1)
	v_or3_b32 v117, v103, v118, v117
.LBB2_2258:                             ;   in Loop: Header=BB2_2021 Depth=2
	s_or_b32 exec_lo, exec_lo, s24
	v_lshrrev_b32_e32 v103, 16, v10
	s_mov_b32 s10, 0
	s_mov_b32 s25, exec_lo
                                        ; implicit-def: $sgpr24
	s_delay_alu instid0(VALU_DEP_1) | instskip(NEXT) | instid1(VALU_DEP_1)
	v_and_b32_e32 v119, 0xff, v103
	v_cmpx_lt_i16_e32 0x7f, v119
	s_xor_b32 s25, exec_lo, s25
	s_cbranch_execnz .LBB2_2560
; %bb.2259:                             ;   in Loop: Header=BB2_2021 Depth=2
	s_or_saveexec_b32 s25, s25
	v_mov_b32_e32 v118, s24
	s_xor_b32 exec_lo, exec_lo, s25
	s_cbranch_execnz .LBB2_2563
.LBB2_2260:                             ;   in Loop: Header=BB2_2021 Depth=2
	s_or_b32 exec_lo, exec_lo, s25
	s_and_saveexec_b32 s24, s10
	s_cbranch_execz .LBB2_2262
.LBB2_2261:                             ;   in Loop: Header=BB2_2021 Depth=2
	v_bfe_u32 v118, v10, 16, 3
	v_lshlrev_b32_e32 v129, 8, v10
	s_delay_alu instid0(VALU_DEP_2) | instskip(NEXT) | instid1(VALU_DEP_1)
	v_clz_i32_u32_e32 v119, v118
	v_min_u32_e32 v119, 32, v119
	s_delay_alu instid0(VALU_DEP_1) | instskip(SKIP_1) | instid1(VALU_DEP_2)
	v_subrev_nc_u32_e32 v128, 28, v119
	v_sub_nc_u32_e32 v119, 29, v119
	v_lshlrev_b32_e32 v103, v128, v103
	v_bfe_u32 v128, v10, 19, 4
	s_delay_alu instid0(VALU_DEP_2) | instskip(NEXT) | instid1(VALU_DEP_2)
	v_and_b32_e32 v103, 7, v103
	v_cmp_eq_u32_e32 vcc_lo, 0, v128
	v_cndmask_b32_e32 v119, v128, v119, vcc_lo
	s_delay_alu instid0(VALU_DEP_3) | instskip(NEXT) | instid1(VALU_DEP_2)
	v_dual_cndmask_b32 v103, v118, v103 :: v_dual_and_b32 v118, 0x80000000, v129
	v_lshl_add_u32 v119, v119, 23, 0x3b800000
	s_delay_alu instid0(VALU_DEP_2) | instskip(NEXT) | instid1(VALU_DEP_1)
	v_lshlrev_b32_e32 v103, 20, v103
	v_or3_b32 v118, v118, v119, v103
.LBB2_2262:                             ;   in Loop: Header=BB2_2021 Depth=2
	s_or_b32 exec_lo, exec_lo, s24
	s_delay_alu instid0(VALU_DEP_1) | instskip(NEXT) | instid1(VALU_DEP_1)
	v_add_f32_e32 v117, v117, v118
	v_and_b32_e32 v103, 0x7f800000, v117
	s_delay_alu instid0(VALU_DEP_1)
	v_cmp_ne_u32_e32 vcc_lo, 0x7f800000, v103
	v_mov_b32_e32 v103, 0x80
	s_and_saveexec_b32 s24, vcc_lo
	s_cbranch_execz .LBB2_2270
; %bb.2263:                             ;   in Loop: Header=BB2_2021 Depth=2
	v_mov_b32_e32 v103, 0
	s_mov_b32 s25, exec_lo
	v_cmpx_ne_u32_e32 0, v117
	s_cbranch_execz .LBB2_2269
; %bb.2264:                             ;   in Loop: Header=BB2_2021 Depth=2
	v_bfe_u32 v103, v117, 23, 8
	s_delay_alu instid0(VALU_DEP_1) | instskip(SKIP_1) | instid1(VALU_DEP_2)
	v_sub_nc_u32_e32 v119, 0x78, v103
	v_cmp_gt_u32_e32 vcc_lo, 0x79, v103
	v_dual_cndmask_b32 v119, 0, v119 :: v_dual_and_b32 v118, 0x7fffff, v117
	s_delay_alu instid0(VALU_DEP_1) | instskip(SKIP_2) | instid1(VALU_DEP_4)
	v_or_b32_e32 v128, 0x800000, v118
	v_cmp_eq_u32_e32 vcc_lo, 0, v103
	v_add_nc_u32_e32 v103, 0xffffff89, v103
	v_cndmask_b32_e64 v119, v119, 0x77, vcc_lo
	s_delay_alu instid0(VALU_DEP_4) | instskip(NEXT) | instid1(VALU_DEP_3)
	v_cndmask_b32_e32 v118, v128, v118, vcc_lo
	v_cndmask_b32_e64 v103, v103, 0xffffff8a, vcc_lo
	s_delay_alu instid0(VALU_DEP_3) | instskip(NEXT) | instid1(VALU_DEP_3)
	v_lshl_add_u32 v128, 0x100000, v119, -1
	v_lshrrev_b32_e32 v129, v119, v118
	v_lshlrev_b32_e64 v131, v119, 0x80000
	s_delay_alu instid0(VALU_DEP_4) | instskip(NEXT) | instid1(VALU_DEP_4)
	v_add_nc_u32_e32 v119, v119, v103
	v_and_b32_e32 v118, v128, v118
	s_delay_alu instid0(VALU_DEP_4) | instskip(NEXT) | instid1(VALU_DEP_2)
	v_bfe_u32 v130, v129, 20, 1
	v_cmp_eq_u32_e64 s10, v118, v131
	s_delay_alu instid0(VALU_DEP_2) | instskip(NEXT) | instid1(VALU_DEP_1)
	v_add_nc_u32_e32 v128, -1, v130
	v_cndmask_b32_e64 v118, 0, v128, s10
	v_lshrrev_b32_e32 v128, 23, v129
	s_mov_b32 s10, exec_lo
	s_delay_alu instid0(VALU_DEP_2) | instskip(NEXT) | instid1(VALU_DEP_2)
	v_add_nc_u32_e32 v118, v118, v129
	v_xor_b32_e32 v128, 1, v128
	s_delay_alu instid0(VALU_DEP_2) | instskip(NEXT) | instid1(VALU_DEP_1)
	v_and_b32_e32 v103, 0xfffff, v118
	v_add_nc_u32_e32 v118, v103, v129
                                        ; implicit-def: $vgpr103
	s_delay_alu instid0(VALU_DEP_3)
	v_cmpx_ne_u32_e64 v119, v128
	s_xor_b32 s10, exec_lo, s10
; %bb.2265:                             ;   in Loop: Header=BB2_2021 Depth=2
	s_delay_alu instid0(VALU_DEP_2) | instskip(SKIP_2) | instid1(VALU_DEP_2)
	v_cmp_lt_u32_e32 vcc_lo, 0xffffff, v118
	v_sub_nc_u32_e32 v103, v119, v128
	v_cndmask_b32_e64 v119, 0, 1, vcc_lo
	v_add_co_ci_u32_e32 v103, vcc_lo, 0, v103, vcc_lo
	s_delay_alu instid0(VALU_DEP_2)
	v_lshrrev_b32_e32 v118, v119, v118
; %bb.2266:                             ;   in Loop: Header=BB2_2021 Depth=2
	s_and_not1_saveexec_b32 s10, s10
; %bb.2267:                             ;   in Loop: Header=BB2_2021 Depth=2
	s_delay_alu instid0(VALU_DEP_1)
	v_bfe_u32 v103, v118, 23, 1
; %bb.2268:                             ;   in Loop: Header=BB2_2021 Depth=2
	s_or_b32 exec_lo, exec_lo, s10
	v_lshrrev_b32_e32 v118, 20, v118
	s_delay_alu instid0(VALU_DEP_2) | instskip(SKIP_2) | instid1(VALU_DEP_2)
	v_cmp_gt_i32_e32 vcc_lo, 16, v103
	v_lshrrev_b32_e32 v117, 24, v117
	v_min_i32_e32 v119, 15, v103
	v_dual_cndmask_b32 v118, 7, v118 :: v_dual_and_b32 v117, 0x80, v117
	s_delay_alu instid0(VALU_DEP_2) | instskip(NEXT) | instid1(VALU_DEP_2)
	v_lshlrev_b32_e32 v119, 3, v119
	v_or_b32_e32 v103, v103, v118
	s_delay_alu instid0(VALU_DEP_1) | instskip(SKIP_1) | instid1(VALU_DEP_1)
	v_cmp_ne_u32_e32 vcc_lo, 0, v103
	v_and_b32_e32 v128, 7, v118
	v_or3_b32 v117, v119, v117, v128
	s_delay_alu instid0(VALU_DEP_1)
	v_cndmask_b32_e32 v103, 0, v117, vcc_lo
.LBB2_2269:                             ;   in Loop: Header=BB2_2021 Depth=2
	s_or_b32 exec_lo, exec_lo, s25
.LBB2_2270:                             ;   in Loop: Header=BB2_2021 Depth=2
	s_delay_alu instid0(SALU_CYCLE_1) | instskip(SKIP_3) | instid1(VALU_DEP_1)
	s_or_b32 exec_lo, exec_lo, s24
	v_and_b32_e32 v118, 0xff, v114
	s_mov_b32 s10, 0
	s_mov_b32 s25, exec_lo
                                        ; implicit-def: $sgpr24
	v_cmpx_lt_i16_e32 0x7f, v118
	s_xor_b32 s25, exec_lo, s25
	s_cbranch_execnz .LBB2_2564
; %bb.2271:                             ;   in Loop: Header=BB2_2021 Depth=2
	s_or_saveexec_b32 s25, s25
	v_mov_b32_e32 v117, s24
	s_xor_b32 exec_lo, exec_lo, s25
	s_cbranch_execnz .LBB2_2567
.LBB2_2272:                             ;   in Loop: Header=BB2_2021 Depth=2
	s_or_b32 exec_lo, exec_lo, s25
	s_and_saveexec_b32 s24, s10
	s_cbranch_execz .LBB2_2274
.LBB2_2273:                             ;   in Loop: Header=BB2_2021 Depth=2
	v_lshlrev_b32_e32 v114, 8, v114
	s_delay_alu instid0(VALU_DEP_1) | instskip(SKIP_1) | instid1(VALU_DEP_2)
	v_and_b32_e32 v117, 0xff00, v114
	v_bfe_u32 v114, v114, 11, 4
	v_bfe_u32 v119, v117, 8, 3
	s_delay_alu instid0(VALU_DEP_2) | instskip(NEXT) | instid1(VALU_DEP_2)
	v_cmp_eq_u32_e32 vcc_lo, 0, v114
	v_clz_i32_u32_e32 v128, v119
	s_delay_alu instid0(VALU_DEP_1) | instskip(NEXT) | instid1(VALU_DEP_1)
	v_min_u32_e32 v128, 32, v128
	v_subrev_nc_u32_e32 v129, 28, v128
	v_sub_nc_u32_e32 v128, 29, v128
	s_delay_alu instid0(VALU_DEP_2) | instskip(NEXT) | instid1(VALU_DEP_2)
	v_lshlrev_b32_e32 v118, v129, v118
	v_cndmask_b32_e32 v114, v114, v128, vcc_lo
	s_delay_alu instid0(VALU_DEP_2) | instskip(SKIP_1) | instid1(VALU_DEP_3)
	v_and_b32_e32 v118, 7, v118
	v_lshlrev_b32_e32 v117, 16, v117
	v_lshl_add_u32 v114, v114, 23, 0x3b800000
	s_delay_alu instid0(VALU_DEP_2) | instskip(NEXT) | instid1(VALU_DEP_1)
	v_dual_cndmask_b32 v118, v119, v118 :: v_dual_and_b32 v117, 0x80000000, v117
	v_lshlrev_b32_e32 v118, 20, v118
	s_delay_alu instid0(VALU_DEP_1)
	v_or3_b32 v117, v117, v114, v118
.LBB2_2274:                             ;   in Loop: Header=BB2_2021 Depth=2
	s_or_b32 exec_lo, exec_lo, s24
	v_lshrrev_b32_e32 v114, 24, v10
	s_mov_b32 s10, 0
	s_mov_b32 s25, exec_lo
                                        ; implicit-def: $sgpr24
	s_delay_alu instid0(VALU_DEP_1)
	v_cmpx_lt_i16_e32 0x7f, v114
	s_xor_b32 s25, exec_lo, s25
	s_cbranch_execnz .LBB2_2568
; %bb.2275:                             ;   in Loop: Header=BB2_2021 Depth=2
	s_or_saveexec_b32 s25, s25
	v_mov_b32_e32 v118, s24
	s_xor_b32 exec_lo, exec_lo, s25
	s_cbranch_execnz .LBB2_2571
.LBB2_2276:                             ;   in Loop: Header=BB2_2021 Depth=2
	s_or_b32 exec_lo, exec_lo, s25
	s_and_saveexec_b32 s24, s10
	s_cbranch_execz .LBB2_2278
.LBB2_2277:                             ;   in Loop: Header=BB2_2021 Depth=2
	v_bfe_u32 v118, v10, 24, 3
	s_delay_alu instid0(VALU_DEP_1) | instskip(NEXT) | instid1(VALU_DEP_1)
	v_clz_i32_u32_e32 v119, v118
	v_min_u32_e32 v119, 32, v119
	s_delay_alu instid0(VALU_DEP_1) | instskip(SKIP_1) | instid1(VALU_DEP_2)
	v_subrev_nc_u32_e32 v128, 28, v119
	v_sub_nc_u32_e32 v119, 29, v119
	v_lshlrev_b32_e32 v114, v128, v114
	v_bfe_u32 v128, v10, 27, 4
	v_and_b32_e32 v10, 0x80000000, v10
	s_delay_alu instid0(VALU_DEP_2) | instskip(NEXT) | instid1(VALU_DEP_4)
	v_cmp_eq_u32_e32 vcc_lo, 0, v128
	v_dual_cndmask_b32 v119, v128, v119 :: v_dual_and_b32 v114, 7, v114
	s_delay_alu instid0(VALU_DEP_1) | instskip(NEXT) | instid1(VALU_DEP_2)
	v_cndmask_b32_e32 v114, v118, v114, vcc_lo
	v_lshl_add_u32 v118, v119, 23, 0x3b800000
	s_delay_alu instid0(VALU_DEP_2) | instskip(NEXT) | instid1(VALU_DEP_1)
	v_lshlrev_b32_e32 v114, 20, v114
	v_or3_b32 v118, v10, v118, v114
.LBB2_2278:                             ;   in Loop: Header=BB2_2021 Depth=2
	s_or_b32 exec_lo, exec_lo, s24
	s_delay_alu instid0(VALU_DEP_1) | instskip(NEXT) | instid1(VALU_DEP_1)
	v_add_f32_e32 v114, v117, v118
	v_and_b32_e32 v10, 0x7f800000, v114
	s_delay_alu instid0(VALU_DEP_1)
	v_cmp_ne_u32_e32 vcc_lo, 0x7f800000, v10
	v_mov_b32_e32 v10, 0x80
	s_and_saveexec_b32 s24, vcc_lo
	s_cbranch_execz .LBB2_2286
; %bb.2279:                             ;   in Loop: Header=BB2_2021 Depth=2
	v_mov_b32_e32 v10, 0
	s_mov_b32 s25, exec_lo
	v_cmpx_ne_u32_e32 0, v114
	s_cbranch_execz .LBB2_2285
; %bb.2280:                             ;   in Loop: Header=BB2_2021 Depth=2
	v_bfe_u32 v10, v114, 23, 8
	v_and_b32_e32 v117, 0x7fffff, v114
	s_delay_alu instid0(VALU_DEP_2) | instskip(SKIP_1) | instid1(VALU_DEP_3)
	v_sub_nc_u32_e32 v118, 0x78, v10
	v_cmp_gt_u32_e32 vcc_lo, 0x79, v10
	v_or_b32_e32 v119, 0x800000, v117
	s_delay_alu instid0(VALU_DEP_3) | instskip(SKIP_1) | instid1(VALU_DEP_3)
	v_cndmask_b32_e32 v118, 0, v118, vcc_lo
	v_cmp_eq_u32_e32 vcc_lo, 0, v10
	v_dual_cndmask_b32 v117, v119, v117 :: v_dual_add_nc_u32 v10, 0xffffff89, v10
	s_delay_alu instid0(VALU_DEP_3) | instskip(NEXT) | instid1(VALU_DEP_2)
	v_cndmask_b32_e64 v118, v118, 0x77, vcc_lo
	v_cndmask_b32_e64 v10, v10, 0xffffff8a, vcc_lo
	s_delay_alu instid0(VALU_DEP_2) | instskip(SKIP_2) | instid1(VALU_DEP_4)
	v_lshrrev_b32_e32 v128, v118, v117
	v_lshl_add_u32 v119, 0x100000, v118, -1
	v_lshlrev_b32_e64 v130, v118, 0x80000
	v_add_nc_u32_e32 v118, v118, v10
	s_delay_alu instid0(VALU_DEP_4) | instskip(NEXT) | instid1(VALU_DEP_4)
	v_bfe_u32 v129, v128, 20, 1
	v_and_b32_e32 v117, v119, v117
	s_delay_alu instid0(VALU_DEP_2) | instskip(NEXT) | instid1(VALU_DEP_2)
	v_add_nc_u32_e32 v119, -1, v129
	v_cmp_eq_u32_e64 s10, v117, v130
	s_delay_alu instid0(VALU_DEP_1) | instskip(SKIP_2) | instid1(VALU_DEP_2)
	v_cndmask_b32_e64 v117, 0, v119, s10
	v_lshrrev_b32_e32 v119, 23, v128
	s_mov_b32 s10, exec_lo
	v_add_nc_u32_e32 v117, v117, v128
	s_delay_alu instid0(VALU_DEP_2) | instskip(NEXT) | instid1(VALU_DEP_2)
	v_xor_b32_e32 v119, 1, v119
	v_and_b32_e32 v10, 0xfffff, v117
	s_delay_alu instid0(VALU_DEP_1) | instskip(NEXT) | instid1(VALU_DEP_3)
	v_add_nc_u32_e32 v117, v10, v128
                                        ; implicit-def: $vgpr10
	v_cmpx_ne_u32_e64 v118, v119
	s_xor_b32 s10, exec_lo, s10
; %bb.2281:                             ;   in Loop: Header=BB2_2021 Depth=2
	s_delay_alu instid0(VALU_DEP_2) | instskip(SKIP_2) | instid1(VALU_DEP_2)
	v_cmp_lt_u32_e32 vcc_lo, 0xffffff, v117
	v_sub_nc_u32_e32 v10, v118, v119
	v_cndmask_b32_e64 v118, 0, 1, vcc_lo
	v_add_co_ci_u32_e32 v10, vcc_lo, 0, v10, vcc_lo
	s_delay_alu instid0(VALU_DEP_2)
	v_lshrrev_b32_e32 v117, v118, v117
; %bb.2282:                             ;   in Loop: Header=BB2_2021 Depth=2
	s_and_not1_saveexec_b32 s10, s10
; %bb.2283:                             ;   in Loop: Header=BB2_2021 Depth=2
	s_delay_alu instid0(VALU_DEP_1)
	v_bfe_u32 v10, v117, 23, 1
; %bb.2284:                             ;   in Loop: Header=BB2_2021 Depth=2
	s_or_b32 exec_lo, exec_lo, s10
	v_lshrrev_b32_e32 v117, 20, v117
	s_delay_alu instid0(VALU_DEP_2) | instskip(SKIP_2) | instid1(VALU_DEP_2)
	v_cmp_gt_i32_e32 vcc_lo, 16, v10
	v_lshrrev_b32_e32 v114, 24, v114
	v_min_i32_e32 v118, 15, v10
	v_dual_cndmask_b32 v117, 7, v117 :: v_dual_and_b32 v114, 0x80, v114
	s_delay_alu instid0(VALU_DEP_2) | instskip(NEXT) | instid1(VALU_DEP_2)
	v_lshlrev_b32_e32 v118, 3, v118
	v_or_b32_e32 v10, v10, v117
	s_delay_alu instid0(VALU_DEP_1) | instskip(SKIP_1) | instid1(VALU_DEP_1)
	v_cmp_ne_u32_e32 vcc_lo, 0, v10
	v_and_b32_e32 v119, 7, v117
	v_or3_b32 v114, v118, v114, v119
	s_delay_alu instid0(VALU_DEP_1)
	v_cndmask_b32_e32 v10, 0, v114, vcc_lo
.LBB2_2285:                             ;   in Loop: Header=BB2_2021 Depth=2
	s_or_b32 exec_lo, exec_lo, s25
.LBB2_2286:                             ;   in Loop: Header=BB2_2021 Depth=2
	s_delay_alu instid0(SALU_CYCLE_1) | instskip(SKIP_3) | instid1(VALU_DEP_1)
	s_or_b32 exec_lo, exec_lo, s24
	v_or_b32_e32 v116, v116, v113
	s_mov_b32 s10, 0
	s_mov_b32 s25, exec_lo
                                        ; implicit-def: $sgpr24
	v_and_b32_e32 v114, 0xff, v116
	s_delay_alu instid0(VALU_DEP_1)
	v_cmpx_lt_i16_e32 0x7f, v114
	s_xor_b32 s25, exec_lo, s25
	s_cbranch_execnz .LBB2_2572
; %bb.2287:                             ;   in Loop: Header=BB2_2021 Depth=2
	s_or_saveexec_b32 s25, s25
	v_mov_b32_e32 v113, s24
	s_xor_b32 exec_lo, exec_lo, s25
	s_cbranch_execnz .LBB2_2575
.LBB2_2288:                             ;   in Loop: Header=BB2_2021 Depth=2
	s_or_b32 exec_lo, exec_lo, s25
	s_and_saveexec_b32 s24, s10
	s_cbranch_execz .LBB2_2290
.LBB2_2289:                             ;   in Loop: Header=BB2_2021 Depth=2
	v_bfe_u32 v118, v116, 3, 4
	v_lshlrev_b32_e32 v119, 24, v116
	s_delay_alu instid0(VALU_DEP_2) | instskip(SKIP_1) | instid1(VALU_DEP_1)
	v_cmp_eq_u32_e32 vcc_lo, 0, v118
	v_and_b32_e32 v113, 7, v116
	v_clz_i32_u32_e32 v114, v113
	s_delay_alu instid0(VALU_DEP_1) | instskip(NEXT) | instid1(VALU_DEP_1)
	v_min_u32_e32 v114, 32, v114
	v_subrev_nc_u32_e32 v117, 28, v114
	v_sub_nc_u32_e32 v114, 29, v114
	s_delay_alu instid0(VALU_DEP_1) | instskip(NEXT) | instid1(VALU_DEP_1)
	v_dual_cndmask_b32 v114, v118, v114 :: v_dual_lshlrev_b32 v117, v117, v116
	v_and_b32_e32 v117, 7, v117
	s_delay_alu instid0(VALU_DEP_2) | instskip(NEXT) | instid1(VALU_DEP_2)
	v_lshl_add_u32 v114, v114, 23, 0x3b800000
	v_cndmask_b32_e32 v113, v113, v117, vcc_lo
	v_and_b32_e32 v117, 0x80000000, v119
	s_delay_alu instid0(VALU_DEP_2) | instskip(NEXT) | instid1(VALU_DEP_1)
	v_lshlrev_b32_e32 v113, 20, v113
	v_or3_b32 v113, v117, v114, v113
.LBB2_2290:                             ;   in Loop: Header=BB2_2021 Depth=2
	s_or_b32 exec_lo, exec_lo, s24
	v_and_b32_e32 v117, 0xff, v11
	s_mov_b32 s10, 0
	s_mov_b32 s25, exec_lo
                                        ; implicit-def: $sgpr24
	s_delay_alu instid0(VALU_DEP_1)
	v_cmpx_lt_i16_e32 0x7f, v117
	s_xor_b32 s25, exec_lo, s25
	s_cbranch_execnz .LBB2_2576
; %bb.2291:                             ;   in Loop: Header=BB2_2021 Depth=2
	s_or_saveexec_b32 s25, s25
	v_mov_b32_e32 v114, s24
	s_xor_b32 exec_lo, exec_lo, s25
	s_cbranch_execnz .LBB2_2579
.LBB2_2292:                             ;   in Loop: Header=BB2_2021 Depth=2
	s_or_b32 exec_lo, exec_lo, s25
	s_and_saveexec_b32 s24, s10
	s_cbranch_execz .LBB2_2294
.LBB2_2293:                             ;   in Loop: Header=BB2_2021 Depth=2
	v_bfe_u32 v119, v11, 3, 4
	v_lshlrev_b32_e32 v128, 24, v11
	s_delay_alu instid0(VALU_DEP_2) | instskip(SKIP_1) | instid1(VALU_DEP_1)
	v_cmp_eq_u32_e32 vcc_lo, 0, v119
	v_and_b32_e32 v114, 7, v11
	v_clz_i32_u32_e32 v117, v114
	s_delay_alu instid0(VALU_DEP_1) | instskip(NEXT) | instid1(VALU_DEP_1)
	v_min_u32_e32 v117, 32, v117
	v_subrev_nc_u32_e32 v118, 28, v117
	v_sub_nc_u32_e32 v117, 29, v117
	s_delay_alu instid0(VALU_DEP_1) | instskip(NEXT) | instid1(VALU_DEP_1)
	v_dual_cndmask_b32 v117, v119, v117 :: v_dual_lshlrev_b32 v118, v118, v11
	v_and_b32_e32 v118, 7, v118
	s_delay_alu instid0(VALU_DEP_2) | instskip(NEXT) | instid1(VALU_DEP_2)
	v_lshl_add_u32 v117, v117, 23, 0x3b800000
	v_cndmask_b32_e32 v114, v114, v118, vcc_lo
	v_and_b32_e32 v118, 0x80000000, v128
	s_delay_alu instid0(VALU_DEP_2) | instskip(NEXT) | instid1(VALU_DEP_1)
	v_lshlrev_b32_e32 v114, 20, v114
	v_or3_b32 v114, v118, v117, v114
.LBB2_2294:                             ;   in Loop: Header=BB2_2021 Depth=2
	s_or_b32 exec_lo, exec_lo, s24
	s_delay_alu instid0(VALU_DEP_1) | instskip(NEXT) | instid1(VALU_DEP_1)
	v_add_f32_e32 v114, v113, v114
	v_and_b32_e32 v113, 0x7f800000, v114
	s_delay_alu instid0(VALU_DEP_1)
	v_cmp_ne_u32_e32 vcc_lo, 0x7f800000, v113
	v_mov_b32_e32 v113, 0x80
	s_and_saveexec_b32 s24, vcc_lo
	s_cbranch_execz .LBB2_2302
; %bb.2295:                             ;   in Loop: Header=BB2_2021 Depth=2
	v_mov_b32_e32 v113, 0
	s_mov_b32 s25, exec_lo
	v_cmpx_ne_u32_e32 0, v114
	s_cbranch_execz .LBB2_2301
; %bb.2296:                             ;   in Loop: Header=BB2_2021 Depth=2
	v_bfe_u32 v113, v114, 23, 8
	v_and_b32_e32 v117, 0x7fffff, v114
	s_delay_alu instid0(VALU_DEP_2) | instskip(SKIP_1) | instid1(VALU_DEP_3)
	v_sub_nc_u32_e32 v118, 0x78, v113
	v_cmp_gt_u32_e32 vcc_lo, 0x79, v113
	v_or_b32_e32 v119, 0x800000, v117
	s_delay_alu instid0(VALU_DEP_3) | instskip(SKIP_2) | instid1(VALU_DEP_4)
	v_cndmask_b32_e32 v118, 0, v118, vcc_lo
	v_cmp_eq_u32_e32 vcc_lo, 0, v113
	v_add_nc_u32_e32 v113, 0xffffff89, v113
	v_cndmask_b32_e32 v117, v119, v117, vcc_lo
	s_delay_alu instid0(VALU_DEP_4) | instskip(NEXT) | instid1(VALU_DEP_3)
	v_cndmask_b32_e64 v118, v118, 0x77, vcc_lo
	v_cndmask_b32_e64 v113, v113, 0xffffff8a, vcc_lo
	s_delay_alu instid0(VALU_DEP_2) | instskip(SKIP_2) | instid1(VALU_DEP_4)
	v_lshrrev_b32_e32 v128, v118, v117
	v_lshl_add_u32 v119, 0x100000, v118, -1
	v_lshlrev_b32_e64 v130, v118, 0x80000
	v_add_nc_u32_e32 v118, v118, v113
	s_delay_alu instid0(VALU_DEP_4) | instskip(NEXT) | instid1(VALU_DEP_4)
	v_bfe_u32 v129, v128, 20, 1
	v_and_b32_e32 v117, v119, v117
	s_delay_alu instid0(VALU_DEP_2) | instskip(NEXT) | instid1(VALU_DEP_2)
	v_add_nc_u32_e32 v119, -1, v129
	v_cmp_eq_u32_e64 s10, v117, v130
	s_delay_alu instid0(VALU_DEP_1) | instskip(SKIP_2) | instid1(VALU_DEP_2)
	v_cndmask_b32_e64 v117, 0, v119, s10
	v_lshrrev_b32_e32 v119, 23, v128
	s_mov_b32 s10, exec_lo
	v_add_nc_u32_e32 v117, v117, v128
	s_delay_alu instid0(VALU_DEP_2) | instskip(NEXT) | instid1(VALU_DEP_2)
	v_xor_b32_e32 v119, 1, v119
	v_and_b32_e32 v113, 0xfffff, v117
	s_delay_alu instid0(VALU_DEP_1) | instskip(NEXT) | instid1(VALU_DEP_3)
	v_add_nc_u32_e32 v117, v113, v128
                                        ; implicit-def: $vgpr113
	v_cmpx_ne_u32_e64 v118, v119
	s_xor_b32 s10, exec_lo, s10
; %bb.2297:                             ;   in Loop: Header=BB2_2021 Depth=2
	s_delay_alu instid0(VALU_DEP_2) | instskip(SKIP_2) | instid1(VALU_DEP_2)
	v_cmp_lt_u32_e32 vcc_lo, 0xffffff, v117
	v_sub_nc_u32_e32 v113, v118, v119
	v_cndmask_b32_e64 v118, 0, 1, vcc_lo
	v_add_co_ci_u32_e32 v113, vcc_lo, 0, v113, vcc_lo
	s_delay_alu instid0(VALU_DEP_2)
	v_lshrrev_b32_e32 v117, v118, v117
; %bb.2298:                             ;   in Loop: Header=BB2_2021 Depth=2
	s_and_not1_saveexec_b32 s10, s10
; %bb.2299:                             ;   in Loop: Header=BB2_2021 Depth=2
	s_delay_alu instid0(VALU_DEP_1)
	v_bfe_u32 v113, v117, 23, 1
; %bb.2300:                             ;   in Loop: Header=BB2_2021 Depth=2
	s_or_b32 exec_lo, exec_lo, s10
	v_lshrrev_b32_e32 v117, 20, v117
	s_delay_alu instid0(VALU_DEP_2) | instskip(SKIP_2) | instid1(VALU_DEP_2)
	v_cmp_gt_i32_e32 vcc_lo, 16, v113
	v_lshrrev_b32_e32 v114, 24, v114
	v_min_i32_e32 v118, 15, v113
	v_dual_cndmask_b32 v117, 7, v117 :: v_dual_and_b32 v114, 0x80, v114
	s_delay_alu instid0(VALU_DEP_2) | instskip(NEXT) | instid1(VALU_DEP_2)
	v_lshlrev_b32_e32 v118, 3, v118
	v_and_b32_e32 v119, 7, v117
	v_or_b32_e32 v113, v113, v117
	s_delay_alu instid0(VALU_DEP_2) | instskip(NEXT) | instid1(VALU_DEP_2)
	v_or3_b32 v114, v118, v114, v119
	v_cmp_ne_u32_e32 vcc_lo, 0, v113
	s_delay_alu instid0(VALU_DEP_2)
	v_cndmask_b32_e32 v113, 0, v114, vcc_lo
.LBB2_2301:                             ;   in Loop: Header=BB2_2021 Depth=2
	s_or_b32 exec_lo, exec_lo, s25
.LBB2_2302:                             ;   in Loop: Header=BB2_2021 Depth=2
	s_delay_alu instid0(SALU_CYCLE_1) | instskip(SKIP_3) | instid1(VALU_DEP_1)
	s_or_b32 exec_lo, exec_lo, s24
	v_lshrrev_b16 v117, 8, v116
	s_mov_b32 s10, 0
	s_mov_b32 s25, exec_lo
                                        ; implicit-def: $sgpr24
	v_cmpx_lt_i16_e32 0x7f, v117
	s_xor_b32 s25, exec_lo, s25
	s_cbranch_execnz .LBB2_2580
; %bb.2303:                             ;   in Loop: Header=BB2_2021 Depth=2
	s_or_saveexec_b32 s25, s25
	v_mov_b32_e32 v114, s24
	s_xor_b32 exec_lo, exec_lo, s25
	s_cbranch_execnz .LBB2_2583
.LBB2_2304:                             ;   in Loop: Header=BB2_2021 Depth=2
	s_or_b32 exec_lo, exec_lo, s25
	s_and_saveexec_b32 s24, s10
	s_cbranch_execz .LBB2_2306
.LBB2_2305:                             ;   in Loop: Header=BB2_2021 Depth=2
	v_and_b32_e32 v114, 0xffff, v117
	s_delay_alu instid0(VALU_DEP_1) | instskip(NEXT) | instid1(VALU_DEP_1)
	v_and_b32_e32 v118, 7, v114
	v_clz_i32_u32_e32 v119, v118
	s_delay_alu instid0(VALU_DEP_1) | instskip(NEXT) | instid1(VALU_DEP_1)
	v_min_u32_e32 v119, 32, v119
	v_subrev_nc_u32_e32 v128, 28, v119
	v_sub_nc_u32_e32 v119, 29, v119
	s_delay_alu instid0(VALU_DEP_2) | instskip(SKIP_1) | instid1(VALU_DEP_2)
	v_lshlrev_b32_e32 v128, v128, v114
	v_bfe_u32 v114, v114, 3, 4
	v_and_b32_e32 v128, 7, v128
	s_delay_alu instid0(VALU_DEP_2) | instskip(SKIP_1) | instid1(VALU_DEP_1)
	v_cmp_eq_u32_e32 vcc_lo, 0, v114
	v_dual_cndmask_b32 v114, v114, v119 :: v_dual_lshlrev_b32 v117, 24, v117
	v_dual_cndmask_b32 v118, v118, v128 :: v_dual_and_b32 v117, 0x80000000, v117
	s_delay_alu instid0(VALU_DEP_2) | instskip(NEXT) | instid1(VALU_DEP_2)
	v_lshl_add_u32 v114, v114, 23, 0x3b800000
	v_lshlrev_b32_e32 v118, 20, v118
	s_delay_alu instid0(VALU_DEP_1)
	v_or3_b32 v114, v117, v114, v118
.LBB2_2306:                             ;   in Loop: Header=BB2_2021 Depth=2
	s_or_b32 exec_lo, exec_lo, s24
	v_lshrrev_b16 v117, 8, v11
	s_mov_b32 s10, 0
	s_mov_b32 s25, exec_lo
                                        ; implicit-def: $sgpr24
	s_delay_alu instid0(VALU_DEP_1)
	v_cmpx_lt_i16_e32 0x7f, v117
	s_xor_b32 s25, exec_lo, s25
	s_cbranch_execnz .LBB2_2584
; %bb.2307:                             ;   in Loop: Header=BB2_2021 Depth=2
	s_or_saveexec_b32 s25, s25
	v_mov_b32_e32 v118, s24
	s_xor_b32 exec_lo, exec_lo, s25
	s_cbranch_execnz .LBB2_2587
.LBB2_2308:                             ;   in Loop: Header=BB2_2021 Depth=2
	s_or_b32 exec_lo, exec_lo, s25
	s_and_saveexec_b32 s24, s10
	s_cbranch_execz .LBB2_2310
.LBB2_2309:                             ;   in Loop: Header=BB2_2021 Depth=2
	v_and_b32_e32 v118, 0xffff, v117
	v_lshlrev_b32_e32 v117, 24, v117
	s_delay_alu instid0(VALU_DEP_2) | instskip(NEXT) | instid1(VALU_DEP_2)
	v_and_b32_e32 v119, 7, v118
	v_and_b32_e32 v117, 0x80000000, v117
	s_delay_alu instid0(VALU_DEP_2) | instskip(NEXT) | instid1(VALU_DEP_1)
	v_clz_i32_u32_e32 v128, v119
	v_min_u32_e32 v128, 32, v128
	s_delay_alu instid0(VALU_DEP_1) | instskip(SKIP_1) | instid1(VALU_DEP_2)
	v_subrev_nc_u32_e32 v129, 28, v128
	v_sub_nc_u32_e32 v128, 29, v128
	v_lshlrev_b32_e32 v129, v129, v118
	v_bfe_u32 v118, v118, 3, 4
	s_delay_alu instid0(VALU_DEP_2) | instskip(NEXT) | instid1(VALU_DEP_2)
	v_and_b32_e32 v129, 7, v129
	v_cmp_eq_u32_e32 vcc_lo, 0, v118
	s_delay_alu instid0(VALU_DEP_2) | instskip(NEXT) | instid1(VALU_DEP_1)
	v_dual_cndmask_b32 v118, v118, v128 :: v_dual_cndmask_b32 v119, v119, v129
	v_lshl_add_u32 v118, v118, 23, 0x3b800000
	s_delay_alu instid0(VALU_DEP_2) | instskip(NEXT) | instid1(VALU_DEP_1)
	v_lshlrev_b32_e32 v119, 20, v119
	v_or3_b32 v118, v117, v118, v119
.LBB2_2310:                             ;   in Loop: Header=BB2_2021 Depth=2
	s_or_b32 exec_lo, exec_lo, s24
	s_delay_alu instid0(VALU_DEP_1) | instskip(NEXT) | instid1(VALU_DEP_1)
	v_add_f32_e32 v117, v114, v118
	v_and_b32_e32 v114, 0x7f800000, v117
	s_delay_alu instid0(VALU_DEP_1)
	v_cmp_ne_u32_e32 vcc_lo, 0x7f800000, v114
	v_mov_b32_e32 v114, 0x8000
	s_and_saveexec_b32 s24, vcc_lo
	s_cbranch_execz .LBB2_2318
; %bb.2311:                             ;   in Loop: Header=BB2_2021 Depth=2
	v_mov_b32_e32 v114, 0
	s_mov_b32 s25, exec_lo
	v_cmpx_ne_u32_e32 0, v117
	s_cbranch_execz .LBB2_2317
; %bb.2312:                             ;   in Loop: Header=BB2_2021 Depth=2
	v_bfe_u32 v114, v117, 23, 8
	s_delay_alu instid0(VALU_DEP_1) | instskip(SKIP_1) | instid1(VALU_DEP_2)
	v_sub_nc_u32_e32 v119, 0x78, v114
	v_cmp_gt_u32_e32 vcc_lo, 0x79, v114
	v_dual_cndmask_b32 v119, 0, v119 :: v_dual_and_b32 v118, 0x7fffff, v117
	s_delay_alu instid0(VALU_DEP_1) | instskip(SKIP_2) | instid1(VALU_DEP_4)
	v_or_b32_e32 v128, 0x800000, v118
	v_cmp_eq_u32_e32 vcc_lo, 0, v114
	v_add_nc_u32_e32 v114, 0xffffff89, v114
	v_cndmask_b32_e64 v119, v119, 0x77, vcc_lo
	s_delay_alu instid0(VALU_DEP_4) | instskip(NEXT) | instid1(VALU_DEP_3)
	v_cndmask_b32_e32 v118, v128, v118, vcc_lo
	v_cndmask_b32_e64 v114, v114, 0xffffff8a, vcc_lo
	s_delay_alu instid0(VALU_DEP_3) | instskip(NEXT) | instid1(VALU_DEP_3)
	v_lshl_add_u32 v128, 0x100000, v119, -1
	v_lshrrev_b32_e32 v129, v119, v118
	v_lshlrev_b32_e64 v131, v119, 0x80000
	s_delay_alu instid0(VALU_DEP_4) | instskip(NEXT) | instid1(VALU_DEP_4)
	v_add_nc_u32_e32 v119, v119, v114
	v_and_b32_e32 v118, v128, v118
	s_delay_alu instid0(VALU_DEP_4) | instskip(NEXT) | instid1(VALU_DEP_2)
	v_bfe_u32 v130, v129, 20, 1
	v_cmp_eq_u32_e64 s10, v118, v131
	s_delay_alu instid0(VALU_DEP_2) | instskip(NEXT) | instid1(VALU_DEP_1)
	v_add_nc_u32_e32 v128, -1, v130
	v_cndmask_b32_e64 v118, 0, v128, s10
	v_lshrrev_b32_e32 v128, 23, v129
	s_mov_b32 s10, exec_lo
	s_delay_alu instid0(VALU_DEP_2) | instskip(NEXT) | instid1(VALU_DEP_2)
	v_add_nc_u32_e32 v118, v118, v129
	v_xor_b32_e32 v128, 1, v128
	s_delay_alu instid0(VALU_DEP_2) | instskip(NEXT) | instid1(VALU_DEP_1)
	v_and_b32_e32 v114, 0xfffff, v118
	v_add_nc_u32_e32 v118, v114, v129
                                        ; implicit-def: $vgpr114
	s_delay_alu instid0(VALU_DEP_3)
	v_cmpx_ne_u32_e64 v119, v128
	s_xor_b32 s10, exec_lo, s10
; %bb.2313:                             ;   in Loop: Header=BB2_2021 Depth=2
	s_delay_alu instid0(VALU_DEP_2) | instskip(SKIP_2) | instid1(VALU_DEP_2)
	v_cmp_lt_u32_e32 vcc_lo, 0xffffff, v118
	v_sub_nc_u32_e32 v114, v119, v128
	v_cndmask_b32_e64 v119, 0, 1, vcc_lo
	v_add_co_ci_u32_e32 v114, vcc_lo, 0, v114, vcc_lo
	s_delay_alu instid0(VALU_DEP_2)
	v_lshrrev_b32_e32 v118, v119, v118
; %bb.2314:                             ;   in Loop: Header=BB2_2021 Depth=2
	s_and_not1_saveexec_b32 s10, s10
; %bb.2315:                             ;   in Loop: Header=BB2_2021 Depth=2
	s_delay_alu instid0(VALU_DEP_1)
	v_bfe_u32 v114, v118, 23, 1
; %bb.2316:                             ;   in Loop: Header=BB2_2021 Depth=2
	s_or_b32 exec_lo, exec_lo, s10
	v_lshrrev_b32_e32 v118, 20, v118
	s_delay_alu instid0(VALU_DEP_2) | instskip(SKIP_2) | instid1(VALU_DEP_2)
	v_cmp_gt_i32_e32 vcc_lo, 16, v114
	v_min_i32_e32 v119, 15, v114
	v_lshrrev_b32_e32 v117, 24, v117
	v_dual_cndmask_b32 v118, 7, v118 :: v_dual_lshlrev_b32 v119, 3, v119
	s_delay_alu instid0(VALU_DEP_2) | instskip(NEXT) | instid1(VALU_DEP_2)
	v_and_b32_e32 v117, 0x80, v117
	v_or_b32_e32 v114, v114, v118
	v_and_b32_e32 v128, 7, v118
	s_delay_alu instid0(VALU_DEP_2) | instskip(SKIP_1) | instid1(VALU_DEP_1)
	v_cmp_ne_u32_e32 vcc_lo, 0, v114
	v_and_b32_e32 v119, 0xf8, v119
	v_or3_b32 v117, v117, v119, v128
	s_delay_alu instid0(VALU_DEP_1) | instskip(NEXT) | instid1(VALU_DEP_1)
	v_lshlrev_b32_e32 v117, 8, v117
	v_cndmask_b32_e32 v114, 0, v117, vcc_lo
.LBB2_2317:                             ;   in Loop: Header=BB2_2021 Depth=2
	s_or_b32 exec_lo, exec_lo, s25
.LBB2_2318:                             ;   in Loop: Header=BB2_2021 Depth=2
	s_delay_alu instid0(SALU_CYCLE_1) | instskip(SKIP_3) | instid1(VALU_DEP_1)
	s_or_b32 exec_lo, exec_lo, s24
	v_or_b32_e32 v115, v115, v112
	s_mov_b32 s10, 0
	s_mov_b32 s25, exec_lo
                                        ; implicit-def: $sgpr24
	v_and_b32_e32 v117, 0xff, v115
	s_delay_alu instid0(VALU_DEP_1)
	v_cmpx_lt_i16_e32 0x7f, v117
	s_xor_b32 s25, exec_lo, s25
	s_cbranch_execnz .LBB2_2588
; %bb.2319:                             ;   in Loop: Header=BB2_2021 Depth=2
	s_or_saveexec_b32 s25, s25
	v_mov_b32_e32 v112, s24
	s_xor_b32 exec_lo, exec_lo, s25
	s_cbranch_execnz .LBB2_2591
.LBB2_2320:                             ;   in Loop: Header=BB2_2021 Depth=2
	s_or_b32 exec_lo, exec_lo, s25
	v_lshl_or_b32 v115, v115, 16, v116
	s_and_saveexec_b32 s24, s10
	s_cbranch_execz .LBB2_2322
.LBB2_2321:                             ;   in Loop: Header=BB2_2021 Depth=2
	s_delay_alu instid0(VALU_DEP_1) | instskip(SKIP_1) | instid1(VALU_DEP_2)
	v_bfe_u32 v112, v115, 16, 3
	v_lshrrev_b32_e32 v117, 16, v115
	v_clz_i32_u32_e32 v116, v112
	s_delay_alu instid0(VALU_DEP_1) | instskip(NEXT) | instid1(VALU_DEP_1)
	v_min_u32_e32 v116, 32, v116
	v_subrev_nc_u32_e32 v118, 28, v116
	v_sub_nc_u32_e32 v116, 29, v116
	s_delay_alu instid0(VALU_DEP_2) | instskip(SKIP_1) | instid1(VALU_DEP_1)
	v_lshlrev_b32_e32 v117, v118, v117
	v_bfe_u32 v118, v115, 19, 4
	v_cmp_eq_u32_e32 vcc_lo, 0, v118
	s_delay_alu instid0(VALU_DEP_3) | instskip(NEXT) | instid1(VALU_DEP_1)
	v_dual_cndmask_b32 v116, v118, v116 :: v_dual_and_b32 v117, 7, v117
	v_dual_cndmask_b32 v112, v112, v117 :: v_dual_lshlrev_b32 v119, 8, v115
	s_delay_alu instid0(VALU_DEP_2) | instskip(NEXT) | instid1(VALU_DEP_2)
	v_lshl_add_u32 v116, v116, 23, 0x3b800000
	v_and_b32_e32 v117, 0x80000000, v119
	s_delay_alu instid0(VALU_DEP_3) | instskip(NEXT) | instid1(VALU_DEP_1)
	v_lshlrev_b32_e32 v112, 20, v112
	v_or3_b32 v112, v117, v116, v112
.LBB2_2322:                             ;   in Loop: Header=BB2_2021 Depth=2
	s_or_b32 exec_lo, exec_lo, s24
	v_lshrrev_b32_e32 v116, 16, v11
	s_mov_b32 s10, 0
	s_mov_b32 s25, exec_lo
                                        ; implicit-def: $sgpr24
	s_delay_alu instid0(VALU_DEP_1) | instskip(NEXT) | instid1(VALU_DEP_1)
	v_and_b32_e32 v118, 0xff, v116
	v_cmpx_lt_i16_e32 0x7f, v118
	s_xor_b32 s25, exec_lo, s25
	s_cbranch_execnz .LBB2_2592
; %bb.2323:                             ;   in Loop: Header=BB2_2021 Depth=2
	s_or_saveexec_b32 s25, s25
	v_mov_b32_e32 v117, s24
	s_xor_b32 exec_lo, exec_lo, s25
	s_cbranch_execnz .LBB2_2595
.LBB2_2324:                             ;   in Loop: Header=BB2_2021 Depth=2
	s_or_b32 exec_lo, exec_lo, s25
	s_and_saveexec_b32 s24, s10
	s_cbranch_execz .LBB2_2326
.LBB2_2325:                             ;   in Loop: Header=BB2_2021 Depth=2
	v_bfe_u32 v117, v11, 16, 3
	v_lshlrev_b32_e32 v128, 8, v11
	s_delay_alu instid0(VALU_DEP_2) | instskip(NEXT) | instid1(VALU_DEP_1)
	v_clz_i32_u32_e32 v118, v117
	v_min_u32_e32 v118, 32, v118
	s_delay_alu instid0(VALU_DEP_1) | instskip(SKIP_1) | instid1(VALU_DEP_2)
	v_subrev_nc_u32_e32 v119, 28, v118
	v_sub_nc_u32_e32 v118, 29, v118
	v_lshlrev_b32_e32 v116, v119, v116
	v_bfe_u32 v119, v11, 19, 4
	s_delay_alu instid0(VALU_DEP_2) | instskip(NEXT) | instid1(VALU_DEP_2)
	v_and_b32_e32 v116, 7, v116
	v_cmp_eq_u32_e32 vcc_lo, 0, v119
	v_cndmask_b32_e32 v118, v119, v118, vcc_lo
	s_delay_alu instid0(VALU_DEP_3) | instskip(SKIP_1) | instid1(VALU_DEP_3)
	v_cndmask_b32_e32 v116, v117, v116, vcc_lo
	v_and_b32_e32 v117, 0x80000000, v128
	v_lshl_add_u32 v118, v118, 23, 0x3b800000
	s_delay_alu instid0(VALU_DEP_3) | instskip(NEXT) | instid1(VALU_DEP_1)
	v_lshlrev_b32_e32 v116, 20, v116
	v_or3_b32 v117, v117, v118, v116
.LBB2_2326:                             ;   in Loop: Header=BB2_2021 Depth=2
	s_or_b32 exec_lo, exec_lo, s24
	s_delay_alu instid0(VALU_DEP_1) | instskip(NEXT) | instid1(VALU_DEP_1)
	v_add_f32_e32 v116, v112, v117
	v_and_b32_e32 v112, 0x7f800000, v116
	s_delay_alu instid0(VALU_DEP_1)
	v_cmp_ne_u32_e32 vcc_lo, 0x7f800000, v112
	v_mov_b32_e32 v112, 0x80
	s_and_saveexec_b32 s24, vcc_lo
	s_cbranch_execz .LBB2_2334
; %bb.2327:                             ;   in Loop: Header=BB2_2021 Depth=2
	v_mov_b32_e32 v112, 0
	s_mov_b32 s25, exec_lo
	v_cmpx_ne_u32_e32 0, v116
	s_cbranch_execz .LBB2_2333
; %bb.2328:                             ;   in Loop: Header=BB2_2021 Depth=2
	v_bfe_u32 v112, v116, 23, 8
	s_delay_alu instid0(VALU_DEP_1) | instskip(SKIP_1) | instid1(VALU_DEP_2)
	v_sub_nc_u32_e32 v118, 0x78, v112
	v_cmp_gt_u32_e32 vcc_lo, 0x79, v112
	v_dual_cndmask_b32 v118, 0, v118 :: v_dual_and_b32 v117, 0x7fffff, v116
	s_delay_alu instid0(VALU_DEP_1) | instskip(SKIP_2) | instid1(VALU_DEP_4)
	v_or_b32_e32 v119, 0x800000, v117
	v_cmp_eq_u32_e32 vcc_lo, 0, v112
	v_add_nc_u32_e32 v112, 0xffffff89, v112
	v_cndmask_b32_e64 v118, v118, 0x77, vcc_lo
	s_delay_alu instid0(VALU_DEP_4) | instskip(NEXT) | instid1(VALU_DEP_3)
	v_cndmask_b32_e32 v117, v119, v117, vcc_lo
	v_cndmask_b32_e64 v112, v112, 0xffffff8a, vcc_lo
	s_delay_alu instid0(VALU_DEP_3) | instskip(NEXT) | instid1(VALU_DEP_3)
	v_lshl_add_u32 v119, 0x100000, v118, -1
	v_lshrrev_b32_e32 v128, v118, v117
	v_lshlrev_b32_e64 v130, v118, 0x80000
	s_delay_alu instid0(VALU_DEP_4) | instskip(NEXT) | instid1(VALU_DEP_4)
	v_add_nc_u32_e32 v118, v118, v112
	v_and_b32_e32 v117, v119, v117
	s_delay_alu instid0(VALU_DEP_4) | instskip(NEXT) | instid1(VALU_DEP_2)
	v_bfe_u32 v129, v128, 20, 1
	v_cmp_eq_u32_e64 s10, v117, v130
	s_delay_alu instid0(VALU_DEP_2) | instskip(NEXT) | instid1(VALU_DEP_1)
	v_add_nc_u32_e32 v119, -1, v129
	v_cndmask_b32_e64 v117, 0, v119, s10
	v_lshrrev_b32_e32 v119, 23, v128
	s_mov_b32 s10, exec_lo
	s_delay_alu instid0(VALU_DEP_2) | instskip(NEXT) | instid1(VALU_DEP_2)
	v_add_nc_u32_e32 v117, v117, v128
	v_xor_b32_e32 v119, 1, v119
	s_delay_alu instid0(VALU_DEP_2) | instskip(NEXT) | instid1(VALU_DEP_1)
	v_and_b32_e32 v112, 0xfffff, v117
	v_add_nc_u32_e32 v117, v112, v128
                                        ; implicit-def: $vgpr112
	s_delay_alu instid0(VALU_DEP_3)
	v_cmpx_ne_u32_e64 v118, v119
	s_xor_b32 s10, exec_lo, s10
; %bb.2329:                             ;   in Loop: Header=BB2_2021 Depth=2
	s_delay_alu instid0(VALU_DEP_2) | instskip(SKIP_2) | instid1(VALU_DEP_2)
	v_cmp_lt_u32_e32 vcc_lo, 0xffffff, v117
	v_sub_nc_u32_e32 v112, v118, v119
	v_cndmask_b32_e64 v118, 0, 1, vcc_lo
	v_add_co_ci_u32_e32 v112, vcc_lo, 0, v112, vcc_lo
	s_delay_alu instid0(VALU_DEP_2)
	v_lshrrev_b32_e32 v117, v118, v117
; %bb.2330:                             ;   in Loop: Header=BB2_2021 Depth=2
	s_and_not1_saveexec_b32 s10, s10
; %bb.2331:                             ;   in Loop: Header=BB2_2021 Depth=2
	s_delay_alu instid0(VALU_DEP_1)
	v_bfe_u32 v112, v117, 23, 1
; %bb.2332:                             ;   in Loop: Header=BB2_2021 Depth=2
	s_or_b32 exec_lo, exec_lo, s10
	v_lshrrev_b32_e32 v117, 20, v117
	s_delay_alu instid0(VALU_DEP_2) | instskip(SKIP_2) | instid1(VALU_DEP_2)
	v_cmp_gt_i32_e32 vcc_lo, 16, v112
	v_min_i32_e32 v118, 15, v112
	v_lshrrev_b32_e32 v116, 24, v116
	v_dual_cndmask_b32 v117, 7, v117 :: v_dual_lshlrev_b32 v118, 3, v118
	s_delay_alu instid0(VALU_DEP_2) | instskip(NEXT) | instid1(VALU_DEP_2)
	v_and_b32_e32 v116, 0x80, v116
	v_or_b32_e32 v112, v112, v117
	s_delay_alu instid0(VALU_DEP_3) | instskip(NEXT) | instid1(VALU_DEP_2)
	v_and_b32_e32 v118, 0xf8, v118
	v_cmp_ne_u32_e32 vcc_lo, 0, v112
	v_and_b32_e32 v119, 7, v117
	s_delay_alu instid0(VALU_DEP_1) | instskip(NEXT) | instid1(VALU_DEP_1)
	v_or3_b32 v116, v118, v116, v119
	v_cndmask_b32_e32 v112, 0, v116, vcc_lo
.LBB2_2333:                             ;   in Loop: Header=BB2_2021 Depth=2
	s_or_b32 exec_lo, exec_lo, s25
.LBB2_2334:                             ;   in Loop: Header=BB2_2021 Depth=2
	s_delay_alu instid0(SALU_CYCLE_1) | instskip(SKIP_3) | instid1(VALU_DEP_1)
	s_or_b32 exec_lo, exec_lo, s24
	v_lshrrev_b32_e32 v117, 24, v115
	s_mov_b32 s10, 0
	s_mov_b32 s25, exec_lo
                                        ; implicit-def: $sgpr24
	v_cmpx_lt_i16_e32 0x7f, v117
	s_xor_b32 s25, exec_lo, s25
	s_cbranch_execnz .LBB2_2596
; %bb.2335:                             ;   in Loop: Header=BB2_2021 Depth=2
	s_or_saveexec_b32 s25, s25
	v_mov_b32_e32 v116, s24
	s_xor_b32 exec_lo, exec_lo, s25
	s_cbranch_execnz .LBB2_2599
.LBB2_2336:                             ;   in Loop: Header=BB2_2021 Depth=2
	s_or_b32 exec_lo, exec_lo, s25
	s_and_saveexec_b32 s24, s10
	s_cbranch_execz .LBB2_2338
.LBB2_2337:                             ;   in Loop: Header=BB2_2021 Depth=2
	v_bfe_u32 v116, v115, 24, 3
	s_delay_alu instid0(VALU_DEP_1) | instskip(NEXT) | instid1(VALU_DEP_1)
	v_clz_i32_u32_e32 v118, v116
	v_min_u32_e32 v118, 32, v118
	s_delay_alu instid0(VALU_DEP_1) | instskip(SKIP_1) | instid1(VALU_DEP_2)
	v_subrev_nc_u32_e32 v119, 28, v118
	v_sub_nc_u32_e32 v118, 29, v118
	v_lshlrev_b32_e32 v117, v119, v117
	v_bfe_u32 v119, v115, 27, 4
	v_and_b32_e32 v115, 0x80000000, v115
	s_delay_alu instid0(VALU_DEP_2) | instskip(NEXT) | instid1(VALU_DEP_4)
	v_cmp_eq_u32_e32 vcc_lo, 0, v119
	v_dual_cndmask_b32 v118, v119, v118 :: v_dual_and_b32 v117, 7, v117
	s_delay_alu instid0(VALU_DEP_1) | instskip(NEXT) | instid1(VALU_DEP_2)
	v_cndmask_b32_e32 v116, v116, v117, vcc_lo
	v_lshl_add_u32 v117, v118, 23, 0x3b800000
	s_delay_alu instid0(VALU_DEP_2) | instskip(NEXT) | instid1(VALU_DEP_1)
	v_lshlrev_b32_e32 v116, 20, v116
	v_or3_b32 v116, v115, v117, v116
.LBB2_2338:                             ;   in Loop: Header=BB2_2021 Depth=2
	s_or_b32 exec_lo, exec_lo, s24
	v_lshrrev_b32_e32 v115, 24, v11
	s_mov_b32 s10, 0
	s_mov_b32 s25, exec_lo
                                        ; implicit-def: $sgpr24
	s_delay_alu instid0(VALU_DEP_1)
	v_cmpx_lt_i16_e32 0x7f, v115
	s_xor_b32 s25, exec_lo, s25
	s_cbranch_execnz .LBB2_2600
; %bb.2339:                             ;   in Loop: Header=BB2_2021 Depth=2
	s_or_saveexec_b32 s25, s25
	v_mov_b32_e32 v117, s24
	s_xor_b32 exec_lo, exec_lo, s25
	s_cbranch_execnz .LBB2_2603
.LBB2_2340:                             ;   in Loop: Header=BB2_2021 Depth=2
	s_or_b32 exec_lo, exec_lo, s25
	s_and_saveexec_b32 s24, s10
	s_cbranch_execz .LBB2_2342
.LBB2_2341:                             ;   in Loop: Header=BB2_2021 Depth=2
	v_bfe_u32 v117, v11, 24, 3
	s_delay_alu instid0(VALU_DEP_1) | instskip(NEXT) | instid1(VALU_DEP_1)
	v_clz_i32_u32_e32 v118, v117
	v_min_u32_e32 v118, 32, v118
	s_delay_alu instid0(VALU_DEP_1) | instskip(SKIP_1) | instid1(VALU_DEP_2)
	v_subrev_nc_u32_e32 v119, 28, v118
	v_sub_nc_u32_e32 v118, 29, v118
	v_lshlrev_b32_e32 v115, v119, v115
	v_bfe_u32 v119, v11, 27, 4
	v_and_b32_e32 v11, 0x80000000, v11
	s_delay_alu instid0(VALU_DEP_2) | instskip(NEXT) | instid1(VALU_DEP_4)
	v_cmp_eq_u32_e32 vcc_lo, 0, v119
	v_dual_cndmask_b32 v118, v119, v118 :: v_dual_and_b32 v115, 7, v115
	s_delay_alu instid0(VALU_DEP_1) | instskip(NEXT) | instid1(VALU_DEP_2)
	v_cndmask_b32_e32 v115, v117, v115, vcc_lo
	v_lshl_add_u32 v117, v118, 23, 0x3b800000
	s_delay_alu instid0(VALU_DEP_2) | instskip(NEXT) | instid1(VALU_DEP_1)
	v_lshlrev_b32_e32 v115, 20, v115
	v_or3_b32 v117, v11, v117, v115
.LBB2_2342:                             ;   in Loop: Header=BB2_2021 Depth=2
	s_or_b32 exec_lo, exec_lo, s24
	s_delay_alu instid0(VALU_DEP_1) | instskip(NEXT) | instid1(VALU_DEP_1)
	v_add_f32_e32 v115, v116, v117
	v_and_b32_e32 v11, 0x7f800000, v115
	s_delay_alu instid0(VALU_DEP_1)
	v_cmp_ne_u32_e32 vcc_lo, 0x7f800000, v11
	v_mov_b32_e32 v11, 0x8000
	s_and_saveexec_b32 s24, vcc_lo
	s_cbranch_execz .LBB2_2350
; %bb.2343:                             ;   in Loop: Header=BB2_2021 Depth=2
	v_mov_b32_e32 v11, 0
	s_mov_b32 s25, exec_lo
	v_cmpx_ne_u32_e32 0, v115
	s_cbranch_execz .LBB2_2349
; %bb.2344:                             ;   in Loop: Header=BB2_2021 Depth=2
	v_bfe_u32 v11, v115, 23, 8
	s_delay_alu instid0(VALU_DEP_1) | instskip(SKIP_1) | instid1(VALU_DEP_2)
	v_sub_nc_u32_e32 v117, 0x78, v11
	v_cmp_gt_u32_e32 vcc_lo, 0x79, v11
	v_dual_cndmask_b32 v117, 0, v117 :: v_dual_and_b32 v116, 0x7fffff, v115
	s_delay_alu instid0(VALU_DEP_1) | instskip(SKIP_2) | instid1(VALU_DEP_4)
	v_or_b32_e32 v118, 0x800000, v116
	v_cmp_eq_u32_e32 vcc_lo, 0, v11
	v_add_nc_u32_e32 v11, 0xffffff89, v11
	v_cndmask_b32_e64 v117, v117, 0x77, vcc_lo
	s_delay_alu instid0(VALU_DEP_4) | instskip(NEXT) | instid1(VALU_DEP_3)
	v_cndmask_b32_e32 v116, v118, v116, vcc_lo
	v_cndmask_b32_e64 v11, v11, 0xffffff8a, vcc_lo
	s_delay_alu instid0(VALU_DEP_3) | instskip(NEXT) | instid1(VALU_DEP_3)
	v_lshl_add_u32 v118, 0x100000, v117, -1
	v_lshrrev_b32_e32 v119, v117, v116
	v_lshlrev_b32_e64 v129, v117, 0x80000
	s_delay_alu instid0(VALU_DEP_4) | instskip(NEXT) | instid1(VALU_DEP_4)
	v_add_nc_u32_e32 v117, v117, v11
	v_and_b32_e32 v116, v118, v116
	s_delay_alu instid0(VALU_DEP_4) | instskip(NEXT) | instid1(VALU_DEP_2)
	v_bfe_u32 v128, v119, 20, 1
	v_cmp_eq_u32_e64 s10, v116, v129
	s_delay_alu instid0(VALU_DEP_2) | instskip(NEXT) | instid1(VALU_DEP_1)
	v_add_nc_u32_e32 v118, -1, v128
	v_cndmask_b32_e64 v116, 0, v118, s10
	v_lshrrev_b32_e32 v118, 23, v119
	s_mov_b32 s10, exec_lo
	s_delay_alu instid0(VALU_DEP_2) | instskip(NEXT) | instid1(VALU_DEP_2)
	v_add_nc_u32_e32 v116, v116, v119
	v_xor_b32_e32 v118, 1, v118
	s_delay_alu instid0(VALU_DEP_2) | instskip(NEXT) | instid1(VALU_DEP_1)
	v_and_b32_e32 v11, 0xfffff, v116
	v_add_nc_u32_e32 v116, v11, v119
                                        ; implicit-def: $vgpr11
	s_delay_alu instid0(VALU_DEP_3)
	v_cmpx_ne_u32_e64 v117, v118
	s_xor_b32 s10, exec_lo, s10
; %bb.2345:                             ;   in Loop: Header=BB2_2021 Depth=2
	s_delay_alu instid0(VALU_DEP_2) | instskip(SKIP_2) | instid1(VALU_DEP_2)
	v_cmp_lt_u32_e32 vcc_lo, 0xffffff, v116
	v_sub_nc_u32_e32 v11, v117, v118
	v_cndmask_b32_e64 v117, 0, 1, vcc_lo
	v_add_co_ci_u32_e32 v11, vcc_lo, 0, v11, vcc_lo
	s_delay_alu instid0(VALU_DEP_2)
	v_lshrrev_b32_e32 v116, v117, v116
; %bb.2346:                             ;   in Loop: Header=BB2_2021 Depth=2
	s_and_not1_saveexec_b32 s10, s10
; %bb.2347:                             ;   in Loop: Header=BB2_2021 Depth=2
	s_delay_alu instid0(VALU_DEP_1)
	v_bfe_u32 v11, v116, 23, 1
; %bb.2348:                             ;   in Loop: Header=BB2_2021 Depth=2
	s_or_b32 exec_lo, exec_lo, s10
	v_lshrrev_b32_e32 v116, 20, v116
	s_delay_alu instid0(VALU_DEP_2) | instskip(SKIP_2) | instid1(VALU_DEP_2)
	v_cmp_gt_i32_e32 vcc_lo, 16, v11
	v_min_i32_e32 v117, 15, v11
	v_lshrrev_b32_e32 v115, 24, v115
	v_dual_cndmask_b32 v116, 7, v116 :: v_dual_lshlrev_b32 v117, 3, v117
	s_delay_alu instid0(VALU_DEP_2) | instskip(NEXT) | instid1(VALU_DEP_2)
	v_and_b32_e32 v115, 0x80, v115
	v_or_b32_e32 v11, v11, v116
	s_delay_alu instid0(VALU_DEP_3) | instskip(NEXT) | instid1(VALU_DEP_2)
	v_and_b32_e32 v117, 0xf8, v117
	v_cmp_ne_u32_e32 vcc_lo, 0, v11
	v_and_b32_e32 v118, 7, v116
	s_delay_alu instid0(VALU_DEP_1) | instskip(NEXT) | instid1(VALU_DEP_1)
	v_or3_b32 v115, v115, v117, v118
	v_lshlrev_b32_e32 v115, 8, v115
	s_delay_alu instid0(VALU_DEP_1)
	v_cndmask_b32_e32 v11, 0, v115, vcc_lo
.LBB2_2349:                             ;   in Loop: Header=BB2_2021 Depth=2
	s_or_b32 exec_lo, exec_lo, s25
.LBB2_2350:                             ;   in Loop: Header=BB2_2021 Depth=2
	s_delay_alu instid0(SALU_CYCLE_1) | instskip(SKIP_3) | instid1(VALU_DEP_1)
	s_or_b32 exec_lo, exec_lo, s24
	v_and_b32_e32 v116, 0xff, v102
	s_mov_b32 s10, 0
	s_mov_b32 s25, exec_lo
                                        ; implicit-def: $sgpr24
	v_cmpx_lt_i16_e32 0x7f, v116
	s_xor_b32 s25, exec_lo, s25
	s_cbranch_execnz .LBB2_2604
; %bb.2351:                             ;   in Loop: Header=BB2_2021 Depth=2
	s_or_saveexec_b32 s25, s25
	v_mov_b32_e32 v115, s24
	s_xor_b32 exec_lo, exec_lo, s25
	s_cbranch_execnz .LBB2_2607
.LBB2_2352:                             ;   in Loop: Header=BB2_2021 Depth=2
	s_or_b32 exec_lo, exec_lo, s25
	s_and_saveexec_b32 s24, s10
	s_cbranch_execz .LBB2_2354
.LBB2_2353:                             ;   in Loop: Header=BB2_2021 Depth=2
	v_bfe_u32 v118, v102, 3, 4
	s_delay_alu instid0(VALU_DEP_1) | instskip(SKIP_1) | instid1(VALU_DEP_1)
	v_cmp_eq_u32_e32 vcc_lo, 0, v118
	v_and_b32_e32 v115, 7, v102
	v_clz_i32_u32_e32 v116, v115
	s_delay_alu instid0(VALU_DEP_1) | instskip(NEXT) | instid1(VALU_DEP_1)
	v_min_u32_e32 v116, 32, v116
	v_subrev_nc_u32_e32 v117, 28, v116
	v_sub_nc_u32_e32 v116, 29, v116
	s_delay_alu instid0(VALU_DEP_1) | instskip(NEXT) | instid1(VALU_DEP_1)
	v_dual_cndmask_b32 v116, v118, v116 :: v_dual_lshlrev_b32 v117, v117, v102
	v_and_b32_e32 v117, 7, v117
	v_lshlrev_b32_e32 v102, 24, v102
	s_delay_alu instid0(VALU_DEP_3) | instskip(NEXT) | instid1(VALU_DEP_2)
	v_lshl_add_u32 v116, v116, 23, 0x3b800000
	v_dual_cndmask_b32 v115, v115, v117 :: v_dual_and_b32 v102, 0x80000000, v102
	s_delay_alu instid0(VALU_DEP_1) | instskip(NEXT) | instid1(VALU_DEP_1)
	v_lshlrev_b32_e32 v115, 20, v115
	v_or3_b32 v115, v102, v116, v115
.LBB2_2354:                             ;   in Loop: Header=BB2_2021 Depth=2
	s_or_b32 exec_lo, exec_lo, s24
	v_and_b32_e32 v116, 0xff, v12
	s_mov_b32 s10, 0
	s_mov_b32 s25, exec_lo
                                        ; implicit-def: $sgpr24
	s_delay_alu instid0(VALU_DEP_1)
	v_cmpx_lt_i16_e32 0x7f, v116
	s_xor_b32 s25, exec_lo, s25
	s_cbranch_execnz .LBB2_2608
; %bb.2355:                             ;   in Loop: Header=BB2_2021 Depth=2
	s_or_saveexec_b32 s25, s25
	v_mov_b32_e32 v102, s24
	s_xor_b32 exec_lo, exec_lo, s25
	s_cbranch_execnz .LBB2_2611
.LBB2_2356:                             ;   in Loop: Header=BB2_2021 Depth=2
	s_or_b32 exec_lo, exec_lo, s25
	s_and_saveexec_b32 s24, s10
	s_cbranch_execz .LBB2_2358
.LBB2_2357:                             ;   in Loop: Header=BB2_2021 Depth=2
	v_and_b32_e32 v102, 7, v12
	v_bfe_u32 v118, v12, 3, 4
	s_delay_alu instid0(VALU_DEP_2) | instskip(NEXT) | instid1(VALU_DEP_2)
	v_clz_i32_u32_e32 v116, v102
	v_cmp_eq_u32_e32 vcc_lo, 0, v118
	s_delay_alu instid0(VALU_DEP_2) | instskip(NEXT) | instid1(VALU_DEP_1)
	v_min_u32_e32 v116, 32, v116
	v_subrev_nc_u32_e32 v117, 28, v116
	v_sub_nc_u32_e32 v116, 29, v116
	s_delay_alu instid0(VALU_DEP_2) | instskip(NEXT) | instid1(VALU_DEP_1)
	v_lshlrev_b32_e32 v117, v117, v12
	v_dual_cndmask_b32 v116, v118, v116 :: v_dual_and_b32 v117, 7, v117
	v_lshlrev_b32_e32 v119, 24, v12
	s_delay_alu instid0(VALU_DEP_2) | instskip(NEXT) | instid1(VALU_DEP_2)
	v_lshl_add_u32 v116, v116, 23, 0x3b800000
	v_dual_cndmask_b32 v102, v102, v117 :: v_dual_and_b32 v117, 0x80000000, v119
	s_delay_alu instid0(VALU_DEP_1) | instskip(NEXT) | instid1(VALU_DEP_1)
	v_lshlrev_b32_e32 v102, 20, v102
	v_or3_b32 v102, v117, v116, v102
.LBB2_2358:                             ;   in Loop: Header=BB2_2021 Depth=2
	s_or_b32 exec_lo, exec_lo, s24
	s_delay_alu instid0(VALU_DEP_1) | instskip(NEXT) | instid1(VALU_DEP_1)
	v_add_f32_e32 v115, v115, v102
	v_and_b32_e32 v102, 0x7f800000, v115
	s_delay_alu instid0(VALU_DEP_1)
	v_cmp_ne_u32_e32 vcc_lo, 0x7f800000, v102
	v_mov_b32_e32 v102, 0x80
	s_and_saveexec_b32 s24, vcc_lo
	s_cbranch_execz .LBB2_2366
; %bb.2359:                             ;   in Loop: Header=BB2_2021 Depth=2
	v_mov_b32_e32 v102, 0
	s_mov_b32 s25, exec_lo
	v_cmpx_ne_u32_e32 0, v115
	s_cbranch_execz .LBB2_2365
; %bb.2360:                             ;   in Loop: Header=BB2_2021 Depth=2
	v_bfe_u32 v102, v115, 23, 8
	s_delay_alu instid0(VALU_DEP_1) | instskip(SKIP_1) | instid1(VALU_DEP_2)
	v_sub_nc_u32_e32 v117, 0x78, v102
	v_cmp_gt_u32_e32 vcc_lo, 0x79, v102
	v_dual_cndmask_b32 v117, 0, v117 :: v_dual_and_b32 v116, 0x7fffff, v115
	s_delay_alu instid0(VALU_DEP_1) | instskip(SKIP_2) | instid1(VALU_DEP_4)
	v_or_b32_e32 v118, 0x800000, v116
	v_cmp_eq_u32_e32 vcc_lo, 0, v102
	v_add_nc_u32_e32 v102, 0xffffff89, v102
	v_cndmask_b32_e64 v117, v117, 0x77, vcc_lo
	s_delay_alu instid0(VALU_DEP_2) | instskip(SKIP_1) | instid1(VALU_DEP_3)
	v_cndmask_b32_e64 v102, v102, 0xffffff8a, vcc_lo
	v_cndmask_b32_e32 v116, v118, v116, vcc_lo
	v_lshl_add_u32 v118, 0x100000, v117, -1
	v_lshlrev_b32_e64 v129, v117, 0x80000
	s_delay_alu instid0(VALU_DEP_3) | instskip(SKIP_1) | instid1(VALU_DEP_4)
	v_lshrrev_b32_e32 v119, v117, v116
	v_add_nc_u32_e32 v117, v117, v102
	v_and_b32_e32 v116, v118, v116
	s_delay_alu instid0(VALU_DEP_3) | instskip(NEXT) | instid1(VALU_DEP_2)
	v_bfe_u32 v128, v119, 20, 1
	v_cmp_eq_u32_e64 s10, v116, v129
	s_delay_alu instid0(VALU_DEP_2) | instskip(NEXT) | instid1(VALU_DEP_1)
	v_add_nc_u32_e32 v118, -1, v128
	v_cndmask_b32_e64 v116, 0, v118, s10
	v_lshrrev_b32_e32 v118, 23, v119
	s_mov_b32 s10, exec_lo
	s_delay_alu instid0(VALU_DEP_2) | instskip(NEXT) | instid1(VALU_DEP_2)
	v_add_nc_u32_e32 v116, v116, v119
	v_xor_b32_e32 v118, 1, v118
	s_delay_alu instid0(VALU_DEP_2) | instskip(NEXT) | instid1(VALU_DEP_1)
	v_and_b32_e32 v102, 0xfffff, v116
	v_add_nc_u32_e32 v116, v102, v119
                                        ; implicit-def: $vgpr102
	s_delay_alu instid0(VALU_DEP_3)
	v_cmpx_ne_u32_e64 v117, v118
	s_xor_b32 s10, exec_lo, s10
; %bb.2361:                             ;   in Loop: Header=BB2_2021 Depth=2
	s_delay_alu instid0(VALU_DEP_2) | instskip(SKIP_2) | instid1(VALU_DEP_2)
	v_cmp_lt_u32_e32 vcc_lo, 0xffffff, v116
	v_sub_nc_u32_e32 v102, v117, v118
	v_cndmask_b32_e64 v117, 0, 1, vcc_lo
	v_add_co_ci_u32_e32 v102, vcc_lo, 0, v102, vcc_lo
	s_delay_alu instid0(VALU_DEP_2)
	v_lshrrev_b32_e32 v116, v117, v116
; %bb.2362:                             ;   in Loop: Header=BB2_2021 Depth=2
	s_and_not1_saveexec_b32 s10, s10
; %bb.2363:                             ;   in Loop: Header=BB2_2021 Depth=2
	s_delay_alu instid0(VALU_DEP_1)
	v_bfe_u32 v102, v116, 23, 1
; %bb.2364:                             ;   in Loop: Header=BB2_2021 Depth=2
	s_or_b32 exec_lo, exec_lo, s10
	v_lshrrev_b32_e32 v116, 20, v116
	s_delay_alu instid0(VALU_DEP_2) | instskip(SKIP_2) | instid1(VALU_DEP_2)
	v_cmp_gt_i32_e32 vcc_lo, 16, v102
	v_lshrrev_b32_e32 v115, 24, v115
	v_min_i32_e32 v117, 15, v102
	v_dual_cndmask_b32 v116, 7, v116 :: v_dual_and_b32 v115, 0x80, v115
	s_delay_alu instid0(VALU_DEP_1) | instskip(SKIP_1) | instid1(VALU_DEP_2)
	v_or_b32_e32 v102, v102, v116
	v_and_b32_e32 v118, 7, v116
	v_cmp_ne_u32_e32 vcc_lo, 0, v102
	v_lshlrev_b32_e32 v117, 3, v117
	s_delay_alu instid0(VALU_DEP_1) | instskip(NEXT) | instid1(VALU_DEP_1)
	v_or3_b32 v115, v117, v115, v118
	v_cndmask_b32_e32 v102, 0, v115, vcc_lo
.LBB2_2365:                             ;   in Loop: Header=BB2_2021 Depth=2
	s_or_b32 exec_lo, exec_lo, s25
.LBB2_2366:                             ;   in Loop: Header=BB2_2021 Depth=2
	s_delay_alu instid0(SALU_CYCLE_1) | instskip(SKIP_3) | instid1(VALU_DEP_1)
	s_or_b32 exec_lo, exec_lo, s24
	v_and_b32_e32 v116, 0xff, v100
	s_mov_b32 s10, 0
	s_mov_b32 s25, exec_lo
                                        ; implicit-def: $sgpr24
	v_cmpx_lt_i16_e32 0x7f, v116
	s_xor_b32 s25, exec_lo, s25
	s_cbranch_execnz .LBB2_2612
; %bb.2367:                             ;   in Loop: Header=BB2_2021 Depth=2
	s_or_saveexec_b32 s25, s25
	v_mov_b32_e32 v115, s24
	s_xor_b32 exec_lo, exec_lo, s25
	s_cbranch_execnz .LBB2_2615
.LBB2_2368:                             ;   in Loop: Header=BB2_2021 Depth=2
	s_or_b32 exec_lo, exec_lo, s25
	s_and_saveexec_b32 s24, s10
	s_cbranch_execz .LBB2_2370
.LBB2_2369:                             ;   in Loop: Header=BB2_2021 Depth=2
	v_and_b32_e32 v115, 7, v100
	v_bfe_u32 v118, v100, 3, 4
	s_delay_alu instid0(VALU_DEP_2) | instskip(NEXT) | instid1(VALU_DEP_2)
	v_clz_i32_u32_e32 v116, v115
	v_cmp_eq_u32_e32 vcc_lo, 0, v118
	s_delay_alu instid0(VALU_DEP_2) | instskip(NEXT) | instid1(VALU_DEP_1)
	v_min_u32_e32 v116, 32, v116
	v_subrev_nc_u32_e32 v117, 28, v116
	v_sub_nc_u32_e32 v116, 29, v116
	s_delay_alu instid0(VALU_DEP_2) | instskip(NEXT) | instid1(VALU_DEP_1)
	v_lshlrev_b32_e32 v117, v117, v100
	v_dual_cndmask_b32 v116, v118, v116 :: v_dual_and_b32 v117, 7, v117
	v_lshlrev_b32_e32 v100, 24, v100
	s_delay_alu instid0(VALU_DEP_2) | instskip(NEXT) | instid1(VALU_DEP_2)
	v_lshl_add_u32 v116, v116, 23, 0x3b800000
	v_dual_cndmask_b32 v115, v115, v117 :: v_dual_and_b32 v100, 0x80000000, v100
	s_delay_alu instid0(VALU_DEP_1) | instskip(NEXT) | instid1(VALU_DEP_1)
	v_lshlrev_b32_e32 v115, 20, v115
	v_or3_b32 v115, v100, v116, v115
.LBB2_2370:                             ;   in Loop: Header=BB2_2021 Depth=2
	s_or_b32 exec_lo, exec_lo, s24
	v_lshrrev_b16 v100, 8, v12
	s_mov_b32 s10, 0
	s_mov_b32 s25, exec_lo
                                        ; implicit-def: $sgpr24
	s_delay_alu instid0(VALU_DEP_1)
	v_cmpx_lt_i16_e32 0x7f, v100
	s_xor_b32 s25, exec_lo, s25
	s_cbranch_execnz .LBB2_2616
; %bb.2371:                             ;   in Loop: Header=BB2_2021 Depth=2
	s_or_saveexec_b32 s25, s25
	v_mov_b32_e32 v116, s24
	s_xor_b32 exec_lo, exec_lo, s25
	s_cbranch_execnz .LBB2_2619
.LBB2_2372:                             ;   in Loop: Header=BB2_2021 Depth=2
	s_or_b32 exec_lo, exec_lo, s25
	s_and_saveexec_b32 s24, s10
	s_cbranch_execz .LBB2_2374
.LBB2_2373:                             ;   in Loop: Header=BB2_2021 Depth=2
	v_and_b32_e32 v116, 0xffff, v100
	v_lshlrev_b32_e32 v100, 24, v100
	s_delay_alu instid0(VALU_DEP_2) | instskip(NEXT) | instid1(VALU_DEP_2)
	v_and_b32_e32 v117, 7, v116
	v_and_b32_e32 v100, 0x80000000, v100
	s_delay_alu instid0(VALU_DEP_2) | instskip(NEXT) | instid1(VALU_DEP_1)
	v_clz_i32_u32_e32 v118, v117
	v_min_u32_e32 v118, 32, v118
	s_delay_alu instid0(VALU_DEP_1) | instskip(SKIP_1) | instid1(VALU_DEP_2)
	v_subrev_nc_u32_e32 v119, 28, v118
	v_sub_nc_u32_e32 v118, 29, v118
	v_lshlrev_b32_e32 v119, v119, v116
	v_bfe_u32 v116, v116, 3, 4
	s_delay_alu instid0(VALU_DEP_2) | instskip(NEXT) | instid1(VALU_DEP_2)
	v_and_b32_e32 v119, 7, v119
	v_cmp_eq_u32_e32 vcc_lo, 0, v116
	s_delay_alu instid0(VALU_DEP_2) | instskip(NEXT) | instid1(VALU_DEP_1)
	v_dual_cndmask_b32 v116, v116, v118 :: v_dual_cndmask_b32 v117, v117, v119
	v_lshl_add_u32 v116, v116, 23, 0x3b800000
	s_delay_alu instid0(VALU_DEP_2) | instskip(NEXT) | instid1(VALU_DEP_1)
	v_lshlrev_b32_e32 v117, 20, v117
	v_or3_b32 v116, v100, v116, v117
.LBB2_2374:                             ;   in Loop: Header=BB2_2021 Depth=2
	s_or_b32 exec_lo, exec_lo, s24
	s_delay_alu instid0(VALU_DEP_1) | instskip(NEXT) | instid1(VALU_DEP_1)
	v_add_f32_e32 v115, v115, v116
	v_and_b32_e32 v100, 0x7f800000, v115
	s_delay_alu instid0(VALU_DEP_1)
	v_cmp_ne_u32_e32 vcc_lo, 0x7f800000, v100
	v_mov_b32_e32 v100, 0x80
	s_and_saveexec_b32 s24, vcc_lo
	s_cbranch_execz .LBB2_2382
; %bb.2375:                             ;   in Loop: Header=BB2_2021 Depth=2
	v_mov_b32_e32 v100, 0
	s_mov_b32 s25, exec_lo
	v_cmpx_ne_u32_e32 0, v115
	s_cbranch_execz .LBB2_2381
; %bb.2376:                             ;   in Loop: Header=BB2_2021 Depth=2
	v_bfe_u32 v100, v115, 23, 8
	s_delay_alu instid0(VALU_DEP_1) | instskip(SKIP_1) | instid1(VALU_DEP_2)
	v_sub_nc_u32_e32 v117, 0x78, v100
	v_cmp_gt_u32_e32 vcc_lo, 0x79, v100
	v_dual_cndmask_b32 v117, 0, v117 :: v_dual_and_b32 v116, 0x7fffff, v115
	s_delay_alu instid0(VALU_DEP_1) | instskip(SKIP_2) | instid1(VALU_DEP_4)
	v_or_b32_e32 v118, 0x800000, v116
	v_cmp_eq_u32_e32 vcc_lo, 0, v100
	v_add_nc_u32_e32 v100, 0xffffff89, v100
	v_cndmask_b32_e64 v117, v117, 0x77, vcc_lo
	s_delay_alu instid0(VALU_DEP_4) | instskip(NEXT) | instid1(VALU_DEP_3)
	v_cndmask_b32_e32 v116, v118, v116, vcc_lo
	v_cndmask_b32_e64 v100, v100, 0xffffff8a, vcc_lo
	s_delay_alu instid0(VALU_DEP_3) | instskip(NEXT) | instid1(VALU_DEP_3)
	v_lshl_add_u32 v118, 0x100000, v117, -1
	v_lshrrev_b32_e32 v119, v117, v116
	v_lshlrev_b32_e64 v129, v117, 0x80000
	s_delay_alu instid0(VALU_DEP_4) | instskip(NEXT) | instid1(VALU_DEP_4)
	v_add_nc_u32_e32 v117, v117, v100
	v_and_b32_e32 v116, v118, v116
	s_delay_alu instid0(VALU_DEP_4) | instskip(NEXT) | instid1(VALU_DEP_2)
	v_bfe_u32 v128, v119, 20, 1
	v_cmp_eq_u32_e64 s10, v116, v129
	s_delay_alu instid0(VALU_DEP_2) | instskip(NEXT) | instid1(VALU_DEP_1)
	v_add_nc_u32_e32 v118, -1, v128
	v_cndmask_b32_e64 v116, 0, v118, s10
	v_lshrrev_b32_e32 v118, 23, v119
	s_mov_b32 s10, exec_lo
	s_delay_alu instid0(VALU_DEP_2) | instskip(NEXT) | instid1(VALU_DEP_2)
	v_add_nc_u32_e32 v116, v116, v119
	v_xor_b32_e32 v118, 1, v118
	s_delay_alu instid0(VALU_DEP_2) | instskip(NEXT) | instid1(VALU_DEP_1)
	v_and_b32_e32 v100, 0xfffff, v116
	v_add_nc_u32_e32 v116, v100, v119
                                        ; implicit-def: $vgpr100
	s_delay_alu instid0(VALU_DEP_3)
	v_cmpx_ne_u32_e64 v117, v118
	s_xor_b32 s10, exec_lo, s10
; %bb.2377:                             ;   in Loop: Header=BB2_2021 Depth=2
	s_delay_alu instid0(VALU_DEP_2) | instskip(SKIP_2) | instid1(VALU_DEP_2)
	v_cmp_lt_u32_e32 vcc_lo, 0xffffff, v116
	v_sub_nc_u32_e32 v100, v117, v118
	v_cndmask_b32_e64 v117, 0, 1, vcc_lo
	v_add_co_ci_u32_e32 v100, vcc_lo, 0, v100, vcc_lo
	s_delay_alu instid0(VALU_DEP_2)
	v_lshrrev_b32_e32 v116, v117, v116
; %bb.2378:                             ;   in Loop: Header=BB2_2021 Depth=2
	s_and_not1_saveexec_b32 s10, s10
; %bb.2379:                             ;   in Loop: Header=BB2_2021 Depth=2
	s_delay_alu instid0(VALU_DEP_1)
	v_bfe_u32 v100, v116, 23, 1
; %bb.2380:                             ;   in Loop: Header=BB2_2021 Depth=2
	s_or_b32 exec_lo, exec_lo, s10
	v_lshrrev_b32_e32 v116, 20, v116
	s_delay_alu instid0(VALU_DEP_2) | instskip(SKIP_2) | instid1(VALU_DEP_2)
	v_cmp_gt_i32_e32 vcc_lo, 16, v100
	v_lshrrev_b32_e32 v115, 24, v115
	v_min_i32_e32 v117, 15, v100
	v_dual_cndmask_b32 v116, 7, v116 :: v_dual_and_b32 v115, 0x80, v115
	s_delay_alu instid0(VALU_DEP_1) | instskip(SKIP_1) | instid1(VALU_DEP_2)
	v_or_b32_e32 v100, v100, v116
	v_and_b32_e32 v118, 7, v116
	v_cmp_ne_u32_e32 vcc_lo, 0, v100
	v_lshlrev_b32_e32 v117, 3, v117
	s_delay_alu instid0(VALU_DEP_1) | instskip(NEXT) | instid1(VALU_DEP_1)
	v_or3_b32 v115, v117, v115, v118
	v_cndmask_b32_e32 v100, 0, v115, vcc_lo
.LBB2_2381:                             ;   in Loop: Header=BB2_2021 Depth=2
	s_or_b32 exec_lo, exec_lo, s25
.LBB2_2382:                             ;   in Loop: Header=BB2_2021 Depth=2
	s_delay_alu instid0(SALU_CYCLE_1) | instskip(SKIP_3) | instid1(VALU_DEP_1)
	s_or_b32 exec_lo, exec_lo, s24
	v_and_b32_e32 v116, 0xff, v99
	s_mov_b32 s10, 0
	s_mov_b32 s25, exec_lo
                                        ; implicit-def: $sgpr24
	v_cmpx_lt_i16_e32 0x7f, v116
	s_xor_b32 s25, exec_lo, s25
	s_cbranch_execnz .LBB2_2620
; %bb.2383:                             ;   in Loop: Header=BB2_2021 Depth=2
	s_or_saveexec_b32 s25, s25
	v_mov_b32_e32 v115, s24
	s_xor_b32 exec_lo, exec_lo, s25
	s_cbranch_execnz .LBB2_2623
.LBB2_2384:                             ;   in Loop: Header=BB2_2021 Depth=2
	s_or_b32 exec_lo, exec_lo, s25
	s_and_saveexec_b32 s24, s10
	s_cbranch_execz .LBB2_2386
.LBB2_2385:                             ;   in Loop: Header=BB2_2021 Depth=2
	v_bfe_u32 v118, v99, 3, 4
	s_delay_alu instid0(VALU_DEP_1) | instskip(SKIP_1) | instid1(VALU_DEP_1)
	v_cmp_eq_u32_e32 vcc_lo, 0, v118
	v_and_b32_e32 v115, 7, v99
	v_clz_i32_u32_e32 v116, v115
	s_delay_alu instid0(VALU_DEP_1) | instskip(NEXT) | instid1(VALU_DEP_1)
	v_min_u32_e32 v116, 32, v116
	v_subrev_nc_u32_e32 v117, 28, v116
	v_sub_nc_u32_e32 v116, 29, v116
	s_delay_alu instid0(VALU_DEP_1) | instskip(SKIP_1) | instid1(VALU_DEP_2)
	v_dual_cndmask_b32 v116, v118, v116 :: v_dual_lshlrev_b32 v117, v117, v99
	v_lshlrev_b32_e32 v99, 24, v99
	v_and_b32_e32 v117, 7, v117
	s_delay_alu instid0(VALU_DEP_3) | instskip(NEXT) | instid1(VALU_DEP_3)
	v_lshl_add_u32 v116, v116, 23, 0x3b800000
	v_and_b32_e32 v99, 0x80000000, v99
	s_delay_alu instid0(VALU_DEP_3) | instskip(NEXT) | instid1(VALU_DEP_1)
	v_cndmask_b32_e32 v115, v115, v117, vcc_lo
	v_lshlrev_b32_e32 v115, 20, v115
	s_delay_alu instid0(VALU_DEP_1)
	v_or3_b32 v115, v99, v116, v115
.LBB2_2386:                             ;   in Loop: Header=BB2_2021 Depth=2
	s_or_b32 exec_lo, exec_lo, s24
	v_lshrrev_b32_e32 v99, 16, v12
	s_mov_b32 s10, 0
	s_mov_b32 s25, exec_lo
                                        ; implicit-def: $sgpr24
	s_delay_alu instid0(VALU_DEP_1) | instskip(NEXT) | instid1(VALU_DEP_1)
	v_and_b32_e32 v117, 0xff, v99
	v_cmpx_lt_i16_e32 0x7f, v117
	s_xor_b32 s25, exec_lo, s25
	s_cbranch_execnz .LBB2_2624
; %bb.2387:                             ;   in Loop: Header=BB2_2021 Depth=2
	s_or_saveexec_b32 s25, s25
	v_mov_b32_e32 v116, s24
	s_xor_b32 exec_lo, exec_lo, s25
	s_cbranch_execnz .LBB2_2627
.LBB2_2388:                             ;   in Loop: Header=BB2_2021 Depth=2
	s_or_b32 exec_lo, exec_lo, s25
	s_and_saveexec_b32 s24, s10
	s_cbranch_execz .LBB2_2390
.LBB2_2389:                             ;   in Loop: Header=BB2_2021 Depth=2
	v_bfe_u32 v116, v12, 16, 3
	v_lshlrev_b32_e32 v119, 8, v12
	s_delay_alu instid0(VALU_DEP_2) | instskip(NEXT) | instid1(VALU_DEP_1)
	v_clz_i32_u32_e32 v117, v116
	v_min_u32_e32 v117, 32, v117
	s_delay_alu instid0(VALU_DEP_1) | instskip(SKIP_1) | instid1(VALU_DEP_2)
	v_subrev_nc_u32_e32 v118, 28, v117
	v_sub_nc_u32_e32 v117, 29, v117
	v_lshlrev_b32_e32 v99, v118, v99
	v_bfe_u32 v118, v12, 19, 4
	s_delay_alu instid0(VALU_DEP_2) | instskip(NEXT) | instid1(VALU_DEP_2)
	v_and_b32_e32 v99, 7, v99
	v_cmp_eq_u32_e32 vcc_lo, 0, v118
	v_cndmask_b32_e32 v117, v118, v117, vcc_lo
	s_delay_alu instid0(VALU_DEP_3) | instskip(SKIP_1) | instid1(VALU_DEP_3)
	v_cndmask_b32_e32 v99, v116, v99, vcc_lo
	v_and_b32_e32 v116, 0x80000000, v119
	v_lshl_add_u32 v117, v117, 23, 0x3b800000
	s_delay_alu instid0(VALU_DEP_3) | instskip(NEXT) | instid1(VALU_DEP_1)
	v_lshlrev_b32_e32 v99, 20, v99
	v_or3_b32 v116, v116, v117, v99
.LBB2_2390:                             ;   in Loop: Header=BB2_2021 Depth=2
	s_or_b32 exec_lo, exec_lo, s24
	s_delay_alu instid0(VALU_DEP_1) | instskip(NEXT) | instid1(VALU_DEP_1)
	v_add_f32_e32 v115, v115, v116
	v_and_b32_e32 v99, 0x7f800000, v115
	s_delay_alu instid0(VALU_DEP_1)
	v_cmp_ne_u32_e32 vcc_lo, 0x7f800000, v99
	v_mov_b32_e32 v99, 0x80
	s_and_saveexec_b32 s24, vcc_lo
	s_cbranch_execz .LBB2_2398
; %bb.2391:                             ;   in Loop: Header=BB2_2021 Depth=2
	v_mov_b32_e32 v99, 0
	s_mov_b32 s25, exec_lo
	v_cmpx_ne_u32_e32 0, v115
	s_cbranch_execz .LBB2_2397
; %bb.2392:                             ;   in Loop: Header=BB2_2021 Depth=2
	v_bfe_u32 v99, v115, 23, 8
	s_delay_alu instid0(VALU_DEP_1) | instskip(SKIP_1) | instid1(VALU_DEP_2)
	v_sub_nc_u32_e32 v117, 0x78, v99
	v_cmp_gt_u32_e32 vcc_lo, 0x79, v99
	v_dual_cndmask_b32 v117, 0, v117 :: v_dual_and_b32 v116, 0x7fffff, v115
	s_delay_alu instid0(VALU_DEP_1) | instskip(SKIP_2) | instid1(VALU_DEP_4)
	v_or_b32_e32 v118, 0x800000, v116
	v_cmp_eq_u32_e32 vcc_lo, 0, v99
	v_add_nc_u32_e32 v99, 0xffffff89, v99
	v_cndmask_b32_e64 v117, v117, 0x77, vcc_lo
	s_delay_alu instid0(VALU_DEP_4) | instskip(NEXT) | instid1(VALU_DEP_3)
	v_cndmask_b32_e32 v116, v118, v116, vcc_lo
	v_cndmask_b32_e64 v99, v99, 0xffffff8a, vcc_lo
	s_delay_alu instid0(VALU_DEP_3) | instskip(NEXT) | instid1(VALU_DEP_3)
	v_lshl_add_u32 v118, 0x100000, v117, -1
	v_lshrrev_b32_e32 v119, v117, v116
	v_lshlrev_b32_e64 v129, v117, 0x80000
	s_delay_alu instid0(VALU_DEP_4) | instskip(NEXT) | instid1(VALU_DEP_4)
	v_add_nc_u32_e32 v117, v117, v99
	v_and_b32_e32 v116, v118, v116
	s_delay_alu instid0(VALU_DEP_4) | instskip(NEXT) | instid1(VALU_DEP_2)
	v_bfe_u32 v128, v119, 20, 1
	v_cmp_eq_u32_e64 s10, v116, v129
	s_delay_alu instid0(VALU_DEP_2) | instskip(NEXT) | instid1(VALU_DEP_1)
	v_add_nc_u32_e32 v118, -1, v128
	v_cndmask_b32_e64 v116, 0, v118, s10
	v_lshrrev_b32_e32 v118, 23, v119
	s_mov_b32 s10, exec_lo
	s_delay_alu instid0(VALU_DEP_2) | instskip(NEXT) | instid1(VALU_DEP_2)
	v_add_nc_u32_e32 v116, v116, v119
	v_xor_b32_e32 v118, 1, v118
	s_delay_alu instid0(VALU_DEP_2) | instskip(NEXT) | instid1(VALU_DEP_1)
	v_and_b32_e32 v99, 0xfffff, v116
	v_add_nc_u32_e32 v116, v99, v119
                                        ; implicit-def: $vgpr99
	s_delay_alu instid0(VALU_DEP_3)
	v_cmpx_ne_u32_e64 v117, v118
	s_xor_b32 s10, exec_lo, s10
; %bb.2393:                             ;   in Loop: Header=BB2_2021 Depth=2
	s_delay_alu instid0(VALU_DEP_2) | instskip(SKIP_2) | instid1(VALU_DEP_2)
	v_cmp_lt_u32_e32 vcc_lo, 0xffffff, v116
	v_sub_nc_u32_e32 v99, v117, v118
	v_cndmask_b32_e64 v117, 0, 1, vcc_lo
	v_add_co_ci_u32_e32 v99, vcc_lo, 0, v99, vcc_lo
	s_delay_alu instid0(VALU_DEP_2)
	v_lshrrev_b32_e32 v116, v117, v116
; %bb.2394:                             ;   in Loop: Header=BB2_2021 Depth=2
	s_and_not1_saveexec_b32 s10, s10
; %bb.2395:                             ;   in Loop: Header=BB2_2021 Depth=2
	s_delay_alu instid0(VALU_DEP_1)
	v_bfe_u32 v99, v116, 23, 1
; %bb.2396:                             ;   in Loop: Header=BB2_2021 Depth=2
	s_or_b32 exec_lo, exec_lo, s10
	v_lshrrev_b32_e32 v116, 20, v116
	s_delay_alu instid0(VALU_DEP_2) | instskip(SKIP_2) | instid1(VALU_DEP_2)
	v_cmp_gt_i32_e32 vcc_lo, 16, v99
	v_lshrrev_b32_e32 v115, 24, v115
	v_min_i32_e32 v117, 15, v99
	v_dual_cndmask_b32 v116, 7, v116 :: v_dual_and_b32 v115, 0x80, v115
	s_delay_alu instid0(VALU_DEP_2) | instskip(NEXT) | instid1(VALU_DEP_2)
	v_lshlrev_b32_e32 v117, 3, v117
	v_or_b32_e32 v99, v99, v116
	s_delay_alu instid0(VALU_DEP_1) | instskip(SKIP_1) | instid1(VALU_DEP_1)
	v_cmp_ne_u32_e32 vcc_lo, 0, v99
	v_and_b32_e32 v118, 7, v116
	v_or3_b32 v115, v117, v115, v118
	s_delay_alu instid0(VALU_DEP_1)
	v_cndmask_b32_e32 v99, 0, v115, vcc_lo
.LBB2_2397:                             ;   in Loop: Header=BB2_2021 Depth=2
	s_or_b32 exec_lo, exec_lo, s25
.LBB2_2398:                             ;   in Loop: Header=BB2_2021 Depth=2
	s_delay_alu instid0(SALU_CYCLE_1) | instskip(SKIP_3) | instid1(VALU_DEP_1)
	s_or_b32 exec_lo, exec_lo, s24
	v_and_b32_e32 v116, 0xff, v96
	s_mov_b32 s10, 0
	s_mov_b32 s25, exec_lo
                                        ; implicit-def: $sgpr24
	v_cmpx_lt_i16_e32 0x7f, v116
	s_xor_b32 s25, exec_lo, s25
	s_cbranch_execnz .LBB2_2628
; %bb.2399:                             ;   in Loop: Header=BB2_2021 Depth=2
	s_or_saveexec_b32 s25, s25
	v_mov_b32_e32 v115, s24
	s_xor_b32 exec_lo, exec_lo, s25
	s_cbranch_execnz .LBB2_2631
.LBB2_2400:                             ;   in Loop: Header=BB2_2021 Depth=2
	s_or_b32 exec_lo, exec_lo, s25
	s_and_saveexec_b32 s24, s10
	s_cbranch_execz .LBB2_2402
.LBB2_2401:                             ;   in Loop: Header=BB2_2021 Depth=2
	v_lshlrev_b32_e32 v96, 8, v96
	s_delay_alu instid0(VALU_DEP_1) | instskip(SKIP_1) | instid1(VALU_DEP_2)
	v_and_b32_e32 v115, 0xff00, v96
	v_bfe_u32 v96, v96, 11, 4
	v_bfe_u32 v117, v115, 8, 3
	s_delay_alu instid0(VALU_DEP_2) | instskip(NEXT) | instid1(VALU_DEP_2)
	v_cmp_eq_u32_e32 vcc_lo, 0, v96
	v_clz_i32_u32_e32 v118, v117
	s_delay_alu instid0(VALU_DEP_1) | instskip(NEXT) | instid1(VALU_DEP_1)
	v_min_u32_e32 v118, 32, v118
	v_subrev_nc_u32_e32 v119, 28, v118
	v_sub_nc_u32_e32 v118, 29, v118
	s_delay_alu instid0(VALU_DEP_2) | instskip(NEXT) | instid1(VALU_DEP_2)
	v_lshlrev_b32_e32 v116, v119, v116
	v_cndmask_b32_e32 v96, v96, v118, vcc_lo
	s_delay_alu instid0(VALU_DEP_2) | instskip(SKIP_1) | instid1(VALU_DEP_3)
	v_and_b32_e32 v116, 7, v116
	v_lshlrev_b32_e32 v115, 16, v115
	v_lshl_add_u32 v96, v96, 23, 0x3b800000
	s_delay_alu instid0(VALU_DEP_2) | instskip(NEXT) | instid1(VALU_DEP_1)
	v_dual_cndmask_b32 v116, v117, v116 :: v_dual_and_b32 v115, 0x80000000, v115
	v_lshlrev_b32_e32 v116, 20, v116
	s_delay_alu instid0(VALU_DEP_1)
	v_or3_b32 v115, v115, v96, v116
.LBB2_2402:                             ;   in Loop: Header=BB2_2021 Depth=2
	s_or_b32 exec_lo, exec_lo, s24
	v_lshrrev_b32_e32 v96, 24, v12
	s_mov_b32 s10, 0
	s_mov_b32 s25, exec_lo
                                        ; implicit-def: $sgpr24
	s_delay_alu instid0(VALU_DEP_1)
	v_cmpx_lt_i16_e32 0x7f, v96
	s_xor_b32 s25, exec_lo, s25
	s_cbranch_execnz .LBB2_2632
; %bb.2403:                             ;   in Loop: Header=BB2_2021 Depth=2
	s_or_saveexec_b32 s25, s25
	v_mov_b32_e32 v116, s24
	s_xor_b32 exec_lo, exec_lo, s25
	s_cbranch_execnz .LBB2_2635
.LBB2_2404:                             ;   in Loop: Header=BB2_2021 Depth=2
	s_or_b32 exec_lo, exec_lo, s25
	s_and_saveexec_b32 s24, s10
	s_cbranch_execz .LBB2_2406
.LBB2_2405:                             ;   in Loop: Header=BB2_2021 Depth=2
	v_bfe_u32 v116, v12, 24, 3
	s_delay_alu instid0(VALU_DEP_1) | instskip(NEXT) | instid1(VALU_DEP_1)
	v_clz_i32_u32_e32 v117, v116
	v_min_u32_e32 v117, 32, v117
	s_delay_alu instid0(VALU_DEP_1) | instskip(SKIP_1) | instid1(VALU_DEP_2)
	v_subrev_nc_u32_e32 v118, 28, v117
	v_sub_nc_u32_e32 v117, 29, v117
	v_lshlrev_b32_e32 v96, v118, v96
	v_bfe_u32 v118, v12, 27, 4
	v_and_b32_e32 v12, 0x80000000, v12
	s_delay_alu instid0(VALU_DEP_2) | instskip(NEXT) | instid1(VALU_DEP_4)
	v_cmp_eq_u32_e32 vcc_lo, 0, v118
	v_dual_cndmask_b32 v117, v118, v117 :: v_dual_and_b32 v96, 7, v96
	s_delay_alu instid0(VALU_DEP_1) | instskip(NEXT) | instid1(VALU_DEP_2)
	v_cndmask_b32_e32 v96, v116, v96, vcc_lo
	v_lshl_add_u32 v116, v117, 23, 0x3b800000
	s_delay_alu instid0(VALU_DEP_2) | instskip(NEXT) | instid1(VALU_DEP_1)
	v_lshlrev_b32_e32 v96, 20, v96
	v_or3_b32 v116, v12, v116, v96
.LBB2_2406:                             ;   in Loop: Header=BB2_2021 Depth=2
	s_or_b32 exec_lo, exec_lo, s24
	s_delay_alu instid0(VALU_DEP_1) | instskip(NEXT) | instid1(VALU_DEP_1)
	v_add_f32_e32 v96, v115, v116
	v_and_b32_e32 v12, 0x7f800000, v96
	s_delay_alu instid0(VALU_DEP_1)
	v_cmp_ne_u32_e32 vcc_lo, 0x7f800000, v12
	v_mov_b32_e32 v12, 0x80
	s_and_saveexec_b32 s24, vcc_lo
	s_cbranch_execz .LBB2_2414
; %bb.2407:                             ;   in Loop: Header=BB2_2021 Depth=2
	v_mov_b32_e32 v12, 0
	s_mov_b32 s25, exec_lo
	v_cmpx_ne_u32_e32 0, v96
	s_cbranch_execz .LBB2_2413
; %bb.2408:                             ;   in Loop: Header=BB2_2021 Depth=2
	v_bfe_u32 v12, v96, 23, 8
	v_and_b32_e32 v115, 0x7fffff, v96
	s_delay_alu instid0(VALU_DEP_2) | instskip(SKIP_1) | instid1(VALU_DEP_3)
	v_sub_nc_u32_e32 v116, 0x78, v12
	v_cmp_gt_u32_e32 vcc_lo, 0x79, v12
	v_or_b32_e32 v117, 0x800000, v115
	s_delay_alu instid0(VALU_DEP_3) | instskip(SKIP_1) | instid1(VALU_DEP_3)
	v_cndmask_b32_e32 v116, 0, v116, vcc_lo
	v_cmp_eq_u32_e32 vcc_lo, 0, v12
	v_dual_cndmask_b32 v115, v117, v115 :: v_dual_add_nc_u32 v12, 0xffffff89, v12
	s_delay_alu instid0(VALU_DEP_3) | instskip(NEXT) | instid1(VALU_DEP_2)
	v_cndmask_b32_e64 v116, v116, 0x77, vcc_lo
	v_cndmask_b32_e64 v12, v12, 0xffffff8a, vcc_lo
	s_delay_alu instid0(VALU_DEP_2) | instskip(SKIP_2) | instid1(VALU_DEP_4)
	v_lshrrev_b32_e32 v118, v116, v115
	v_lshl_add_u32 v117, 0x100000, v116, -1
	v_lshlrev_b32_e64 v128, v116, 0x80000
	v_add_nc_u32_e32 v116, v116, v12
	s_delay_alu instid0(VALU_DEP_4) | instskip(NEXT) | instid1(VALU_DEP_4)
	v_bfe_u32 v119, v118, 20, 1
	v_and_b32_e32 v115, v117, v115
	s_delay_alu instid0(VALU_DEP_2) | instskip(NEXT) | instid1(VALU_DEP_2)
	v_add_nc_u32_e32 v117, -1, v119
	v_cmp_eq_u32_e64 s10, v115, v128
	s_delay_alu instid0(VALU_DEP_1) | instskip(SKIP_2) | instid1(VALU_DEP_2)
	v_cndmask_b32_e64 v115, 0, v117, s10
	v_lshrrev_b32_e32 v117, 23, v118
	s_mov_b32 s10, exec_lo
	v_add_nc_u32_e32 v115, v115, v118
	s_delay_alu instid0(VALU_DEP_2) | instskip(NEXT) | instid1(VALU_DEP_2)
	v_xor_b32_e32 v117, 1, v117
	v_and_b32_e32 v12, 0xfffff, v115
	s_delay_alu instid0(VALU_DEP_1) | instskip(NEXT) | instid1(VALU_DEP_3)
	v_add_nc_u32_e32 v115, v12, v118
                                        ; implicit-def: $vgpr12
	v_cmpx_ne_u32_e64 v116, v117
	s_xor_b32 s10, exec_lo, s10
; %bb.2409:                             ;   in Loop: Header=BB2_2021 Depth=2
	s_delay_alu instid0(VALU_DEP_2) | instskip(SKIP_2) | instid1(VALU_DEP_2)
	v_cmp_lt_u32_e32 vcc_lo, 0xffffff, v115
	v_sub_nc_u32_e32 v12, v116, v117
	v_cndmask_b32_e64 v116, 0, 1, vcc_lo
	v_add_co_ci_u32_e32 v12, vcc_lo, 0, v12, vcc_lo
	s_delay_alu instid0(VALU_DEP_2)
	v_lshrrev_b32_e32 v115, v116, v115
; %bb.2410:                             ;   in Loop: Header=BB2_2021 Depth=2
	s_and_not1_saveexec_b32 s10, s10
; %bb.2411:                             ;   in Loop: Header=BB2_2021 Depth=2
	s_delay_alu instid0(VALU_DEP_1)
	v_bfe_u32 v12, v115, 23, 1
; %bb.2412:                             ;   in Loop: Header=BB2_2021 Depth=2
	s_or_b32 exec_lo, exec_lo, s10
	v_lshrrev_b32_e32 v115, 20, v115
	s_delay_alu instid0(VALU_DEP_2) | instskip(SKIP_2) | instid1(VALU_DEP_2)
	v_cmp_gt_i32_e32 vcc_lo, 16, v12
	v_lshrrev_b32_e32 v96, 24, v96
	v_min_i32_e32 v116, 15, v12
	v_dual_cndmask_b32 v115, 7, v115 :: v_dual_and_b32 v96, 0x80, v96
	s_delay_alu instid0(VALU_DEP_2) | instskip(NEXT) | instid1(VALU_DEP_2)
	v_lshlrev_b32_e32 v116, 3, v116
	v_or_b32_e32 v12, v12, v115
	s_delay_alu instid0(VALU_DEP_1) | instskip(SKIP_1) | instid1(VALU_DEP_1)
	v_cmp_ne_u32_e32 vcc_lo, 0, v12
	v_and_b32_e32 v117, 7, v115
	v_or3_b32 v96, v116, v96, v117
	s_delay_alu instid0(VALU_DEP_1)
	v_cndmask_b32_e32 v12, 0, v96, vcc_lo
.LBB2_2413:                             ;   in Loop: Header=BB2_2021 Depth=2
	s_or_b32 exec_lo, exec_lo, s25
.LBB2_2414:                             ;   in Loop: Header=BB2_2021 Depth=2
	s_delay_alu instid0(SALU_CYCLE_1) | instskip(SKIP_3) | instid1(VALU_DEP_1)
	s_or_b32 exec_lo, exec_lo, s24
	v_or_b32_e32 v96, v101, v87
	s_mov_b32 s10, 0
	s_mov_b32 s25, exec_lo
                                        ; implicit-def: $sgpr24
	v_and_b32_e32 v101, 0xff, v96
	s_delay_alu instid0(VALU_DEP_1)
	v_cmpx_lt_i16_e32 0x7f, v101
	s_xor_b32 s25, exec_lo, s25
	s_cbranch_execnz .LBB2_2636
; %bb.2415:                             ;   in Loop: Header=BB2_2021 Depth=2
	s_or_saveexec_b32 s25, s25
	v_mov_b32_e32 v87, s24
	s_xor_b32 exec_lo, exec_lo, s25
	s_cbranch_execnz .LBB2_2639
.LBB2_2416:                             ;   in Loop: Header=BB2_2021 Depth=2
	s_or_b32 exec_lo, exec_lo, s25
	s_and_saveexec_b32 s24, s10
	s_cbranch_execz .LBB2_2418
.LBB2_2417:                             ;   in Loop: Header=BB2_2021 Depth=2
	v_and_b32_e32 v87, 7, v96
	v_bfe_u32 v116, v96, 3, 4
	v_lshlrev_b32_e32 v117, 24, v96
	s_delay_alu instid0(VALU_DEP_3) | instskip(NEXT) | instid1(VALU_DEP_3)
	v_clz_i32_u32_e32 v101, v87
	v_cmp_eq_u32_e32 vcc_lo, 0, v116
	s_delay_alu instid0(VALU_DEP_2) | instskip(NEXT) | instid1(VALU_DEP_1)
	v_min_u32_e32 v101, 32, v101
	v_subrev_nc_u32_e32 v115, 28, v101
	v_sub_nc_u32_e32 v101, 29, v101
	s_delay_alu instid0(VALU_DEP_2) | instskip(NEXT) | instid1(VALU_DEP_2)
	v_lshlrev_b32_e32 v115, v115, v96
	v_cndmask_b32_e32 v101, v116, v101, vcc_lo
	s_delay_alu instid0(VALU_DEP_2) | instskip(NEXT) | instid1(VALU_DEP_2)
	v_and_b32_e32 v115, 7, v115
	v_lshl_add_u32 v101, v101, 23, 0x3b800000
	s_delay_alu instid0(VALU_DEP_2) | instskip(SKIP_1) | instid1(VALU_DEP_2)
	v_cndmask_b32_e32 v87, v87, v115, vcc_lo
	v_and_b32_e32 v115, 0x80000000, v117
	v_lshlrev_b32_e32 v87, 20, v87
	s_delay_alu instid0(VALU_DEP_1)
	v_or3_b32 v87, v115, v101, v87
.LBB2_2418:                             ;   in Loop: Header=BB2_2021 Depth=2
	s_or_b32 exec_lo, exec_lo, s24
	v_and_b32_e32 v115, 0xff, v13
	s_mov_b32 s10, 0
	s_mov_b32 s25, exec_lo
                                        ; implicit-def: $sgpr24
	s_delay_alu instid0(VALU_DEP_1)
	v_cmpx_lt_i16_e32 0x7f, v115
	s_xor_b32 s25, exec_lo, s25
	s_cbranch_execnz .LBB2_2640
; %bb.2419:                             ;   in Loop: Header=BB2_2021 Depth=2
	s_or_saveexec_b32 s25, s25
	v_mov_b32_e32 v101, s24
	s_xor_b32 exec_lo, exec_lo, s25
	s_cbranch_execnz .LBB2_2643
.LBB2_2420:                             ;   in Loop: Header=BB2_2021 Depth=2
	s_or_b32 exec_lo, exec_lo, s25
	s_and_saveexec_b32 s24, s10
	s_cbranch_execz .LBB2_2422
.LBB2_2421:                             ;   in Loop: Header=BB2_2021 Depth=2
	v_and_b32_e32 v101, 7, v13
	v_bfe_u32 v117, v13, 3, 4
	s_delay_alu instid0(VALU_DEP_2) | instskip(NEXT) | instid1(VALU_DEP_2)
	v_clz_i32_u32_e32 v115, v101
	v_cmp_eq_u32_e32 vcc_lo, 0, v117
	s_delay_alu instid0(VALU_DEP_2) | instskip(NEXT) | instid1(VALU_DEP_1)
	v_min_u32_e32 v115, 32, v115
	v_subrev_nc_u32_e32 v116, 28, v115
	v_sub_nc_u32_e32 v115, 29, v115
	s_delay_alu instid0(VALU_DEP_1) | instskip(NEXT) | instid1(VALU_DEP_1)
	v_dual_cndmask_b32 v115, v117, v115 :: v_dual_lshlrev_b32 v116, v116, v13
	v_and_b32_e32 v116, 7, v116
	v_lshlrev_b32_e32 v118, 24, v13
	s_delay_alu instid0(VALU_DEP_3) | instskip(NEXT) | instid1(VALU_DEP_2)
	v_lshl_add_u32 v115, v115, 23, 0x3b800000
	v_dual_cndmask_b32 v101, v101, v116 :: v_dual_and_b32 v116, 0x80000000, v118
	s_delay_alu instid0(VALU_DEP_1) | instskip(NEXT) | instid1(VALU_DEP_1)
	v_lshlrev_b32_e32 v101, 20, v101
	v_or3_b32 v101, v116, v115, v101
.LBB2_2422:                             ;   in Loop: Header=BB2_2021 Depth=2
	s_or_b32 exec_lo, exec_lo, s24
	s_delay_alu instid0(VALU_DEP_1) | instskip(NEXT) | instid1(VALU_DEP_1)
	v_add_f32_e32 v101, v87, v101
	v_and_b32_e32 v87, 0x7f800000, v101
	s_delay_alu instid0(VALU_DEP_1)
	v_cmp_ne_u32_e32 vcc_lo, 0x7f800000, v87
	v_mov_b32_e32 v87, 0x80
	s_and_saveexec_b32 s24, vcc_lo
	s_cbranch_execz .LBB2_2430
; %bb.2423:                             ;   in Loop: Header=BB2_2021 Depth=2
	v_mov_b32_e32 v87, 0
	s_mov_b32 s25, exec_lo
	v_cmpx_ne_u32_e32 0, v101
	s_cbranch_execz .LBB2_2429
; %bb.2424:                             ;   in Loop: Header=BB2_2021 Depth=2
	v_bfe_u32 v87, v101, 23, 8
	s_delay_alu instid0(VALU_DEP_1) | instskip(SKIP_1) | instid1(VALU_DEP_2)
	v_sub_nc_u32_e32 v116, 0x78, v87
	v_cmp_gt_u32_e32 vcc_lo, 0x79, v87
	v_dual_cndmask_b32 v116, 0, v116 :: v_dual_and_b32 v115, 0x7fffff, v101
	s_delay_alu instid0(VALU_DEP_1) | instskip(SKIP_2) | instid1(VALU_DEP_4)
	v_or_b32_e32 v117, 0x800000, v115
	v_cmp_eq_u32_e32 vcc_lo, 0, v87
	v_add_nc_u32_e32 v87, 0xffffff89, v87
	v_cndmask_b32_e64 v116, v116, 0x77, vcc_lo
	s_delay_alu instid0(VALU_DEP_4) | instskip(NEXT) | instid1(VALU_DEP_3)
	v_cndmask_b32_e32 v115, v117, v115, vcc_lo
	v_cndmask_b32_e64 v87, v87, 0xffffff8a, vcc_lo
	s_delay_alu instid0(VALU_DEP_3) | instskip(NEXT) | instid1(VALU_DEP_3)
	v_lshl_add_u32 v117, 0x100000, v116, -1
	v_lshrrev_b32_e32 v118, v116, v115
	v_lshlrev_b32_e64 v128, v116, 0x80000
	s_delay_alu instid0(VALU_DEP_4) | instskip(NEXT) | instid1(VALU_DEP_4)
	v_add_nc_u32_e32 v116, v116, v87
	v_and_b32_e32 v115, v117, v115
	s_delay_alu instid0(VALU_DEP_4) | instskip(NEXT) | instid1(VALU_DEP_2)
	v_bfe_u32 v119, v118, 20, 1
	v_cmp_eq_u32_e64 s10, v115, v128
	s_delay_alu instid0(VALU_DEP_2) | instskip(NEXT) | instid1(VALU_DEP_1)
	v_add_nc_u32_e32 v117, -1, v119
	v_cndmask_b32_e64 v115, 0, v117, s10
	v_lshrrev_b32_e32 v117, 23, v118
	s_mov_b32 s10, exec_lo
	s_delay_alu instid0(VALU_DEP_2) | instskip(NEXT) | instid1(VALU_DEP_2)
	v_add_nc_u32_e32 v115, v115, v118
	v_xor_b32_e32 v117, 1, v117
	s_delay_alu instid0(VALU_DEP_2) | instskip(NEXT) | instid1(VALU_DEP_1)
	v_and_b32_e32 v87, 0xfffff, v115
	v_add_nc_u32_e32 v115, v87, v118
                                        ; implicit-def: $vgpr87
	s_delay_alu instid0(VALU_DEP_3)
	v_cmpx_ne_u32_e64 v116, v117
	s_xor_b32 s10, exec_lo, s10
; %bb.2425:                             ;   in Loop: Header=BB2_2021 Depth=2
	s_delay_alu instid0(VALU_DEP_2) | instskip(SKIP_2) | instid1(VALU_DEP_2)
	v_cmp_lt_u32_e32 vcc_lo, 0xffffff, v115
	v_sub_nc_u32_e32 v87, v116, v117
	v_cndmask_b32_e64 v116, 0, 1, vcc_lo
	v_add_co_ci_u32_e32 v87, vcc_lo, 0, v87, vcc_lo
	s_delay_alu instid0(VALU_DEP_2)
	v_lshrrev_b32_e32 v115, v116, v115
; %bb.2426:                             ;   in Loop: Header=BB2_2021 Depth=2
	s_and_not1_saveexec_b32 s10, s10
; %bb.2427:                             ;   in Loop: Header=BB2_2021 Depth=2
	s_delay_alu instid0(VALU_DEP_1)
	v_bfe_u32 v87, v115, 23, 1
; %bb.2428:                             ;   in Loop: Header=BB2_2021 Depth=2
	s_or_b32 exec_lo, exec_lo, s10
	v_lshrrev_b32_e32 v115, 20, v115
	s_delay_alu instid0(VALU_DEP_2) | instskip(SKIP_2) | instid1(VALU_DEP_4)
	v_cmp_gt_i32_e32 vcc_lo, 16, v87
	v_lshrrev_b32_e32 v101, 24, v101
	v_min_i32_e32 v116, 15, v87
	v_cndmask_b32_e32 v115, 7, v115, vcc_lo
	s_delay_alu instid0(VALU_DEP_3) | instskip(NEXT) | instid1(VALU_DEP_3)
	v_and_b32_e32 v101, 0x80, v101
	v_lshlrev_b32_e32 v116, 3, v116
	s_delay_alu instid0(VALU_DEP_3) | instskip(SKIP_1) | instid1(VALU_DEP_2)
	v_and_b32_e32 v117, 7, v115
	v_or_b32_e32 v87, v87, v115
	v_or3_b32 v101, v116, v101, v117
	s_delay_alu instid0(VALU_DEP_2) | instskip(NEXT) | instid1(VALU_DEP_2)
	v_cmp_ne_u32_e32 vcc_lo, 0, v87
	v_cndmask_b32_e32 v87, 0, v101, vcc_lo
.LBB2_2429:                             ;   in Loop: Header=BB2_2021 Depth=2
	s_or_b32 exec_lo, exec_lo, s25
.LBB2_2430:                             ;   in Loop: Header=BB2_2021 Depth=2
	s_delay_alu instid0(SALU_CYCLE_1) | instskip(SKIP_3) | instid1(VALU_DEP_1)
	s_or_b32 exec_lo, exec_lo, s24
	v_lshrrev_b16 v115, 8, v96
	s_mov_b32 s10, 0
	s_mov_b32 s25, exec_lo
                                        ; implicit-def: $sgpr24
	v_cmpx_lt_i16_e32 0x7f, v115
	s_xor_b32 s25, exec_lo, s25
	s_cbranch_execnz .LBB2_2644
; %bb.2431:                             ;   in Loop: Header=BB2_2021 Depth=2
	s_or_saveexec_b32 s25, s25
	v_mov_b32_e32 v101, s24
	s_xor_b32 exec_lo, exec_lo, s25
	s_cbranch_execnz .LBB2_2647
.LBB2_2432:                             ;   in Loop: Header=BB2_2021 Depth=2
	s_or_b32 exec_lo, exec_lo, s25
	s_and_saveexec_b32 s24, s10
	s_cbranch_execz .LBB2_2434
.LBB2_2433:                             ;   in Loop: Header=BB2_2021 Depth=2
	v_and_b32_e32 v101, 0xffff, v115
	v_lshlrev_b32_e32 v115, 24, v115
	s_delay_alu instid0(VALU_DEP_2) | instskip(NEXT) | instid1(VALU_DEP_2)
	v_and_b32_e32 v116, 7, v101
	v_and_b32_e32 v115, 0x80000000, v115
	s_delay_alu instid0(VALU_DEP_2) | instskip(NEXT) | instid1(VALU_DEP_1)
	v_clz_i32_u32_e32 v117, v116
	v_min_u32_e32 v117, 32, v117
	s_delay_alu instid0(VALU_DEP_1) | instskip(SKIP_1) | instid1(VALU_DEP_2)
	v_subrev_nc_u32_e32 v118, 28, v117
	v_sub_nc_u32_e32 v117, 29, v117
	v_lshlrev_b32_e32 v118, v118, v101
	v_bfe_u32 v101, v101, 3, 4
	s_delay_alu instid0(VALU_DEP_1) | instskip(NEXT) | instid1(VALU_DEP_3)
	v_cmp_eq_u32_e32 vcc_lo, 0, v101
	v_dual_cndmask_b32 v101, v101, v117 :: v_dual_and_b32 v118, 7, v118
	s_delay_alu instid0(VALU_DEP_1) | instskip(NEXT) | instid1(VALU_DEP_2)
	v_cndmask_b32_e32 v116, v116, v118, vcc_lo
	v_lshl_add_u32 v101, v101, 23, 0x3b800000
	s_delay_alu instid0(VALU_DEP_2) | instskip(NEXT) | instid1(VALU_DEP_1)
	v_lshlrev_b32_e32 v116, 20, v116
	v_or3_b32 v101, v115, v101, v116
.LBB2_2434:                             ;   in Loop: Header=BB2_2021 Depth=2
	s_or_b32 exec_lo, exec_lo, s24
	v_lshrrev_b16 v115, 8, v13
	s_mov_b32 s10, 0
	s_mov_b32 s25, exec_lo
                                        ; implicit-def: $sgpr24
	s_delay_alu instid0(VALU_DEP_1)
	v_cmpx_lt_i16_e32 0x7f, v115
	s_xor_b32 s25, exec_lo, s25
	s_cbranch_execnz .LBB2_2648
; %bb.2435:                             ;   in Loop: Header=BB2_2021 Depth=2
	s_or_saveexec_b32 s25, s25
	v_mov_b32_e32 v116, s24
	s_xor_b32 exec_lo, exec_lo, s25
	s_cbranch_execnz .LBB2_2651
.LBB2_2436:                             ;   in Loop: Header=BB2_2021 Depth=2
	s_or_b32 exec_lo, exec_lo, s25
	s_and_saveexec_b32 s24, s10
	s_cbranch_execz .LBB2_2438
.LBB2_2437:                             ;   in Loop: Header=BB2_2021 Depth=2
	v_and_b32_e32 v116, 0xffff, v115
	v_lshlrev_b32_e32 v115, 24, v115
	s_delay_alu instid0(VALU_DEP_2) | instskip(NEXT) | instid1(VALU_DEP_2)
	v_and_b32_e32 v117, 7, v116
	v_and_b32_e32 v115, 0x80000000, v115
	s_delay_alu instid0(VALU_DEP_2) | instskip(NEXT) | instid1(VALU_DEP_1)
	v_clz_i32_u32_e32 v118, v117
	v_min_u32_e32 v118, 32, v118
	s_delay_alu instid0(VALU_DEP_1) | instskip(SKIP_1) | instid1(VALU_DEP_2)
	v_subrev_nc_u32_e32 v119, 28, v118
	v_sub_nc_u32_e32 v118, 29, v118
	v_lshlrev_b32_e32 v119, v119, v116
	v_bfe_u32 v116, v116, 3, 4
	s_delay_alu instid0(VALU_DEP_2) | instskip(NEXT) | instid1(VALU_DEP_2)
	v_and_b32_e32 v119, 7, v119
	v_cmp_eq_u32_e32 vcc_lo, 0, v116
	s_delay_alu instid0(VALU_DEP_2) | instskip(NEXT) | instid1(VALU_DEP_1)
	v_dual_cndmask_b32 v116, v116, v118 :: v_dual_cndmask_b32 v117, v117, v119
	v_lshl_add_u32 v116, v116, 23, 0x3b800000
	s_delay_alu instid0(VALU_DEP_2) | instskip(NEXT) | instid1(VALU_DEP_1)
	v_lshlrev_b32_e32 v117, 20, v117
	v_or3_b32 v116, v115, v116, v117
.LBB2_2438:                             ;   in Loop: Header=BB2_2021 Depth=2
	s_or_b32 exec_lo, exec_lo, s24
	s_delay_alu instid0(VALU_DEP_1) | instskip(NEXT) | instid1(VALU_DEP_1)
	v_add_f32_e32 v115, v101, v116
	v_and_b32_e32 v101, 0x7f800000, v115
	s_delay_alu instid0(VALU_DEP_1)
	v_cmp_ne_u32_e32 vcc_lo, 0x7f800000, v101
	v_mov_b32_e32 v101, 0x8000
	s_and_saveexec_b32 s24, vcc_lo
	s_cbranch_execz .LBB2_2446
; %bb.2439:                             ;   in Loop: Header=BB2_2021 Depth=2
	v_mov_b32_e32 v101, 0
	s_mov_b32 s25, exec_lo
	v_cmpx_ne_u32_e32 0, v115
	s_cbranch_execz .LBB2_2445
; %bb.2440:                             ;   in Loop: Header=BB2_2021 Depth=2
	v_bfe_u32 v101, v115, 23, 8
	s_delay_alu instid0(VALU_DEP_1) | instskip(SKIP_1) | instid1(VALU_DEP_2)
	v_sub_nc_u32_e32 v117, 0x78, v101
	v_cmp_gt_u32_e32 vcc_lo, 0x79, v101
	v_dual_cndmask_b32 v117, 0, v117 :: v_dual_and_b32 v116, 0x7fffff, v115
	s_delay_alu instid0(VALU_DEP_1) | instskip(SKIP_2) | instid1(VALU_DEP_4)
	v_or_b32_e32 v118, 0x800000, v116
	v_cmp_eq_u32_e32 vcc_lo, 0, v101
	v_add_nc_u32_e32 v101, 0xffffff89, v101
	v_cndmask_b32_e64 v117, v117, 0x77, vcc_lo
	s_delay_alu instid0(VALU_DEP_4) | instskip(NEXT) | instid1(VALU_DEP_3)
	v_cndmask_b32_e32 v116, v118, v116, vcc_lo
	v_cndmask_b32_e64 v101, v101, 0xffffff8a, vcc_lo
	s_delay_alu instid0(VALU_DEP_3) | instskip(NEXT) | instid1(VALU_DEP_3)
	v_lshl_add_u32 v118, 0x100000, v117, -1
	v_lshrrev_b32_e32 v119, v117, v116
	v_lshlrev_b32_e64 v129, v117, 0x80000
	s_delay_alu instid0(VALU_DEP_4) | instskip(NEXT) | instid1(VALU_DEP_4)
	v_add_nc_u32_e32 v117, v117, v101
	v_and_b32_e32 v116, v118, v116
	s_delay_alu instid0(VALU_DEP_4) | instskip(NEXT) | instid1(VALU_DEP_2)
	v_bfe_u32 v128, v119, 20, 1
	v_cmp_eq_u32_e64 s10, v116, v129
	s_delay_alu instid0(VALU_DEP_2) | instskip(NEXT) | instid1(VALU_DEP_1)
	v_add_nc_u32_e32 v118, -1, v128
	v_cndmask_b32_e64 v116, 0, v118, s10
	v_lshrrev_b32_e32 v118, 23, v119
	s_mov_b32 s10, exec_lo
	s_delay_alu instid0(VALU_DEP_2) | instskip(NEXT) | instid1(VALU_DEP_2)
	v_add_nc_u32_e32 v116, v116, v119
	v_xor_b32_e32 v118, 1, v118
	s_delay_alu instid0(VALU_DEP_2) | instskip(NEXT) | instid1(VALU_DEP_1)
	v_and_b32_e32 v101, 0xfffff, v116
	v_add_nc_u32_e32 v116, v101, v119
                                        ; implicit-def: $vgpr101
	s_delay_alu instid0(VALU_DEP_3)
	v_cmpx_ne_u32_e64 v117, v118
	s_xor_b32 s10, exec_lo, s10
; %bb.2441:                             ;   in Loop: Header=BB2_2021 Depth=2
	s_delay_alu instid0(VALU_DEP_2) | instskip(SKIP_2) | instid1(VALU_DEP_2)
	v_cmp_lt_u32_e32 vcc_lo, 0xffffff, v116
	v_sub_nc_u32_e32 v101, v117, v118
	v_cndmask_b32_e64 v117, 0, 1, vcc_lo
	v_add_co_ci_u32_e32 v101, vcc_lo, 0, v101, vcc_lo
	s_delay_alu instid0(VALU_DEP_2)
	v_lshrrev_b32_e32 v116, v117, v116
; %bb.2442:                             ;   in Loop: Header=BB2_2021 Depth=2
	s_and_not1_saveexec_b32 s10, s10
; %bb.2443:                             ;   in Loop: Header=BB2_2021 Depth=2
	s_delay_alu instid0(VALU_DEP_1)
	v_bfe_u32 v101, v116, 23, 1
; %bb.2444:                             ;   in Loop: Header=BB2_2021 Depth=2
	s_or_b32 exec_lo, exec_lo, s10
	v_lshrrev_b32_e32 v116, 20, v116
	s_delay_alu instid0(VALU_DEP_2) | instskip(SKIP_2) | instid1(VALU_DEP_2)
	v_cmp_gt_i32_e32 vcc_lo, 16, v101
	v_min_i32_e32 v117, 15, v101
	v_lshrrev_b32_e32 v115, 24, v115
	v_dual_cndmask_b32 v116, 7, v116 :: v_dual_lshlrev_b32 v117, 3, v117
	s_delay_alu instid0(VALU_DEP_2) | instskip(NEXT) | instid1(VALU_DEP_2)
	v_and_b32_e32 v115, 0x80, v115
	v_or_b32_e32 v101, v101, v116
	s_delay_alu instid0(VALU_DEP_3) | instskip(NEXT) | instid1(VALU_DEP_2)
	v_and_b32_e32 v117, 0xf8, v117
	v_cmp_ne_u32_e32 vcc_lo, 0, v101
	v_and_b32_e32 v118, 7, v116
	s_delay_alu instid0(VALU_DEP_1) | instskip(NEXT) | instid1(VALU_DEP_1)
	v_or3_b32 v115, v115, v117, v118
	v_lshlrev_b32_e32 v115, 8, v115
	s_delay_alu instid0(VALU_DEP_1)
	v_cndmask_b32_e32 v101, 0, v115, vcc_lo
.LBB2_2445:                             ;   in Loop: Header=BB2_2021 Depth=2
	s_or_b32 exec_lo, exec_lo, s25
.LBB2_2446:                             ;   in Loop: Header=BB2_2021 Depth=2
	s_delay_alu instid0(SALU_CYCLE_1) | instskip(SKIP_3) | instid1(VALU_DEP_1)
	s_or_b32 exec_lo, exec_lo, s24
	v_or_b32_e32 v98, v98, v86
	s_mov_b32 s10, 0
	s_mov_b32 s25, exec_lo
                                        ; implicit-def: $sgpr24
	v_and_b32_e32 v115, 0xff, v98
	s_delay_alu instid0(VALU_DEP_1)
	v_cmpx_lt_i16_e32 0x7f, v115
	s_xor_b32 s25, exec_lo, s25
	s_cbranch_execnz .LBB2_2652
; %bb.2447:                             ;   in Loop: Header=BB2_2021 Depth=2
	s_or_saveexec_b32 s25, s25
	v_mov_b32_e32 v86, s24
	s_xor_b32 exec_lo, exec_lo, s25
	s_cbranch_execnz .LBB2_2655
.LBB2_2448:                             ;   in Loop: Header=BB2_2021 Depth=2
	s_or_b32 exec_lo, exec_lo, s25
	v_lshl_or_b32 v96, v98, 16, v96
	s_and_saveexec_b32 s24, s10
	s_cbranch_execz .LBB2_2450
.LBB2_2449:                             ;   in Loop: Header=BB2_2021 Depth=2
	s_delay_alu instid0(VALU_DEP_1) | instskip(SKIP_1) | instid1(VALU_DEP_2)
	v_bfe_u32 v86, v96, 16, 3
	v_lshrrev_b32_e32 v115, 16, v96
	v_clz_i32_u32_e32 v98, v86
	s_delay_alu instid0(VALU_DEP_1) | instskip(NEXT) | instid1(VALU_DEP_1)
	v_min_u32_e32 v98, 32, v98
	v_subrev_nc_u32_e32 v116, 28, v98
	v_sub_nc_u32_e32 v98, 29, v98
	s_delay_alu instid0(VALU_DEP_2) | instskip(SKIP_1) | instid1(VALU_DEP_1)
	v_lshlrev_b32_e32 v115, v116, v115
	v_bfe_u32 v116, v96, 19, 4
	v_cmp_eq_u32_e32 vcc_lo, 0, v116
	s_delay_alu instid0(VALU_DEP_3) | instskip(NEXT) | instid1(VALU_DEP_1)
	v_dual_cndmask_b32 v98, v116, v98 :: v_dual_and_b32 v115, 7, v115
	v_dual_cndmask_b32 v86, v86, v115 :: v_dual_lshlrev_b32 v117, 8, v96
	s_delay_alu instid0(VALU_DEP_2) | instskip(NEXT) | instid1(VALU_DEP_2)
	v_lshl_add_u32 v98, v98, 23, 0x3b800000
	v_and_b32_e32 v115, 0x80000000, v117
	s_delay_alu instid0(VALU_DEP_3) | instskip(NEXT) | instid1(VALU_DEP_1)
	v_lshlrev_b32_e32 v86, 20, v86
	v_or3_b32 v86, v115, v98, v86
.LBB2_2450:                             ;   in Loop: Header=BB2_2021 Depth=2
	s_or_b32 exec_lo, exec_lo, s24
	v_lshrrev_b32_e32 v98, 16, v13
	s_mov_b32 s10, 0
	s_mov_b32 s25, exec_lo
                                        ; implicit-def: $sgpr24
	s_delay_alu instid0(VALU_DEP_1) | instskip(NEXT) | instid1(VALU_DEP_1)
	v_and_b32_e32 v116, 0xff, v98
	v_cmpx_lt_i16_e32 0x7f, v116
	s_xor_b32 s25, exec_lo, s25
	s_cbranch_execnz .LBB2_2656
; %bb.2451:                             ;   in Loop: Header=BB2_2021 Depth=2
	s_or_saveexec_b32 s25, s25
	v_mov_b32_e32 v115, s24
	s_xor_b32 exec_lo, exec_lo, s25
	s_cbranch_execnz .LBB2_2659
.LBB2_2452:                             ;   in Loop: Header=BB2_2021 Depth=2
	s_or_b32 exec_lo, exec_lo, s25
	s_and_saveexec_b32 s24, s10
	s_cbranch_execz .LBB2_2454
.LBB2_2453:                             ;   in Loop: Header=BB2_2021 Depth=2
	v_bfe_u32 v115, v13, 16, 3
	v_lshlrev_b32_e32 v118, 8, v13
	s_delay_alu instid0(VALU_DEP_2) | instskip(NEXT) | instid1(VALU_DEP_1)
	v_clz_i32_u32_e32 v116, v115
	v_min_u32_e32 v116, 32, v116
	s_delay_alu instid0(VALU_DEP_1) | instskip(SKIP_1) | instid1(VALU_DEP_2)
	v_subrev_nc_u32_e32 v117, 28, v116
	v_sub_nc_u32_e32 v116, 29, v116
	v_lshlrev_b32_e32 v98, v117, v98
	v_bfe_u32 v117, v13, 19, 4
	s_delay_alu instid0(VALU_DEP_2) | instskip(NEXT) | instid1(VALU_DEP_2)
	v_and_b32_e32 v98, 7, v98
	v_cmp_eq_u32_e32 vcc_lo, 0, v117
	v_cndmask_b32_e32 v116, v117, v116, vcc_lo
	s_delay_alu instid0(VALU_DEP_3) | instskip(SKIP_1) | instid1(VALU_DEP_3)
	v_cndmask_b32_e32 v98, v115, v98, vcc_lo
	v_and_b32_e32 v115, 0x80000000, v118
	v_lshl_add_u32 v116, v116, 23, 0x3b800000
	s_delay_alu instid0(VALU_DEP_3) | instskip(NEXT) | instid1(VALU_DEP_1)
	v_lshlrev_b32_e32 v98, 20, v98
	v_or3_b32 v115, v115, v116, v98
.LBB2_2454:                             ;   in Loop: Header=BB2_2021 Depth=2
	s_or_b32 exec_lo, exec_lo, s24
	s_delay_alu instid0(VALU_DEP_1) | instskip(NEXT) | instid1(VALU_DEP_1)
	v_add_f32_e32 v98, v86, v115
	v_and_b32_e32 v86, 0x7f800000, v98
	s_delay_alu instid0(VALU_DEP_1)
	v_cmp_ne_u32_e32 vcc_lo, 0x7f800000, v86
	v_mov_b32_e32 v86, 0x80
	s_and_saveexec_b32 s24, vcc_lo
	s_cbranch_execz .LBB2_2462
; %bb.2455:                             ;   in Loop: Header=BB2_2021 Depth=2
	v_mov_b32_e32 v86, 0
	s_mov_b32 s25, exec_lo
	v_cmpx_ne_u32_e32 0, v98
	s_cbranch_execz .LBB2_2461
; %bb.2456:                             ;   in Loop: Header=BB2_2021 Depth=2
	v_bfe_u32 v86, v98, 23, 8
	s_delay_alu instid0(VALU_DEP_1) | instskip(SKIP_1) | instid1(VALU_DEP_2)
	v_sub_nc_u32_e32 v116, 0x78, v86
	v_cmp_gt_u32_e32 vcc_lo, 0x79, v86
	v_dual_cndmask_b32 v116, 0, v116 :: v_dual_and_b32 v115, 0x7fffff, v98
	s_delay_alu instid0(VALU_DEP_1) | instskip(SKIP_2) | instid1(VALU_DEP_4)
	v_or_b32_e32 v117, 0x800000, v115
	v_cmp_eq_u32_e32 vcc_lo, 0, v86
	v_add_nc_u32_e32 v86, 0xffffff89, v86
	v_cndmask_b32_e64 v116, v116, 0x77, vcc_lo
	s_delay_alu instid0(VALU_DEP_4) | instskip(NEXT) | instid1(VALU_DEP_3)
	v_cndmask_b32_e32 v115, v117, v115, vcc_lo
	v_cndmask_b32_e64 v86, v86, 0xffffff8a, vcc_lo
	s_delay_alu instid0(VALU_DEP_3) | instskip(NEXT) | instid1(VALU_DEP_3)
	v_lshl_add_u32 v117, 0x100000, v116, -1
	v_lshrrev_b32_e32 v118, v116, v115
	v_lshlrev_b32_e64 v128, v116, 0x80000
	s_delay_alu instid0(VALU_DEP_4) | instskip(NEXT) | instid1(VALU_DEP_4)
	v_add_nc_u32_e32 v116, v116, v86
	v_and_b32_e32 v115, v117, v115
	s_delay_alu instid0(VALU_DEP_4) | instskip(NEXT) | instid1(VALU_DEP_2)
	v_bfe_u32 v119, v118, 20, 1
	v_cmp_eq_u32_e64 s10, v115, v128
	s_delay_alu instid0(VALU_DEP_2) | instskip(NEXT) | instid1(VALU_DEP_1)
	v_add_nc_u32_e32 v117, -1, v119
	v_cndmask_b32_e64 v115, 0, v117, s10
	v_lshrrev_b32_e32 v117, 23, v118
	s_mov_b32 s10, exec_lo
	s_delay_alu instid0(VALU_DEP_2) | instskip(NEXT) | instid1(VALU_DEP_2)
	v_add_nc_u32_e32 v115, v115, v118
	v_xor_b32_e32 v117, 1, v117
	s_delay_alu instid0(VALU_DEP_2) | instskip(NEXT) | instid1(VALU_DEP_1)
	v_and_b32_e32 v86, 0xfffff, v115
	v_add_nc_u32_e32 v115, v86, v118
                                        ; implicit-def: $vgpr86
	s_delay_alu instid0(VALU_DEP_3)
	v_cmpx_ne_u32_e64 v116, v117
	s_xor_b32 s10, exec_lo, s10
; %bb.2457:                             ;   in Loop: Header=BB2_2021 Depth=2
	s_delay_alu instid0(VALU_DEP_2) | instskip(SKIP_2) | instid1(VALU_DEP_2)
	v_cmp_lt_u32_e32 vcc_lo, 0xffffff, v115
	v_sub_nc_u32_e32 v86, v116, v117
	v_cndmask_b32_e64 v116, 0, 1, vcc_lo
	v_add_co_ci_u32_e32 v86, vcc_lo, 0, v86, vcc_lo
	s_delay_alu instid0(VALU_DEP_2)
	v_lshrrev_b32_e32 v115, v116, v115
; %bb.2458:                             ;   in Loop: Header=BB2_2021 Depth=2
	s_and_not1_saveexec_b32 s10, s10
; %bb.2459:                             ;   in Loop: Header=BB2_2021 Depth=2
	s_delay_alu instid0(VALU_DEP_1)
	v_bfe_u32 v86, v115, 23, 1
; %bb.2460:                             ;   in Loop: Header=BB2_2021 Depth=2
	s_or_b32 exec_lo, exec_lo, s10
	v_lshrrev_b32_e32 v115, 20, v115
	s_delay_alu instid0(VALU_DEP_2) | instskip(SKIP_2) | instid1(VALU_DEP_2)
	v_cmp_gt_i32_e32 vcc_lo, 16, v86
	v_min_i32_e32 v116, 15, v86
	v_lshrrev_b32_e32 v98, 24, v98
	v_dual_cndmask_b32 v115, 7, v115 :: v_dual_lshlrev_b32 v116, 3, v116
	s_delay_alu instid0(VALU_DEP_2) | instskip(NEXT) | instid1(VALU_DEP_2)
	v_and_b32_e32 v98, 0x80, v98
	v_or_b32_e32 v86, v86, v115
	s_delay_alu instid0(VALU_DEP_3) | instskip(NEXT) | instid1(VALU_DEP_2)
	v_and_b32_e32 v116, 0xf8, v116
	v_cmp_ne_u32_e32 vcc_lo, 0, v86
	v_and_b32_e32 v117, 7, v115
	s_delay_alu instid0(VALU_DEP_1) | instskip(NEXT) | instid1(VALU_DEP_1)
	v_or3_b32 v98, v116, v98, v117
	v_cndmask_b32_e32 v86, 0, v98, vcc_lo
.LBB2_2461:                             ;   in Loop: Header=BB2_2021 Depth=2
	s_or_b32 exec_lo, exec_lo, s25
.LBB2_2462:                             ;   in Loop: Header=BB2_2021 Depth=2
	s_delay_alu instid0(SALU_CYCLE_1) | instskip(SKIP_3) | instid1(VALU_DEP_1)
	s_or_b32 exec_lo, exec_lo, s24
	v_lshrrev_b32_e32 v115, 24, v96
	s_mov_b32 s10, 0
	s_mov_b32 s25, exec_lo
                                        ; implicit-def: $sgpr24
	v_cmpx_lt_i16_e32 0x7f, v115
	s_xor_b32 s25, exec_lo, s25
	s_cbranch_execnz .LBB2_2660
; %bb.2463:                             ;   in Loop: Header=BB2_2021 Depth=2
	s_or_saveexec_b32 s25, s25
	v_mov_b32_e32 v98, s24
	s_xor_b32 exec_lo, exec_lo, s25
	s_cbranch_execnz .LBB2_2663
.LBB2_2464:                             ;   in Loop: Header=BB2_2021 Depth=2
	s_or_b32 exec_lo, exec_lo, s25
	s_and_saveexec_b32 s24, s10
	s_cbranch_execz .LBB2_2466
.LBB2_2465:                             ;   in Loop: Header=BB2_2021 Depth=2
	v_bfe_u32 v98, v96, 24, 3
	s_delay_alu instid0(VALU_DEP_1) | instskip(NEXT) | instid1(VALU_DEP_1)
	v_clz_i32_u32_e32 v116, v98
	v_min_u32_e32 v116, 32, v116
	s_delay_alu instid0(VALU_DEP_1) | instskip(SKIP_1) | instid1(VALU_DEP_2)
	v_subrev_nc_u32_e32 v117, 28, v116
	v_sub_nc_u32_e32 v116, 29, v116
	v_lshlrev_b32_e32 v115, v117, v115
	v_bfe_u32 v117, v96, 27, 4
	v_and_b32_e32 v96, 0x80000000, v96
	s_delay_alu instid0(VALU_DEP_2) | instskip(NEXT) | instid1(VALU_DEP_4)
	v_cmp_eq_u32_e32 vcc_lo, 0, v117
	v_dual_cndmask_b32 v116, v117, v116 :: v_dual_and_b32 v115, 7, v115
	s_delay_alu instid0(VALU_DEP_1) | instskip(NEXT) | instid1(VALU_DEP_2)
	v_cndmask_b32_e32 v98, v98, v115, vcc_lo
	v_lshl_add_u32 v115, v116, 23, 0x3b800000
	s_delay_alu instid0(VALU_DEP_2) | instskip(NEXT) | instid1(VALU_DEP_1)
	v_lshlrev_b32_e32 v98, 20, v98
	v_or3_b32 v98, v96, v115, v98
.LBB2_2466:                             ;   in Loop: Header=BB2_2021 Depth=2
	s_or_b32 exec_lo, exec_lo, s24
	v_lshrrev_b32_e32 v96, 24, v13
	s_mov_b32 s10, 0
	s_mov_b32 s25, exec_lo
                                        ; implicit-def: $sgpr24
	s_delay_alu instid0(VALU_DEP_1)
	v_cmpx_lt_i16_e32 0x7f, v96
	s_xor_b32 s25, exec_lo, s25
	s_cbranch_execnz .LBB2_2664
; %bb.2467:                             ;   in Loop: Header=BB2_2021 Depth=2
	s_or_saveexec_b32 s25, s25
	v_mov_b32_e32 v115, s24
	s_xor_b32 exec_lo, exec_lo, s25
	s_cbranch_execnz .LBB2_2667
.LBB2_2468:                             ;   in Loop: Header=BB2_2021 Depth=2
	s_or_b32 exec_lo, exec_lo, s25
	s_and_saveexec_b32 s24, s10
	s_cbranch_execz .LBB2_2470
.LBB2_2469:                             ;   in Loop: Header=BB2_2021 Depth=2
	v_bfe_u32 v115, v13, 24, 3
	s_delay_alu instid0(VALU_DEP_1) | instskip(NEXT) | instid1(VALU_DEP_1)
	v_clz_i32_u32_e32 v116, v115
	v_min_u32_e32 v116, 32, v116
	s_delay_alu instid0(VALU_DEP_1) | instskip(SKIP_1) | instid1(VALU_DEP_2)
	v_subrev_nc_u32_e32 v117, 28, v116
	v_sub_nc_u32_e32 v116, 29, v116
	v_lshlrev_b32_e32 v96, v117, v96
	v_bfe_u32 v117, v13, 27, 4
	v_and_b32_e32 v13, 0x80000000, v13
	s_delay_alu instid0(VALU_DEP_3) | instskip(NEXT) | instid1(VALU_DEP_3)
	v_and_b32_e32 v96, 7, v96
	v_cmp_eq_u32_e32 vcc_lo, 0, v117
	v_cndmask_b32_e32 v116, v117, v116, vcc_lo
	s_delay_alu instid0(VALU_DEP_3) | instskip(NEXT) | instid1(VALU_DEP_2)
	v_cndmask_b32_e32 v96, v115, v96, vcc_lo
	v_lshl_add_u32 v115, v116, 23, 0x3b800000
	s_delay_alu instid0(VALU_DEP_2) | instskip(NEXT) | instid1(VALU_DEP_1)
	v_lshlrev_b32_e32 v96, 20, v96
	v_or3_b32 v115, v13, v115, v96
.LBB2_2470:                             ;   in Loop: Header=BB2_2021 Depth=2
	s_or_b32 exec_lo, exec_lo, s24
	s_delay_alu instid0(VALU_DEP_1) | instskip(NEXT) | instid1(VALU_DEP_1)
	v_add_f32_e32 v13, v98, v115
	v_and_b32_e32 v96, 0x7f800000, v13
	s_delay_alu instid0(VALU_DEP_1)
	v_cmp_ne_u32_e32 vcc_lo, 0x7f800000, v96
	v_mov_b32_e32 v96, 0x8000
	s_and_saveexec_b32 s24, vcc_lo
	s_cbranch_execz .LBB2_2020
; %bb.2471:                             ;   in Loop: Header=BB2_2021 Depth=2
	v_mov_b32_e32 v96, 0
	s_mov_b32 s25, exec_lo
	v_cmpx_ne_u32_e32 0, v13
	s_cbranch_execz .LBB2_2019
; %bb.2472:                             ;   in Loop: Header=BB2_2021 Depth=2
	v_bfe_u32 v96, v13, 23, 8
	s_delay_alu instid0(VALU_DEP_1) | instskip(SKIP_1) | instid1(VALU_DEP_2)
	v_sub_nc_u32_e32 v115, 0x78, v96
	v_cmp_gt_u32_e32 vcc_lo, 0x79, v96
	v_dual_cndmask_b32 v115, 0, v115 :: v_dual_and_b32 v98, 0x7fffff, v13
	s_delay_alu instid0(VALU_DEP_1) | instskip(SKIP_2) | instid1(VALU_DEP_4)
	v_or_b32_e32 v116, 0x800000, v98
	v_cmp_eq_u32_e32 vcc_lo, 0, v96
	v_add_nc_u32_e32 v96, 0xffffff89, v96
	v_cndmask_b32_e64 v115, v115, 0x77, vcc_lo
	s_delay_alu instid0(VALU_DEP_2) | instskip(SKIP_1) | instid1(VALU_DEP_3)
	v_cndmask_b32_e64 v96, v96, 0xffffff8a, vcc_lo
	v_cndmask_b32_e32 v98, v116, v98, vcc_lo
	v_lshl_add_u32 v116, 0x100000, v115, -1
	v_lshlrev_b32_e64 v119, v115, 0x80000
	s_delay_alu instid0(VALU_DEP_3) | instskip(SKIP_1) | instid1(VALU_DEP_4)
	v_lshrrev_b32_e32 v117, v115, v98
	v_add_nc_u32_e32 v115, v115, v96
	v_and_b32_e32 v98, v116, v98
	s_delay_alu instid0(VALU_DEP_3) | instskip(NEXT) | instid1(VALU_DEP_2)
	v_bfe_u32 v118, v117, 20, 1
	v_cmp_eq_u32_e64 s10, v98, v119
	s_delay_alu instid0(VALU_DEP_2) | instskip(NEXT) | instid1(VALU_DEP_1)
	v_add_nc_u32_e32 v116, -1, v118
	v_cndmask_b32_e64 v98, 0, v116, s10
	v_lshrrev_b32_e32 v116, 23, v117
	s_mov_b32 s10, exec_lo
	s_delay_alu instid0(VALU_DEP_2) | instskip(NEXT) | instid1(VALU_DEP_2)
	v_add_nc_u32_e32 v98, v98, v117
	v_xor_b32_e32 v116, 1, v116
	s_delay_alu instid0(VALU_DEP_2) | instskip(NEXT) | instid1(VALU_DEP_1)
	v_and_b32_e32 v96, 0xfffff, v98
	v_add_nc_u32_e32 v98, v96, v117
                                        ; implicit-def: $vgpr96
	s_delay_alu instid0(VALU_DEP_3)
	v_cmpx_ne_u32_e64 v115, v116
	s_xor_b32 s10, exec_lo, s10
; %bb.2473:                             ;   in Loop: Header=BB2_2021 Depth=2
	s_delay_alu instid0(VALU_DEP_2) | instskip(SKIP_2) | instid1(VALU_DEP_2)
	v_cmp_lt_u32_e32 vcc_lo, 0xffffff, v98
	v_sub_nc_u32_e32 v96, v115, v116
	v_cndmask_b32_e64 v115, 0, 1, vcc_lo
	v_add_co_ci_u32_e32 v96, vcc_lo, 0, v96, vcc_lo
	s_delay_alu instid0(VALU_DEP_2)
	v_lshrrev_b32_e32 v98, v115, v98
; %bb.2474:                             ;   in Loop: Header=BB2_2021 Depth=2
	s_and_not1_saveexec_b32 s10, s10
	s_cbranch_execz .LBB2_2018
; %bb.2475:                             ;   in Loop: Header=BB2_2021 Depth=2
	s_delay_alu instid0(VALU_DEP_1)
	v_bfe_u32 v96, v98, 23, 1
	s_branch .LBB2_2018
.LBB2_2476:                             ;   in Loop: Header=BB2_2021 Depth=2
	s_mov_b32 s10, -1
	s_mov_b32 s27, exec_lo
                                        ; implicit-def: $sgpr25
	v_cmpx_eq_u16_e32 0x80, v86
; %bb.2477:                             ;   in Loop: Header=BB2_2021 Depth=2
	s_mov_b32 s25, 0x7f800001
	s_xor_b32 s10, exec_lo, -1
; %bb.2478:                             ;   in Loop: Header=BB2_2021 Depth=2
	s_or_b32 exec_lo, exec_lo, s27
	s_delay_alu instid0(SALU_CYCLE_1)
	s_and_b32 s10, s10, exec_lo
                                        ; implicit-def: $vgpr86
	s_or_saveexec_b32 s26, s26
	v_mov_b32_e32 v85, s25
	s_xor_b32 exec_lo, exec_lo, s26
	s_cbranch_execz .LBB2_2032
.LBB2_2479:                             ;   in Loop: Header=BB2_2021 Depth=2
	v_cmp_ne_u16_e32 vcc_lo, 0, v86
	v_mov_b32_e32 v85, 0
	s_and_not1_b32 s10, s10, exec_lo
	s_and_b32 s25, vcc_lo, exec_lo
	s_delay_alu instid0(SALU_CYCLE_1)
	s_or_b32 s10, s10, s25
	s_or_b32 exec_lo, exec_lo, s26
	s_and_saveexec_b32 s25, s10
	s_cbranch_execnz .LBB2_2033
	s_branch .LBB2_2034
.LBB2_2480:                             ;   in Loop: Header=BB2_2021 Depth=2
	s_mov_b32 s10, -1
	s_mov_b32 s27, exec_lo
                                        ; implicit-def: $sgpr25
	v_cmpx_eq_u16_e32 0x80, v86
; %bb.2481:                             ;   in Loop: Header=BB2_2021 Depth=2
	s_mov_b32 s25, 0x7f800001
	s_xor_b32 s10, exec_lo, -1
; %bb.2482:                             ;   in Loop: Header=BB2_2021 Depth=2
	s_or_b32 exec_lo, exec_lo, s27
	s_delay_alu instid0(SALU_CYCLE_1)
	s_and_b32 s10, s10, exec_lo
	s_or_saveexec_b32 s26, s26
	v_mov_b32_e32 v87, s25
	s_xor_b32 exec_lo, exec_lo, s26
	s_cbranch_execz .LBB2_2044
.LBB2_2483:                             ;   in Loop: Header=BB2_2021 Depth=2
	v_cmp_ne_u16_e32 vcc_lo, 0, v86
	v_mov_b32_e32 v87, 0
	s_and_not1_b32 s10, s10, exec_lo
	s_and_b32 s25, vcc_lo, exec_lo
	s_delay_alu instid0(SALU_CYCLE_1)
	s_or_b32 s10, s10, s25
	s_or_b32 exec_lo, exec_lo, s26
	s_and_saveexec_b32 s25, s10
	s_cbranch_execnz .LBB2_2045
	s_branch .LBB2_2046
.LBB2_2484:                             ;   in Loop: Header=BB2_2021 Depth=2
	s_mov_b32 s10, -1
	s_mov_b32 s27, exec_lo
                                        ; implicit-def: $sgpr25
	v_cmpx_eq_u16_e32 0x80, v96
; %bb.2485:                             ;   in Loop: Header=BB2_2021 Depth=2
	s_mov_b32 s25, 0x7f800001
	s_xor_b32 s10, exec_lo, -1
; %bb.2486:                             ;   in Loop: Header=BB2_2021 Depth=2
	s_or_b32 exec_lo, exec_lo, s27
	s_delay_alu instid0(SALU_CYCLE_1)
	s_and_b32 s10, s10, exec_lo
                                        ; implicit-def: $vgpr96
	s_or_saveexec_b32 s26, s26
	v_mov_b32_e32 v87, s25
	s_xor_b32 exec_lo, exec_lo, s26
	s_cbranch_execz .LBB2_2056
.LBB2_2487:                             ;   in Loop: Header=BB2_2021 Depth=2
	v_cmp_ne_u16_e32 vcc_lo, 0, v96
	v_mov_b32_e32 v87, 0
	s_and_not1_b32 s10, s10, exec_lo
	s_and_b32 s25, vcc_lo, exec_lo
	s_delay_alu instid0(SALU_CYCLE_1)
	s_or_b32 s10, s10, s25
	s_or_b32 exec_lo, exec_lo, s26
	s_and_saveexec_b32 s25, s10
	s_cbranch_execnz .LBB2_2057
	s_branch .LBB2_2058
.LBB2_2488:                             ;   in Loop: Header=BB2_2021 Depth=2
	s_mov_b32 s10, -1
	s_mov_b32 s27, exec_lo
                                        ; implicit-def: $sgpr25
	v_cmpx_eq_u16_e32 0x80, v86
; %bb.2489:                             ;   in Loop: Header=BB2_2021 Depth=2
	s_mov_b32 s25, 0x7f800001
	s_xor_b32 s10, exec_lo, -1
; %bb.2490:                             ;   in Loop: Header=BB2_2021 Depth=2
	s_or_b32 exec_lo, exec_lo, s27
	s_delay_alu instid0(SALU_CYCLE_1)
	s_and_b32 s10, s10, exec_lo
	s_or_saveexec_b32 s26, s26
	v_mov_b32_e32 v87, s25
	s_xor_b32 exec_lo, exec_lo, s26
	s_cbranch_execz .LBB2_2068
.LBB2_2491:                             ;   in Loop: Header=BB2_2021 Depth=2
	v_cmp_ne_u16_e32 vcc_lo, 0, v86
	v_mov_b32_e32 v87, 0
	s_and_not1_b32 s10, s10, exec_lo
	s_and_b32 s25, vcc_lo, exec_lo
	s_delay_alu instid0(SALU_CYCLE_1)
	s_or_b32 s10, s10, s25
	s_or_b32 exec_lo, exec_lo, s26
	s_and_saveexec_b32 s25, s10
	s_cbranch_execnz .LBB2_2069
	s_branch .LBB2_2070
.LBB2_2492:                             ;   in Loop: Header=BB2_2021 Depth=2
	s_mov_b32 s10, -1
	s_mov_b32 s27, exec_lo
                                        ; implicit-def: $sgpr25
	v_cmpx_eq_u16_e32 0x80, v86
; %bb.2493:                             ;   in Loop: Header=BB2_2021 Depth=2
	s_mov_b32 s25, 0x7f800001
	s_xor_b32 s10, exec_lo, -1
; %bb.2494:                             ;   in Loop: Header=BB2_2021 Depth=2
	s_or_b32 exec_lo, exec_lo, s27
	s_delay_alu instid0(SALU_CYCLE_1)
	s_and_b32 s10, s10, exec_lo
                                        ; implicit-def: $vgpr86
	s_or_saveexec_b32 s26, s26
	v_mov_b32_e32 v10, s25
	s_xor_b32 exec_lo, exec_lo, s26
	s_cbranch_execz .LBB2_2080
.LBB2_2495:                             ;   in Loop: Header=BB2_2021 Depth=2
	v_cmp_ne_u16_e32 vcc_lo, 0, v86
	v_mov_b32_e32 v10, 0
	s_and_not1_b32 s10, s10, exec_lo
	s_and_b32 s25, vcc_lo, exec_lo
	s_delay_alu instid0(SALU_CYCLE_1)
	s_or_b32 s10, s10, s25
	s_or_b32 exec_lo, exec_lo, s26
	s_and_saveexec_b32 s25, s10
	s_cbranch_execnz .LBB2_2081
	s_branch .LBB2_2082
.LBB2_2496:                             ;   in Loop: Header=BB2_2021 Depth=2
	s_mov_b32 s10, -1
	s_mov_b32 s27, exec_lo
                                        ; implicit-def: $sgpr25
	v_cmpx_eq_u16_e32 0x80, v10
; %bb.2497:                             ;   in Loop: Header=BB2_2021 Depth=2
	s_mov_b32 s25, 0x7f800001
	s_xor_b32 s10, exec_lo, -1
; %bb.2498:                             ;   in Loop: Header=BB2_2021 Depth=2
	s_or_b32 exec_lo, exec_lo, s27
	s_delay_alu instid0(SALU_CYCLE_1)
	s_and_b32 s10, s10, exec_lo
	s_or_saveexec_b32 s26, s26
	v_mov_b32_e32 v86, s25
	s_xor_b32 exec_lo, exec_lo, s26
	s_cbranch_execz .LBB2_2092
.LBB2_2499:                             ;   in Loop: Header=BB2_2021 Depth=2
	v_cmp_ne_u16_e32 vcc_lo, 0, v10
	v_mov_b32_e32 v86, 0
	s_and_not1_b32 s10, s10, exec_lo
	s_and_b32 s25, vcc_lo, exec_lo
	s_delay_alu instid0(SALU_CYCLE_1)
	s_or_b32 s10, s10, s25
	s_or_b32 exec_lo, exec_lo, s26
	s_and_saveexec_b32 s25, s10
	s_cbranch_execnz .LBB2_2093
	s_branch .LBB2_2094
.LBB2_2500:                             ;   in Loop: Header=BB2_2021 Depth=2
	s_mov_b32 s10, -1
	s_mov_b32 s27, exec_lo
                                        ; implicit-def: $sgpr25
	v_cmpx_eq_u16_e32 0x80, v87
; %bb.2501:                             ;   in Loop: Header=BB2_2021 Depth=2
	s_mov_b32 s25, 0x7f800001
	s_xor_b32 s10, exec_lo, -1
; %bb.2502:                             ;   in Loop: Header=BB2_2021 Depth=2
	s_or_b32 exec_lo, exec_lo, s27
	s_delay_alu instid0(SALU_CYCLE_1)
	s_and_b32 s10, s10, exec_lo
                                        ; implicit-def: $vgpr87
	s_or_saveexec_b32 s26, s26
	v_mov_b32_e32 v86, s25
	s_xor_b32 exec_lo, exec_lo, s26
	s_cbranch_execz .LBB2_2104
.LBB2_2503:                             ;   in Loop: Header=BB2_2021 Depth=2
	v_cmp_ne_u16_e32 vcc_lo, 0, v87
	v_mov_b32_e32 v86, 0
	s_and_not1_b32 s10, s10, exec_lo
	s_and_b32 s25, vcc_lo, exec_lo
	s_delay_alu instid0(SALU_CYCLE_1)
	s_or_b32 s10, s10, s25
	s_or_b32 exec_lo, exec_lo, s26
	s_and_saveexec_b32 s25, s10
	s_cbranch_execnz .LBB2_2105
	s_branch .LBB2_2106
.LBB2_2504:                             ;   in Loop: Header=BB2_2021 Depth=2
	s_mov_b32 s10, -1
	s_mov_b32 s27, exec_lo
                                        ; implicit-def: $sgpr25
	v_cmpx_eq_u16_e32 0x80, v10
; %bb.2505:                             ;   in Loop: Header=BB2_2021 Depth=2
	s_mov_b32 s25, 0x7f800001
	s_xor_b32 s10, exec_lo, -1
; %bb.2506:                             ;   in Loop: Header=BB2_2021 Depth=2
	s_or_b32 exec_lo, exec_lo, s27
	s_delay_alu instid0(SALU_CYCLE_1)
	s_and_b32 s10, s10, exec_lo
	s_or_saveexec_b32 s26, s26
	v_mov_b32_e32 v86, s25
	s_xor_b32 exec_lo, exec_lo, s26
	s_cbranch_execz .LBB2_2116
.LBB2_2507:                             ;   in Loop: Header=BB2_2021 Depth=2
	v_cmp_ne_u16_e32 vcc_lo, 0, v10
	v_mov_b32_e32 v86, 0
	s_and_not1_b32 s10, s10, exec_lo
	s_and_b32 s25, vcc_lo, exec_lo
	s_delay_alu instid0(SALU_CYCLE_1)
	s_or_b32 s10, s10, s25
	s_or_b32 exec_lo, exec_lo, s26
	s_and_saveexec_b32 s25, s10
	s_cbranch_execnz .LBB2_2117
	s_branch .LBB2_2118
.LBB2_2508:                             ;   in Loop: Header=BB2_2021 Depth=2
	s_mov_b32 s10, -1
	s_mov_b32 s27, exec_lo
                                        ; implicit-def: $sgpr25
	v_cmpx_eq_u16_e32 0x80, v11
; %bb.2509:                             ;   in Loop: Header=BB2_2021 Depth=2
	s_mov_b32 s25, 0x7f800001
	s_xor_b32 s10, exec_lo, -1
; %bb.2510:                             ;   in Loop: Header=BB2_2021 Depth=2
	s_or_b32 exec_lo, exec_lo, s27
	s_delay_alu instid0(SALU_CYCLE_1)
	s_and_b32 s10, s10, exec_lo
                                        ; implicit-def: $vgpr11
	s_or_saveexec_b32 s26, s26
	v_mov_b32_e32 v10, s25
	s_xor_b32 exec_lo, exec_lo, s26
	s_cbranch_execz .LBB2_2128
.LBB2_2511:                             ;   in Loop: Header=BB2_2021 Depth=2
	v_cmp_ne_u16_e32 vcc_lo, 0, v11
	v_mov_b32_e32 v10, 0
	s_and_not1_b32 s10, s10, exec_lo
	s_and_b32 s25, vcc_lo, exec_lo
	s_delay_alu instid0(SALU_CYCLE_1)
	s_or_b32 s10, s10, s25
	s_or_b32 exec_lo, exec_lo, s26
	s_and_saveexec_b32 s25, s10
	s_cbranch_execnz .LBB2_2129
	s_branch .LBB2_2130
.LBB2_2512:                             ;   in Loop: Header=BB2_2021 Depth=2
	s_mov_b32 s10, -1
	s_mov_b32 s27, exec_lo
                                        ; implicit-def: $sgpr25
	v_cmpx_eq_u16_e32 0x80, v10
; %bb.2513:                             ;   in Loop: Header=BB2_2021 Depth=2
	s_mov_b32 s25, 0x7f800001
	s_xor_b32 s10, exec_lo, -1
; %bb.2514:                             ;   in Loop: Header=BB2_2021 Depth=2
	s_or_b32 exec_lo, exec_lo, s27
	s_delay_alu instid0(SALU_CYCLE_1)
	s_and_b32 s10, s10, exec_lo
	s_or_saveexec_b32 s26, s26
	v_mov_b32_e32 v11, s25
	s_xor_b32 exec_lo, exec_lo, s26
	s_cbranch_execz .LBB2_2140
.LBB2_2515:                             ;   in Loop: Header=BB2_2021 Depth=2
	v_cmp_ne_u16_e32 vcc_lo, 0, v10
	v_mov_b32_e32 v11, 0
	s_and_not1_b32 s10, s10, exec_lo
	s_and_b32 s25, vcc_lo, exec_lo
	s_delay_alu instid0(SALU_CYCLE_1)
	s_or_b32 s10, s10, s25
	s_or_b32 exec_lo, exec_lo, s26
	s_and_saveexec_b32 s25, s10
	s_cbranch_execnz .LBB2_2141
	s_branch .LBB2_2142
.LBB2_2516:                             ;   in Loop: Header=BB2_2021 Depth=2
	s_mov_b32 s10, -1
	s_mov_b32 s27, exec_lo
                                        ; implicit-def: $sgpr25
	v_cmpx_eq_u16_e32 0x80, v86
; %bb.2517:                             ;   in Loop: Header=BB2_2021 Depth=2
	s_mov_b32 s25, 0x7f800001
	s_xor_b32 s10, exec_lo, -1
; %bb.2518:                             ;   in Loop: Header=BB2_2021 Depth=2
	s_or_b32 exec_lo, exec_lo, s27
	s_delay_alu instid0(SALU_CYCLE_1)
	s_and_b32 s10, s10, exec_lo
                                        ; implicit-def: $vgpr86
	s_or_saveexec_b32 s26, s26
	v_mov_b32_e32 v11, s25
	s_xor_b32 exec_lo, exec_lo, s26
	s_cbranch_execz .LBB2_2152
.LBB2_2519:                             ;   in Loop: Header=BB2_2021 Depth=2
	v_cmp_ne_u16_e32 vcc_lo, 0, v86
	v_mov_b32_e32 v11, 0
	s_and_not1_b32 s10, s10, exec_lo
	s_and_b32 s25, vcc_lo, exec_lo
	s_delay_alu instid0(SALU_CYCLE_1)
	s_or_b32 s10, s10, s25
	s_or_b32 exec_lo, exec_lo, s26
	s_and_saveexec_b32 s25, s10
	s_cbranch_execnz .LBB2_2153
	s_branch .LBB2_2154
.LBB2_2520:                             ;   in Loop: Header=BB2_2021 Depth=2
	s_mov_b32 s10, -1
	s_mov_b32 s27, exec_lo
                                        ; implicit-def: $sgpr25
	v_cmpx_eq_u16_e32 0x80, v10
; %bb.2521:                             ;   in Loop: Header=BB2_2021 Depth=2
	s_mov_b32 s25, 0x7f800001
	s_xor_b32 s10, exec_lo, -1
; %bb.2522:                             ;   in Loop: Header=BB2_2021 Depth=2
	s_or_b32 exec_lo, exec_lo, s27
	s_delay_alu instid0(SALU_CYCLE_1)
	s_and_b32 s10, s10, exec_lo
	s_or_saveexec_b32 s26, s26
	v_mov_b32_e32 v11, s25
	s_xor_b32 exec_lo, exec_lo, s26
	s_cbranch_execz .LBB2_2164
.LBB2_2523:                             ;   in Loop: Header=BB2_2021 Depth=2
	v_cmp_ne_u16_e32 vcc_lo, 0, v10
	v_mov_b32_e32 v11, 0
	s_and_not1_b32 s10, s10, exec_lo
	s_and_b32 s25, vcc_lo, exec_lo
	s_delay_alu instid0(SALU_CYCLE_1)
	s_or_b32 s10, s10, s25
	s_or_b32 exec_lo, exec_lo, s26
	s_and_saveexec_b32 s25, s10
	s_cbranch_execnz .LBB2_2165
	s_branch .LBB2_2166
.LBB2_2524:                             ;   in Loop: Header=BB2_2021 Depth=2
	s_mov_b32 s10, -1
	s_mov_b32 s27, exec_lo
                                        ; implicit-def: $sgpr25
	v_cmpx_eq_u16_e32 0x80, v11
; %bb.2525:                             ;   in Loop: Header=BB2_2021 Depth=2
	s_mov_b32 s25, 0x7f800001
	s_xor_b32 s10, exec_lo, -1
; %bb.2526:                             ;   in Loop: Header=BB2_2021 Depth=2
	s_or_b32 exec_lo, exec_lo, s27
	s_delay_alu instid0(SALU_CYCLE_1)
	s_and_b32 s10, s10, exec_lo
                                        ; implicit-def: $vgpr11
	s_or_saveexec_b32 s26, s26
	v_mov_b32_e32 v10, s25
	s_xor_b32 exec_lo, exec_lo, s26
	s_cbranch_execz .LBB2_2176
.LBB2_2527:                             ;   in Loop: Header=BB2_2021 Depth=2
	v_cmp_ne_u16_e32 vcc_lo, 0, v11
	v_mov_b32_e32 v10, 0
	s_and_not1_b32 s10, s10, exec_lo
	s_and_b32 s25, vcc_lo, exec_lo
	s_delay_alu instid0(SALU_CYCLE_1)
	s_or_b32 s10, s10, s25
	s_or_b32 exec_lo, exec_lo, s26
	s_and_saveexec_b32 s25, s10
	s_cbranch_execnz .LBB2_2177
	s_branch .LBB2_2178
.LBB2_2528:                             ;   in Loop: Header=BB2_2021 Depth=2
	s_mov_b32 s10, -1
	s_mov_b32 s27, exec_lo
                                        ; implicit-def: $sgpr25
	v_cmpx_eq_u16_e32 0x80, v10
; %bb.2529:                             ;   in Loop: Header=BB2_2021 Depth=2
	s_mov_b32 s25, 0x7f800001
	s_xor_b32 s10, exec_lo, -1
; %bb.2530:                             ;   in Loop: Header=BB2_2021 Depth=2
	s_or_b32 exec_lo, exec_lo, s27
	s_delay_alu instid0(SALU_CYCLE_1)
	s_and_b32 s10, s10, exec_lo
	s_or_saveexec_b32 s26, s26
	v_mov_b32_e32 v11, s25
	s_xor_b32 exec_lo, exec_lo, s26
	s_cbranch_execz .LBB2_2188
.LBB2_2531:                             ;   in Loop: Header=BB2_2021 Depth=2
	v_cmp_ne_u16_e32 vcc_lo, 0, v10
	v_mov_b32_e32 v11, 0
	s_and_not1_b32 s10, s10, exec_lo
	s_and_b32 s25, vcc_lo, exec_lo
	s_delay_alu instid0(SALU_CYCLE_1)
	s_or_b32 s10, s10, s25
	s_or_b32 exec_lo, exec_lo, s26
	s_and_saveexec_b32 s25, s10
	s_cbranch_execnz .LBB2_2189
	s_branch .LBB2_2190
.LBB2_2532:                             ;   in Loop: Header=BB2_2021 Depth=2
	s_mov_b32 s10, -1
	s_mov_b32 s27, exec_lo
                                        ; implicit-def: $sgpr25
	v_cmpx_eq_u16_e32 0x80, v12
; %bb.2533:                             ;   in Loop: Header=BB2_2021 Depth=2
	s_mov_b32 s25, 0x7f800001
	s_xor_b32 s10, exec_lo, -1
; %bb.2534:                             ;   in Loop: Header=BB2_2021 Depth=2
	s_or_b32 exec_lo, exec_lo, s27
	s_delay_alu instid0(SALU_CYCLE_1)
	s_and_b32 s10, s10, exec_lo
                                        ; implicit-def: $vgpr12
	s_or_saveexec_b32 s26, s26
	v_mov_b32_e32 v11, s25
	s_xor_b32 exec_lo, exec_lo, s26
	s_cbranch_execz .LBB2_2200
.LBB2_2535:                             ;   in Loop: Header=BB2_2021 Depth=2
	v_cmp_ne_u16_e32 vcc_lo, 0, v12
	v_mov_b32_e32 v11, 0
	s_and_not1_b32 s10, s10, exec_lo
	s_and_b32 s25, vcc_lo, exec_lo
	s_delay_alu instid0(SALU_CYCLE_1)
	s_or_b32 s10, s10, s25
	s_or_b32 exec_lo, exec_lo, s26
	s_and_saveexec_b32 s25, s10
	s_cbranch_execnz .LBB2_2201
	s_branch .LBB2_2202
.LBB2_2536:                             ;   in Loop: Header=BB2_2021 Depth=2
	s_mov_b32 s10, -1
	s_mov_b32 s27, exec_lo
                                        ; implicit-def: $sgpr25
	v_cmpx_eq_u16_e32 0x80, v10
; %bb.2537:                             ;   in Loop: Header=BB2_2021 Depth=2
	s_mov_b32 s25, 0x7f800001
	s_xor_b32 s10, exec_lo, -1
; %bb.2538:                             ;   in Loop: Header=BB2_2021 Depth=2
	s_or_b32 exec_lo, exec_lo, s27
	s_delay_alu instid0(SALU_CYCLE_1)
	s_and_b32 s10, s10, exec_lo
	s_or_saveexec_b32 s26, s26
	v_mov_b32_e32 v11, s25
	s_xor_b32 exec_lo, exec_lo, s26
	s_cbranch_execz .LBB2_2212
.LBB2_2539:                             ;   in Loop: Header=BB2_2021 Depth=2
	v_cmp_ne_u16_e32 vcc_lo, 0, v10
	v_mov_b32_e32 v11, 0
	s_and_not1_b32 s10, s10, exec_lo
	s_and_b32 s25, vcc_lo, exec_lo
	s_delay_alu instid0(SALU_CYCLE_1)
	s_or_b32 s10, s10, s25
	s_or_b32 exec_lo, exec_lo, s26
	s_and_saveexec_b32 s25, s10
	s_cbranch_execnz .LBB2_2213
	s_branch .LBB2_2214
.LBB2_2540:                             ;   in Loop: Header=BB2_2021 Depth=2
	s_mov_b32 s10, -1
	s_mov_b32 s26, exec_lo
                                        ; implicit-def: $sgpr24
	v_cmpx_eq_u16_e32 0x80, v118
; %bb.2541:                             ;   in Loop: Header=BB2_2021 Depth=2
	s_mov_b32 s24, 0x7f800001
	s_xor_b32 s10, exec_lo, -1
; %bb.2542:                             ;   in Loop: Header=BB2_2021 Depth=2
	s_or_b32 exec_lo, exec_lo, s26
	s_delay_alu instid0(SALU_CYCLE_1)
	s_and_b32 s10, s10, exec_lo
                                        ; implicit-def: $vgpr118
	s_or_saveexec_b32 s25, s25
	v_mov_b32_e32 v117, s24
	s_xor_b32 exec_lo, exec_lo, s25
	s_cbranch_execz .LBB2_2224
.LBB2_2543:                             ;   in Loop: Header=BB2_2021 Depth=2
	v_cmp_ne_u16_e32 vcc_lo, 0, v118
	v_mov_b32_e32 v117, 0
	s_and_not1_b32 s10, s10, exec_lo
	s_and_b32 s24, vcc_lo, exec_lo
	s_delay_alu instid0(SALU_CYCLE_1)
	s_or_b32 s10, s10, s24
	s_or_b32 exec_lo, exec_lo, s25
	s_and_saveexec_b32 s24, s10
	s_cbranch_execnz .LBB2_2225
	s_branch .LBB2_2226
.LBB2_2544:                             ;   in Loop: Header=BB2_2021 Depth=2
	s_mov_b32 s10, -1
	s_mov_b32 s26, exec_lo
                                        ; implicit-def: $sgpr24
	v_cmpx_eq_u16_e32 0x80, v118
; %bb.2545:                             ;   in Loop: Header=BB2_2021 Depth=2
	s_mov_b32 s24, 0x7f800001
	s_xor_b32 s10, exec_lo, -1
; %bb.2546:                             ;   in Loop: Header=BB2_2021 Depth=2
	s_or_b32 exec_lo, exec_lo, s26
	s_delay_alu instid0(SALU_CYCLE_1)
	s_and_b32 s10, s10, exec_lo
                                        ; implicit-def: $vgpr118
	s_or_saveexec_b32 s25, s25
	v_mov_b32_e32 v85, s24
	s_xor_b32 exec_lo, exec_lo, s25
	s_cbranch_execz .LBB2_2228
.LBB2_2547:                             ;   in Loop: Header=BB2_2021 Depth=2
	v_cmp_ne_u16_e32 vcc_lo, 0, v118
	v_mov_b32_e32 v85, 0
	s_and_not1_b32 s10, s10, exec_lo
	s_and_b32 s24, vcc_lo, exec_lo
	s_delay_alu instid0(SALU_CYCLE_1)
	s_or_b32 s10, s10, s24
	s_or_b32 exec_lo, exec_lo, s25
	s_and_saveexec_b32 s24, s10
	s_cbranch_execnz .LBB2_2229
	s_branch .LBB2_2230
.LBB2_2548:                             ;   in Loop: Header=BB2_2021 Depth=2
	s_mov_b32 s10, -1
	s_mov_b32 s26, exec_lo
                                        ; implicit-def: $sgpr24
	v_cmpx_eq_u16_e32 0x80, v118
; %bb.2549:                             ;   in Loop: Header=BB2_2021 Depth=2
	s_mov_b32 s24, 0x7f800001
	s_xor_b32 s10, exec_lo, -1
; %bb.2550:                             ;   in Loop: Header=BB2_2021 Depth=2
	s_or_b32 exec_lo, exec_lo, s26
	s_delay_alu instid0(SALU_CYCLE_1)
	s_and_b32 s10, s10, exec_lo
                                        ; implicit-def: $vgpr118
	s_or_saveexec_b32 s25, s25
	v_mov_b32_e32 v117, s24
	s_xor_b32 exec_lo, exec_lo, s25
	s_cbranch_execz .LBB2_2240
.LBB2_2551:                             ;   in Loop: Header=BB2_2021 Depth=2
	v_cmp_ne_u16_e32 vcc_lo, 0, v118
	v_mov_b32_e32 v117, 0
	s_and_not1_b32 s10, s10, exec_lo
	s_and_b32 s24, vcc_lo, exec_lo
	s_delay_alu instid0(SALU_CYCLE_1)
	s_or_b32 s10, s10, s24
	s_or_b32 exec_lo, exec_lo, s25
	s_and_saveexec_b32 s24, s10
	s_cbranch_execnz .LBB2_2241
	s_branch .LBB2_2242
.LBB2_2552:                             ;   in Loop: Header=BB2_2021 Depth=2
	s_mov_b32 s10, -1
	s_mov_b32 s26, exec_lo
                                        ; implicit-def: $sgpr24
	v_cmpx_eq_u16_e32 0x80, v97
; %bb.2553:                             ;   in Loop: Header=BB2_2021 Depth=2
	s_mov_b32 s24, 0x7f800001
	s_xor_b32 s10, exec_lo, -1
; %bb.2554:                             ;   in Loop: Header=BB2_2021 Depth=2
	s_or_b32 exec_lo, exec_lo, s26
	s_delay_alu instid0(SALU_CYCLE_1)
	s_and_b32 s10, s10, exec_lo
	s_or_saveexec_b32 s25, s25
	v_mov_b32_e32 v118, s24
	s_xor_b32 exec_lo, exec_lo, s25
	s_cbranch_execz .LBB2_2244
.LBB2_2555:                             ;   in Loop: Header=BB2_2021 Depth=2
	v_cmp_ne_u16_e32 vcc_lo, 0, v97
	v_mov_b32_e32 v118, 0
	s_and_not1_b32 s10, s10, exec_lo
	s_and_b32 s24, vcc_lo, exec_lo
	s_delay_alu instid0(SALU_CYCLE_1)
	s_or_b32 s10, s10, s24
	s_or_b32 exec_lo, exec_lo, s25
	s_and_saveexec_b32 s24, s10
	s_cbranch_execnz .LBB2_2245
	s_branch .LBB2_2246
.LBB2_2556:                             ;   in Loop: Header=BB2_2021 Depth=2
	s_mov_b32 s10, -1
	s_mov_b32 s26, exec_lo
                                        ; implicit-def: $sgpr24
	v_cmpx_eq_u16_e32 0x80, v118
; %bb.2557:                             ;   in Loop: Header=BB2_2021 Depth=2
	s_mov_b32 s24, 0x7f800001
	s_xor_b32 s10, exec_lo, -1
; %bb.2558:                             ;   in Loop: Header=BB2_2021 Depth=2
	s_or_b32 exec_lo, exec_lo, s26
	s_delay_alu instid0(SALU_CYCLE_1)
	s_and_b32 s10, s10, exec_lo
                                        ; implicit-def: $vgpr118
	s_or_saveexec_b32 s25, s25
	v_mov_b32_e32 v117, s24
	s_xor_b32 exec_lo, exec_lo, s25
	s_cbranch_execz .LBB2_2256
.LBB2_2559:                             ;   in Loop: Header=BB2_2021 Depth=2
	v_cmp_ne_u16_e32 vcc_lo, 0, v118
	v_mov_b32_e32 v117, 0
	s_and_not1_b32 s10, s10, exec_lo
	s_and_b32 s24, vcc_lo, exec_lo
	s_delay_alu instid0(SALU_CYCLE_1)
	s_or_b32 s10, s10, s24
	s_or_b32 exec_lo, exec_lo, s25
	s_and_saveexec_b32 s24, s10
	s_cbranch_execnz .LBB2_2257
	s_branch .LBB2_2258
.LBB2_2560:                             ;   in Loop: Header=BB2_2021 Depth=2
	s_mov_b32 s10, -1
	s_mov_b32 s26, exec_lo
                                        ; implicit-def: $sgpr24
	v_cmpx_eq_u16_e32 0x80, v119
; %bb.2561:                             ;   in Loop: Header=BB2_2021 Depth=2
	s_mov_b32 s24, 0x7f800001
	s_xor_b32 s10, exec_lo, -1
; %bb.2562:                             ;   in Loop: Header=BB2_2021 Depth=2
	s_or_b32 exec_lo, exec_lo, s26
	s_delay_alu instid0(SALU_CYCLE_1)
	s_and_b32 s10, s10, exec_lo
                                        ; implicit-def: $vgpr119
	s_or_saveexec_b32 s25, s25
	v_mov_b32_e32 v118, s24
	s_xor_b32 exec_lo, exec_lo, s25
	s_cbranch_execz .LBB2_2260
.LBB2_2563:                             ;   in Loop: Header=BB2_2021 Depth=2
	v_cmp_ne_u16_e32 vcc_lo, 0, v119
	v_mov_b32_e32 v118, 0
	s_and_not1_b32 s10, s10, exec_lo
	s_and_b32 s24, vcc_lo, exec_lo
	s_delay_alu instid0(SALU_CYCLE_1)
	s_or_b32 s10, s10, s24
	s_or_b32 exec_lo, exec_lo, s25
	s_and_saveexec_b32 s24, s10
	s_cbranch_execnz .LBB2_2261
	s_branch .LBB2_2262
.LBB2_2564:                             ;   in Loop: Header=BB2_2021 Depth=2
	s_mov_b32 s10, -1
	s_mov_b32 s26, exec_lo
                                        ; implicit-def: $sgpr24
	v_cmpx_eq_u16_e32 0x80, v118
; %bb.2565:                             ;   in Loop: Header=BB2_2021 Depth=2
	s_mov_b32 s24, 0x7f800001
	s_xor_b32 s10, exec_lo, -1
; %bb.2566:                             ;   in Loop: Header=BB2_2021 Depth=2
	s_or_b32 exec_lo, exec_lo, s26
	s_delay_alu instid0(SALU_CYCLE_1)
	s_and_b32 s10, s10, exec_lo
	s_or_saveexec_b32 s25, s25
	v_mov_b32_e32 v117, s24
	s_xor_b32 exec_lo, exec_lo, s25
	s_cbranch_execz .LBB2_2272
.LBB2_2567:                             ;   in Loop: Header=BB2_2021 Depth=2
	v_cmp_ne_u16_e32 vcc_lo, 0, v118
	v_mov_b32_e32 v117, 0
	s_and_not1_b32 s10, s10, exec_lo
	s_and_b32 s24, vcc_lo, exec_lo
	s_delay_alu instid0(SALU_CYCLE_1)
	s_or_b32 s10, s10, s24
	s_or_b32 exec_lo, exec_lo, s25
	s_and_saveexec_b32 s24, s10
	s_cbranch_execnz .LBB2_2273
	s_branch .LBB2_2274
.LBB2_2568:                             ;   in Loop: Header=BB2_2021 Depth=2
	s_mov_b32 s10, -1
	s_mov_b32 s26, exec_lo
                                        ; implicit-def: $sgpr24
	v_cmpx_eq_u16_e32 0x80, v114
; %bb.2569:                             ;   in Loop: Header=BB2_2021 Depth=2
	s_mov_b32 s24, 0x7f800001
	s_xor_b32 s10, exec_lo, -1
; %bb.2570:                             ;   in Loop: Header=BB2_2021 Depth=2
	s_or_b32 exec_lo, exec_lo, s26
	s_delay_alu instid0(SALU_CYCLE_1)
	s_and_b32 s10, s10, exec_lo
	s_or_saveexec_b32 s25, s25
	v_mov_b32_e32 v118, s24
	s_xor_b32 exec_lo, exec_lo, s25
	s_cbranch_execz .LBB2_2276
.LBB2_2571:                             ;   in Loop: Header=BB2_2021 Depth=2
	v_cmp_ne_u16_e32 vcc_lo, 0, v114
	v_mov_b32_e32 v118, 0
	s_and_not1_b32 s10, s10, exec_lo
	s_and_b32 s24, vcc_lo, exec_lo
	s_delay_alu instid0(SALU_CYCLE_1)
	s_or_b32 s10, s10, s24
	s_or_b32 exec_lo, exec_lo, s25
	s_and_saveexec_b32 s24, s10
	s_cbranch_execnz .LBB2_2277
	s_branch .LBB2_2278
.LBB2_2572:                             ;   in Loop: Header=BB2_2021 Depth=2
	s_mov_b32 s10, -1
	s_mov_b32 s26, exec_lo
                                        ; implicit-def: $sgpr24
	v_cmpx_eq_u16_e32 0x80, v114
; %bb.2573:                             ;   in Loop: Header=BB2_2021 Depth=2
	s_mov_b32 s24, 0x7f800001
	s_xor_b32 s10, exec_lo, -1
; %bb.2574:                             ;   in Loop: Header=BB2_2021 Depth=2
	s_or_b32 exec_lo, exec_lo, s26
	s_delay_alu instid0(SALU_CYCLE_1)
	s_and_b32 s10, s10, exec_lo
                                        ; implicit-def: $vgpr114
	s_or_saveexec_b32 s25, s25
	v_mov_b32_e32 v113, s24
	s_xor_b32 exec_lo, exec_lo, s25
	s_cbranch_execz .LBB2_2288
.LBB2_2575:                             ;   in Loop: Header=BB2_2021 Depth=2
	v_cmp_ne_u16_e32 vcc_lo, 0, v114
	v_mov_b32_e32 v113, 0
	s_and_not1_b32 s10, s10, exec_lo
	s_and_b32 s24, vcc_lo, exec_lo
	s_delay_alu instid0(SALU_CYCLE_1)
	s_or_b32 s10, s10, s24
	s_or_b32 exec_lo, exec_lo, s25
	s_and_saveexec_b32 s24, s10
	s_cbranch_execnz .LBB2_2289
	s_branch .LBB2_2290
.LBB2_2576:                             ;   in Loop: Header=BB2_2021 Depth=2
	s_mov_b32 s10, -1
	s_mov_b32 s26, exec_lo
                                        ; implicit-def: $sgpr24
	v_cmpx_eq_u16_e32 0x80, v117
; %bb.2577:                             ;   in Loop: Header=BB2_2021 Depth=2
	s_mov_b32 s24, 0x7f800001
	s_xor_b32 s10, exec_lo, -1
; %bb.2578:                             ;   in Loop: Header=BB2_2021 Depth=2
	s_or_b32 exec_lo, exec_lo, s26
	s_delay_alu instid0(SALU_CYCLE_1)
	s_and_b32 s10, s10, exec_lo
                                        ; implicit-def: $vgpr117
	s_or_saveexec_b32 s25, s25
	v_mov_b32_e32 v114, s24
	s_xor_b32 exec_lo, exec_lo, s25
	s_cbranch_execz .LBB2_2292
.LBB2_2579:                             ;   in Loop: Header=BB2_2021 Depth=2
	v_cmp_ne_u16_e32 vcc_lo, 0, v117
	v_mov_b32_e32 v114, 0
	s_and_not1_b32 s10, s10, exec_lo
	s_and_b32 s24, vcc_lo, exec_lo
	s_delay_alu instid0(SALU_CYCLE_1)
	s_or_b32 s10, s10, s24
	s_or_b32 exec_lo, exec_lo, s25
	s_and_saveexec_b32 s24, s10
	s_cbranch_execnz .LBB2_2293
	s_branch .LBB2_2294
.LBB2_2580:                             ;   in Loop: Header=BB2_2021 Depth=2
	s_mov_b32 s10, -1
	s_mov_b32 s26, exec_lo
                                        ; implicit-def: $sgpr24
	v_cmpx_eq_u16_e32 0x80, v117
; %bb.2581:                             ;   in Loop: Header=BB2_2021 Depth=2
	s_mov_b32 s24, 0x7f800001
	s_xor_b32 s10, exec_lo, -1
; %bb.2582:                             ;   in Loop: Header=BB2_2021 Depth=2
	s_or_b32 exec_lo, exec_lo, s26
	s_delay_alu instid0(SALU_CYCLE_1)
	s_and_b32 s10, s10, exec_lo
	s_or_saveexec_b32 s25, s25
	v_mov_b32_e32 v114, s24
	s_xor_b32 exec_lo, exec_lo, s25
	s_cbranch_execz .LBB2_2304
.LBB2_2583:                             ;   in Loop: Header=BB2_2021 Depth=2
	v_cmp_ne_u16_e32 vcc_lo, 0, v117
	v_mov_b32_e32 v114, 0
	s_and_not1_b32 s10, s10, exec_lo
	s_and_b32 s24, vcc_lo, exec_lo
	s_delay_alu instid0(SALU_CYCLE_1)
	s_or_b32 s10, s10, s24
	s_or_b32 exec_lo, exec_lo, s25
	s_and_saveexec_b32 s24, s10
	s_cbranch_execnz .LBB2_2305
	s_branch .LBB2_2306
.LBB2_2584:                             ;   in Loop: Header=BB2_2021 Depth=2
	s_mov_b32 s10, -1
	s_mov_b32 s26, exec_lo
                                        ; implicit-def: $sgpr24
	v_cmpx_eq_u16_e32 0x80, v117
; %bb.2585:                             ;   in Loop: Header=BB2_2021 Depth=2
	s_mov_b32 s24, 0x7f800001
	s_xor_b32 s10, exec_lo, -1
; %bb.2586:                             ;   in Loop: Header=BB2_2021 Depth=2
	s_or_b32 exec_lo, exec_lo, s26
	s_delay_alu instid0(SALU_CYCLE_1)
	s_and_b32 s10, s10, exec_lo
	s_or_saveexec_b32 s25, s25
	v_mov_b32_e32 v118, s24
	s_xor_b32 exec_lo, exec_lo, s25
	s_cbranch_execz .LBB2_2308
.LBB2_2587:                             ;   in Loop: Header=BB2_2021 Depth=2
	v_cmp_ne_u16_e32 vcc_lo, 0, v117
	v_mov_b32_e32 v118, 0
	s_and_not1_b32 s10, s10, exec_lo
	s_and_b32 s24, vcc_lo, exec_lo
	s_delay_alu instid0(SALU_CYCLE_1)
	s_or_b32 s10, s10, s24
	s_or_b32 exec_lo, exec_lo, s25
	s_and_saveexec_b32 s24, s10
	s_cbranch_execnz .LBB2_2309
	s_branch .LBB2_2310
.LBB2_2588:                             ;   in Loop: Header=BB2_2021 Depth=2
	s_mov_b32 s10, -1
	s_mov_b32 s26, exec_lo
                                        ; implicit-def: $sgpr24
	v_cmpx_eq_u16_e32 0x80, v117
; %bb.2589:                             ;   in Loop: Header=BB2_2021 Depth=2
	s_mov_b32 s24, 0x7f800001
	s_xor_b32 s10, exec_lo, -1
; %bb.2590:                             ;   in Loop: Header=BB2_2021 Depth=2
	s_or_b32 exec_lo, exec_lo, s26
	s_delay_alu instid0(SALU_CYCLE_1)
	s_and_b32 s10, s10, exec_lo
                                        ; implicit-def: $vgpr117
	s_or_saveexec_b32 s25, s25
	v_mov_b32_e32 v112, s24
	s_xor_b32 exec_lo, exec_lo, s25
	s_cbranch_execz .LBB2_2320
.LBB2_2591:                             ;   in Loop: Header=BB2_2021 Depth=2
	v_cmp_ne_u16_e32 vcc_lo, 0, v117
	v_mov_b32_e32 v112, 0
	s_and_not1_b32 s10, s10, exec_lo
	s_and_b32 s24, vcc_lo, exec_lo
	s_delay_alu instid0(SALU_CYCLE_1)
	s_or_b32 s10, s10, s24
	s_or_b32 exec_lo, exec_lo, s25
	v_lshl_or_b32 v115, v115, 16, v116
	s_and_saveexec_b32 s24, s10
	s_cbranch_execnz .LBB2_2321
	s_branch .LBB2_2322
.LBB2_2592:                             ;   in Loop: Header=BB2_2021 Depth=2
	s_mov_b32 s10, -1
	s_mov_b32 s26, exec_lo
                                        ; implicit-def: $sgpr24
	v_cmpx_eq_u16_e32 0x80, v118
; %bb.2593:                             ;   in Loop: Header=BB2_2021 Depth=2
	s_mov_b32 s24, 0x7f800001
	s_xor_b32 s10, exec_lo, -1
; %bb.2594:                             ;   in Loop: Header=BB2_2021 Depth=2
	s_or_b32 exec_lo, exec_lo, s26
	s_delay_alu instid0(SALU_CYCLE_1)
	s_and_b32 s10, s10, exec_lo
                                        ; implicit-def: $vgpr118
	s_or_saveexec_b32 s25, s25
	v_mov_b32_e32 v117, s24
	s_xor_b32 exec_lo, exec_lo, s25
	s_cbranch_execz .LBB2_2324
.LBB2_2595:                             ;   in Loop: Header=BB2_2021 Depth=2
	v_cmp_ne_u16_e32 vcc_lo, 0, v118
	v_mov_b32_e32 v117, 0
	s_and_not1_b32 s10, s10, exec_lo
	s_and_b32 s24, vcc_lo, exec_lo
	s_delay_alu instid0(SALU_CYCLE_1)
	s_or_b32 s10, s10, s24
	s_or_b32 exec_lo, exec_lo, s25
	s_and_saveexec_b32 s24, s10
	s_cbranch_execnz .LBB2_2325
	s_branch .LBB2_2326
.LBB2_2596:                             ;   in Loop: Header=BB2_2021 Depth=2
	s_mov_b32 s10, -1
	s_mov_b32 s26, exec_lo
                                        ; implicit-def: $sgpr24
	v_cmpx_eq_u16_e32 0x80, v117
; %bb.2597:                             ;   in Loop: Header=BB2_2021 Depth=2
	s_mov_b32 s24, 0x7f800001
	s_xor_b32 s10, exec_lo, -1
; %bb.2598:                             ;   in Loop: Header=BB2_2021 Depth=2
	s_or_b32 exec_lo, exec_lo, s26
	s_delay_alu instid0(SALU_CYCLE_1)
	s_and_b32 s10, s10, exec_lo
	s_or_saveexec_b32 s25, s25
	v_mov_b32_e32 v116, s24
	s_xor_b32 exec_lo, exec_lo, s25
	s_cbranch_execz .LBB2_2336
.LBB2_2599:                             ;   in Loop: Header=BB2_2021 Depth=2
	v_cmp_ne_u16_e32 vcc_lo, 0, v117
	v_mov_b32_e32 v116, 0
	s_and_not1_b32 s10, s10, exec_lo
	s_and_b32 s24, vcc_lo, exec_lo
	s_delay_alu instid0(SALU_CYCLE_1)
	s_or_b32 s10, s10, s24
	s_or_b32 exec_lo, exec_lo, s25
	s_and_saveexec_b32 s24, s10
	s_cbranch_execnz .LBB2_2337
	s_branch .LBB2_2338
.LBB2_2600:                             ;   in Loop: Header=BB2_2021 Depth=2
	s_mov_b32 s10, -1
	s_mov_b32 s26, exec_lo
                                        ; implicit-def: $sgpr24
	v_cmpx_eq_u16_e32 0x80, v115
; %bb.2601:                             ;   in Loop: Header=BB2_2021 Depth=2
	s_mov_b32 s24, 0x7f800001
	s_xor_b32 s10, exec_lo, -1
; %bb.2602:                             ;   in Loop: Header=BB2_2021 Depth=2
	s_or_b32 exec_lo, exec_lo, s26
	s_delay_alu instid0(SALU_CYCLE_1)
	s_and_b32 s10, s10, exec_lo
	s_or_saveexec_b32 s25, s25
	v_mov_b32_e32 v117, s24
	s_xor_b32 exec_lo, exec_lo, s25
	s_cbranch_execz .LBB2_2340
.LBB2_2603:                             ;   in Loop: Header=BB2_2021 Depth=2
	v_cmp_ne_u16_e32 vcc_lo, 0, v115
	v_mov_b32_e32 v117, 0
	s_and_not1_b32 s10, s10, exec_lo
	s_and_b32 s24, vcc_lo, exec_lo
	s_delay_alu instid0(SALU_CYCLE_1)
	s_or_b32 s10, s10, s24
	s_or_b32 exec_lo, exec_lo, s25
	s_and_saveexec_b32 s24, s10
	s_cbranch_execnz .LBB2_2341
	s_branch .LBB2_2342
.LBB2_2604:                             ;   in Loop: Header=BB2_2021 Depth=2
	s_mov_b32 s10, -1
	s_mov_b32 s26, exec_lo
                                        ; implicit-def: $sgpr24
	v_cmpx_eq_u16_e32 0x80, v116
; %bb.2605:                             ;   in Loop: Header=BB2_2021 Depth=2
	s_mov_b32 s24, 0x7f800001
	s_xor_b32 s10, exec_lo, -1
; %bb.2606:                             ;   in Loop: Header=BB2_2021 Depth=2
	s_or_b32 exec_lo, exec_lo, s26
	s_delay_alu instid0(SALU_CYCLE_1)
	s_and_b32 s10, s10, exec_lo
                                        ; implicit-def: $vgpr116
	s_or_saveexec_b32 s25, s25
	v_mov_b32_e32 v115, s24
	s_xor_b32 exec_lo, exec_lo, s25
	s_cbranch_execz .LBB2_2352
.LBB2_2607:                             ;   in Loop: Header=BB2_2021 Depth=2
	v_cmp_ne_u16_e32 vcc_lo, 0, v116
	v_mov_b32_e32 v115, 0
	s_and_not1_b32 s10, s10, exec_lo
	s_and_b32 s24, vcc_lo, exec_lo
	s_delay_alu instid0(SALU_CYCLE_1)
	s_or_b32 s10, s10, s24
	s_or_b32 exec_lo, exec_lo, s25
	s_and_saveexec_b32 s24, s10
	s_cbranch_execnz .LBB2_2353
	s_branch .LBB2_2354
.LBB2_2608:                             ;   in Loop: Header=BB2_2021 Depth=2
	s_mov_b32 s10, -1
	s_mov_b32 s26, exec_lo
                                        ; implicit-def: $sgpr24
	v_cmpx_eq_u16_e32 0x80, v116
; %bb.2609:                             ;   in Loop: Header=BB2_2021 Depth=2
	s_mov_b32 s24, 0x7f800001
	s_xor_b32 s10, exec_lo, -1
; %bb.2610:                             ;   in Loop: Header=BB2_2021 Depth=2
	s_or_b32 exec_lo, exec_lo, s26
	s_delay_alu instid0(SALU_CYCLE_1)
	s_and_b32 s10, s10, exec_lo
                                        ; implicit-def: $vgpr116
	s_or_saveexec_b32 s25, s25
	v_mov_b32_e32 v102, s24
	s_xor_b32 exec_lo, exec_lo, s25
	s_cbranch_execz .LBB2_2356
.LBB2_2611:                             ;   in Loop: Header=BB2_2021 Depth=2
	v_cmp_ne_u16_e32 vcc_lo, 0, v116
	v_mov_b32_e32 v102, 0
	s_and_not1_b32 s10, s10, exec_lo
	s_and_b32 s24, vcc_lo, exec_lo
	s_delay_alu instid0(SALU_CYCLE_1)
	s_or_b32 s10, s10, s24
	s_or_b32 exec_lo, exec_lo, s25
	s_and_saveexec_b32 s24, s10
	s_cbranch_execnz .LBB2_2357
	s_branch .LBB2_2358
.LBB2_2612:                             ;   in Loop: Header=BB2_2021 Depth=2
	s_mov_b32 s10, -1
	s_mov_b32 s26, exec_lo
                                        ; implicit-def: $sgpr24
	v_cmpx_eq_u16_e32 0x80, v116
; %bb.2613:                             ;   in Loop: Header=BB2_2021 Depth=2
	s_mov_b32 s24, 0x7f800001
	s_xor_b32 s10, exec_lo, -1
; %bb.2614:                             ;   in Loop: Header=BB2_2021 Depth=2
	s_or_b32 exec_lo, exec_lo, s26
	s_delay_alu instid0(SALU_CYCLE_1)
	s_and_b32 s10, s10, exec_lo
                                        ; implicit-def: $vgpr116
	s_or_saveexec_b32 s25, s25
	v_mov_b32_e32 v115, s24
	s_xor_b32 exec_lo, exec_lo, s25
	s_cbranch_execz .LBB2_2368
.LBB2_2615:                             ;   in Loop: Header=BB2_2021 Depth=2
	v_cmp_ne_u16_e32 vcc_lo, 0, v116
	v_mov_b32_e32 v115, 0
	s_and_not1_b32 s10, s10, exec_lo
	s_and_b32 s24, vcc_lo, exec_lo
	s_delay_alu instid0(SALU_CYCLE_1)
	s_or_b32 s10, s10, s24
	s_or_b32 exec_lo, exec_lo, s25
	s_and_saveexec_b32 s24, s10
	s_cbranch_execnz .LBB2_2369
	s_branch .LBB2_2370
.LBB2_2616:                             ;   in Loop: Header=BB2_2021 Depth=2
	s_mov_b32 s10, -1
	s_mov_b32 s26, exec_lo
                                        ; implicit-def: $sgpr24
	v_cmpx_eq_u16_e32 0x80, v100
; %bb.2617:                             ;   in Loop: Header=BB2_2021 Depth=2
	s_mov_b32 s24, 0x7f800001
	s_xor_b32 s10, exec_lo, -1
; %bb.2618:                             ;   in Loop: Header=BB2_2021 Depth=2
	s_or_b32 exec_lo, exec_lo, s26
	s_delay_alu instid0(SALU_CYCLE_1)
	s_and_b32 s10, s10, exec_lo
	s_or_saveexec_b32 s25, s25
	v_mov_b32_e32 v116, s24
	s_xor_b32 exec_lo, exec_lo, s25
	s_cbranch_execz .LBB2_2372
.LBB2_2619:                             ;   in Loop: Header=BB2_2021 Depth=2
	v_cmp_ne_u16_e32 vcc_lo, 0, v100
	v_mov_b32_e32 v116, 0
	s_and_not1_b32 s10, s10, exec_lo
	s_and_b32 s24, vcc_lo, exec_lo
	s_delay_alu instid0(SALU_CYCLE_1)
	s_or_b32 s10, s10, s24
	s_or_b32 exec_lo, exec_lo, s25
	s_and_saveexec_b32 s24, s10
	s_cbranch_execnz .LBB2_2373
	s_branch .LBB2_2374
.LBB2_2620:                             ;   in Loop: Header=BB2_2021 Depth=2
	s_mov_b32 s10, -1
	s_mov_b32 s26, exec_lo
                                        ; implicit-def: $sgpr24
	v_cmpx_eq_u16_e32 0x80, v116
; %bb.2621:                             ;   in Loop: Header=BB2_2021 Depth=2
	s_mov_b32 s24, 0x7f800001
	s_xor_b32 s10, exec_lo, -1
; %bb.2622:                             ;   in Loop: Header=BB2_2021 Depth=2
	s_or_b32 exec_lo, exec_lo, s26
	s_delay_alu instid0(SALU_CYCLE_1)
	s_and_b32 s10, s10, exec_lo
                                        ; implicit-def: $vgpr116
	s_or_saveexec_b32 s25, s25
	v_mov_b32_e32 v115, s24
	s_xor_b32 exec_lo, exec_lo, s25
	s_cbranch_execz .LBB2_2384
.LBB2_2623:                             ;   in Loop: Header=BB2_2021 Depth=2
	v_cmp_ne_u16_e32 vcc_lo, 0, v116
	v_mov_b32_e32 v115, 0
	s_and_not1_b32 s10, s10, exec_lo
	s_and_b32 s24, vcc_lo, exec_lo
	s_delay_alu instid0(SALU_CYCLE_1)
	s_or_b32 s10, s10, s24
	s_or_b32 exec_lo, exec_lo, s25
	s_and_saveexec_b32 s24, s10
	s_cbranch_execnz .LBB2_2385
	s_branch .LBB2_2386
.LBB2_2624:                             ;   in Loop: Header=BB2_2021 Depth=2
	s_mov_b32 s10, -1
	s_mov_b32 s26, exec_lo
                                        ; implicit-def: $sgpr24
	v_cmpx_eq_u16_e32 0x80, v117
; %bb.2625:                             ;   in Loop: Header=BB2_2021 Depth=2
	s_mov_b32 s24, 0x7f800001
	s_xor_b32 s10, exec_lo, -1
; %bb.2626:                             ;   in Loop: Header=BB2_2021 Depth=2
	s_or_b32 exec_lo, exec_lo, s26
	s_delay_alu instid0(SALU_CYCLE_1)
	s_and_b32 s10, s10, exec_lo
                                        ; implicit-def: $vgpr117
	s_or_saveexec_b32 s25, s25
	v_mov_b32_e32 v116, s24
	s_xor_b32 exec_lo, exec_lo, s25
	s_cbranch_execz .LBB2_2388
.LBB2_2627:                             ;   in Loop: Header=BB2_2021 Depth=2
	v_cmp_ne_u16_e32 vcc_lo, 0, v117
	v_mov_b32_e32 v116, 0
	s_and_not1_b32 s10, s10, exec_lo
	s_and_b32 s24, vcc_lo, exec_lo
	s_delay_alu instid0(SALU_CYCLE_1)
	s_or_b32 s10, s10, s24
	s_or_b32 exec_lo, exec_lo, s25
	s_and_saveexec_b32 s24, s10
	s_cbranch_execnz .LBB2_2389
	s_branch .LBB2_2390
.LBB2_2628:                             ;   in Loop: Header=BB2_2021 Depth=2
	s_mov_b32 s10, -1
	s_mov_b32 s26, exec_lo
                                        ; implicit-def: $sgpr24
	v_cmpx_eq_u16_e32 0x80, v116
; %bb.2629:                             ;   in Loop: Header=BB2_2021 Depth=2
	s_mov_b32 s24, 0x7f800001
	s_xor_b32 s10, exec_lo, -1
; %bb.2630:                             ;   in Loop: Header=BB2_2021 Depth=2
	s_or_b32 exec_lo, exec_lo, s26
	s_delay_alu instid0(SALU_CYCLE_1)
	s_and_b32 s10, s10, exec_lo
	s_or_saveexec_b32 s25, s25
	v_mov_b32_e32 v115, s24
	s_xor_b32 exec_lo, exec_lo, s25
	s_cbranch_execz .LBB2_2400
.LBB2_2631:                             ;   in Loop: Header=BB2_2021 Depth=2
	v_cmp_ne_u16_e32 vcc_lo, 0, v116
	v_mov_b32_e32 v115, 0
	s_and_not1_b32 s10, s10, exec_lo
	s_and_b32 s24, vcc_lo, exec_lo
	s_delay_alu instid0(SALU_CYCLE_1)
	s_or_b32 s10, s10, s24
	s_or_b32 exec_lo, exec_lo, s25
	s_and_saveexec_b32 s24, s10
	s_cbranch_execnz .LBB2_2401
	s_branch .LBB2_2402
.LBB2_2632:                             ;   in Loop: Header=BB2_2021 Depth=2
	s_mov_b32 s10, -1
	s_mov_b32 s26, exec_lo
                                        ; implicit-def: $sgpr24
	v_cmpx_eq_u16_e32 0x80, v96
; %bb.2633:                             ;   in Loop: Header=BB2_2021 Depth=2
	s_mov_b32 s24, 0x7f800001
	s_xor_b32 s10, exec_lo, -1
; %bb.2634:                             ;   in Loop: Header=BB2_2021 Depth=2
	s_or_b32 exec_lo, exec_lo, s26
	s_delay_alu instid0(SALU_CYCLE_1)
	s_and_b32 s10, s10, exec_lo
	s_or_saveexec_b32 s25, s25
	v_mov_b32_e32 v116, s24
	s_xor_b32 exec_lo, exec_lo, s25
	s_cbranch_execz .LBB2_2404
.LBB2_2635:                             ;   in Loop: Header=BB2_2021 Depth=2
	v_cmp_ne_u16_e32 vcc_lo, 0, v96
	v_mov_b32_e32 v116, 0
	s_and_not1_b32 s10, s10, exec_lo
	s_and_b32 s24, vcc_lo, exec_lo
	s_delay_alu instid0(SALU_CYCLE_1)
	s_or_b32 s10, s10, s24
	s_or_b32 exec_lo, exec_lo, s25
	s_and_saveexec_b32 s24, s10
	s_cbranch_execnz .LBB2_2405
	s_branch .LBB2_2406
.LBB2_2636:                             ;   in Loop: Header=BB2_2021 Depth=2
	s_mov_b32 s10, -1
	s_mov_b32 s26, exec_lo
                                        ; implicit-def: $sgpr24
	v_cmpx_eq_u16_e32 0x80, v101
; %bb.2637:                             ;   in Loop: Header=BB2_2021 Depth=2
	s_mov_b32 s24, 0x7f800001
	s_xor_b32 s10, exec_lo, -1
; %bb.2638:                             ;   in Loop: Header=BB2_2021 Depth=2
	s_or_b32 exec_lo, exec_lo, s26
	s_delay_alu instid0(SALU_CYCLE_1)
	s_and_b32 s10, s10, exec_lo
                                        ; implicit-def: $vgpr101
	s_or_saveexec_b32 s25, s25
	v_mov_b32_e32 v87, s24
	s_xor_b32 exec_lo, exec_lo, s25
	s_cbranch_execz .LBB2_2416
.LBB2_2639:                             ;   in Loop: Header=BB2_2021 Depth=2
	v_cmp_ne_u16_e32 vcc_lo, 0, v101
	v_mov_b32_e32 v87, 0
	s_and_not1_b32 s10, s10, exec_lo
	s_and_b32 s24, vcc_lo, exec_lo
	s_delay_alu instid0(SALU_CYCLE_1)
	s_or_b32 s10, s10, s24
	s_or_b32 exec_lo, exec_lo, s25
	s_and_saveexec_b32 s24, s10
	s_cbranch_execnz .LBB2_2417
	s_branch .LBB2_2418
.LBB2_2640:                             ;   in Loop: Header=BB2_2021 Depth=2
	s_mov_b32 s10, -1
	s_mov_b32 s26, exec_lo
                                        ; implicit-def: $sgpr24
	v_cmpx_eq_u16_e32 0x80, v115
; %bb.2641:                             ;   in Loop: Header=BB2_2021 Depth=2
	s_mov_b32 s24, 0x7f800001
	s_xor_b32 s10, exec_lo, -1
; %bb.2642:                             ;   in Loop: Header=BB2_2021 Depth=2
	s_or_b32 exec_lo, exec_lo, s26
	s_delay_alu instid0(SALU_CYCLE_1)
	s_and_b32 s10, s10, exec_lo
                                        ; implicit-def: $vgpr115
	s_or_saveexec_b32 s25, s25
	v_mov_b32_e32 v101, s24
	s_xor_b32 exec_lo, exec_lo, s25
	s_cbranch_execz .LBB2_2420
.LBB2_2643:                             ;   in Loop: Header=BB2_2021 Depth=2
	v_cmp_ne_u16_e32 vcc_lo, 0, v115
	v_mov_b32_e32 v101, 0
	s_and_not1_b32 s10, s10, exec_lo
	s_and_b32 s24, vcc_lo, exec_lo
	s_delay_alu instid0(SALU_CYCLE_1)
	s_or_b32 s10, s10, s24
	s_or_b32 exec_lo, exec_lo, s25
	s_and_saveexec_b32 s24, s10
	s_cbranch_execnz .LBB2_2421
	s_branch .LBB2_2422
.LBB2_2644:                             ;   in Loop: Header=BB2_2021 Depth=2
	s_mov_b32 s10, -1
	s_mov_b32 s26, exec_lo
                                        ; implicit-def: $sgpr24
	v_cmpx_eq_u16_e32 0x80, v115
; %bb.2645:                             ;   in Loop: Header=BB2_2021 Depth=2
	s_mov_b32 s24, 0x7f800001
	s_xor_b32 s10, exec_lo, -1
; %bb.2646:                             ;   in Loop: Header=BB2_2021 Depth=2
	s_or_b32 exec_lo, exec_lo, s26
	s_delay_alu instid0(SALU_CYCLE_1)
	s_and_b32 s10, s10, exec_lo
	s_or_saveexec_b32 s25, s25
	v_mov_b32_e32 v101, s24
	s_xor_b32 exec_lo, exec_lo, s25
	s_cbranch_execz .LBB2_2432
.LBB2_2647:                             ;   in Loop: Header=BB2_2021 Depth=2
	v_cmp_ne_u16_e32 vcc_lo, 0, v115
	v_mov_b32_e32 v101, 0
	s_and_not1_b32 s10, s10, exec_lo
	s_and_b32 s24, vcc_lo, exec_lo
	s_delay_alu instid0(SALU_CYCLE_1)
	s_or_b32 s10, s10, s24
	s_or_b32 exec_lo, exec_lo, s25
	s_and_saveexec_b32 s24, s10
	s_cbranch_execnz .LBB2_2433
	s_branch .LBB2_2434
.LBB2_2648:                             ;   in Loop: Header=BB2_2021 Depth=2
	s_mov_b32 s10, -1
	s_mov_b32 s26, exec_lo
                                        ; implicit-def: $sgpr24
	v_cmpx_eq_u16_e32 0x80, v115
; %bb.2649:                             ;   in Loop: Header=BB2_2021 Depth=2
	s_mov_b32 s24, 0x7f800001
	s_xor_b32 s10, exec_lo, -1
; %bb.2650:                             ;   in Loop: Header=BB2_2021 Depth=2
	s_or_b32 exec_lo, exec_lo, s26
	s_delay_alu instid0(SALU_CYCLE_1)
	s_and_b32 s10, s10, exec_lo
	s_or_saveexec_b32 s25, s25
	v_mov_b32_e32 v116, s24
	s_xor_b32 exec_lo, exec_lo, s25
	s_cbranch_execz .LBB2_2436
.LBB2_2651:                             ;   in Loop: Header=BB2_2021 Depth=2
	v_cmp_ne_u16_e32 vcc_lo, 0, v115
	v_mov_b32_e32 v116, 0
	s_and_not1_b32 s10, s10, exec_lo
	s_and_b32 s24, vcc_lo, exec_lo
	s_delay_alu instid0(SALU_CYCLE_1)
	s_or_b32 s10, s10, s24
	s_or_b32 exec_lo, exec_lo, s25
	s_and_saveexec_b32 s24, s10
	s_cbranch_execnz .LBB2_2437
	s_branch .LBB2_2438
.LBB2_2652:                             ;   in Loop: Header=BB2_2021 Depth=2
	s_mov_b32 s10, -1
	s_mov_b32 s26, exec_lo
                                        ; implicit-def: $sgpr24
	v_cmpx_eq_u16_e32 0x80, v115
; %bb.2653:                             ;   in Loop: Header=BB2_2021 Depth=2
	s_mov_b32 s24, 0x7f800001
	s_xor_b32 s10, exec_lo, -1
; %bb.2654:                             ;   in Loop: Header=BB2_2021 Depth=2
	s_or_b32 exec_lo, exec_lo, s26
	s_delay_alu instid0(SALU_CYCLE_1)
	s_and_b32 s10, s10, exec_lo
                                        ; implicit-def: $vgpr115
	s_or_saveexec_b32 s25, s25
	v_mov_b32_e32 v86, s24
	s_xor_b32 exec_lo, exec_lo, s25
	s_cbranch_execz .LBB2_2448
.LBB2_2655:                             ;   in Loop: Header=BB2_2021 Depth=2
	v_cmp_ne_u16_e32 vcc_lo, 0, v115
	v_mov_b32_e32 v86, 0
	s_and_not1_b32 s10, s10, exec_lo
	s_and_b32 s24, vcc_lo, exec_lo
	s_delay_alu instid0(SALU_CYCLE_1)
	s_or_b32 s10, s10, s24
	s_or_b32 exec_lo, exec_lo, s25
	v_lshl_or_b32 v96, v98, 16, v96
	s_and_saveexec_b32 s24, s10
	s_cbranch_execnz .LBB2_2449
	s_branch .LBB2_2450
.LBB2_2656:                             ;   in Loop: Header=BB2_2021 Depth=2
	s_mov_b32 s10, -1
	s_mov_b32 s26, exec_lo
                                        ; implicit-def: $sgpr24
	v_cmpx_eq_u16_e32 0x80, v116
; %bb.2657:                             ;   in Loop: Header=BB2_2021 Depth=2
	s_mov_b32 s24, 0x7f800001
	s_xor_b32 s10, exec_lo, -1
; %bb.2658:                             ;   in Loop: Header=BB2_2021 Depth=2
	s_or_b32 exec_lo, exec_lo, s26
	s_delay_alu instid0(SALU_CYCLE_1)
	s_and_b32 s10, s10, exec_lo
                                        ; implicit-def: $vgpr116
	s_or_saveexec_b32 s25, s25
	v_mov_b32_e32 v115, s24
	s_xor_b32 exec_lo, exec_lo, s25
	s_cbranch_execz .LBB2_2452
.LBB2_2659:                             ;   in Loop: Header=BB2_2021 Depth=2
	v_cmp_ne_u16_e32 vcc_lo, 0, v116
	v_mov_b32_e32 v115, 0
	s_and_not1_b32 s10, s10, exec_lo
	s_and_b32 s24, vcc_lo, exec_lo
	s_delay_alu instid0(SALU_CYCLE_1)
	s_or_b32 s10, s10, s24
	s_or_b32 exec_lo, exec_lo, s25
	s_and_saveexec_b32 s24, s10
	s_cbranch_execnz .LBB2_2453
	s_branch .LBB2_2454
.LBB2_2660:                             ;   in Loop: Header=BB2_2021 Depth=2
	s_mov_b32 s10, -1
	s_mov_b32 s26, exec_lo
                                        ; implicit-def: $sgpr24
	v_cmpx_eq_u16_e32 0x80, v115
; %bb.2661:                             ;   in Loop: Header=BB2_2021 Depth=2
	s_mov_b32 s24, 0x7f800001
	s_xor_b32 s10, exec_lo, -1
; %bb.2662:                             ;   in Loop: Header=BB2_2021 Depth=2
	s_or_b32 exec_lo, exec_lo, s26
	s_delay_alu instid0(SALU_CYCLE_1)
	s_and_b32 s10, s10, exec_lo
	s_or_saveexec_b32 s25, s25
	v_mov_b32_e32 v98, s24
	s_xor_b32 exec_lo, exec_lo, s25
	s_cbranch_execz .LBB2_2464
.LBB2_2663:                             ;   in Loop: Header=BB2_2021 Depth=2
	v_cmp_ne_u16_e32 vcc_lo, 0, v115
	v_mov_b32_e32 v98, 0
	s_and_not1_b32 s10, s10, exec_lo
	s_and_b32 s24, vcc_lo, exec_lo
	s_delay_alu instid0(SALU_CYCLE_1)
	s_or_b32 s10, s10, s24
	s_or_b32 exec_lo, exec_lo, s25
	s_and_saveexec_b32 s24, s10
	s_cbranch_execnz .LBB2_2465
	s_branch .LBB2_2466
.LBB2_2664:                             ;   in Loop: Header=BB2_2021 Depth=2
	s_mov_b32 s10, -1
	s_mov_b32 s26, exec_lo
                                        ; implicit-def: $sgpr24
	v_cmpx_eq_u16_e32 0x80, v96
; %bb.2665:                             ;   in Loop: Header=BB2_2021 Depth=2
	s_mov_b32 s24, 0x7f800001
	s_xor_b32 s10, exec_lo, -1
; %bb.2666:                             ;   in Loop: Header=BB2_2021 Depth=2
	s_or_b32 exec_lo, exec_lo, s26
	s_delay_alu instid0(SALU_CYCLE_1)
	s_and_b32 s10, s10, exec_lo
	s_or_saveexec_b32 s25, s25
	v_mov_b32_e32 v115, s24
	s_xor_b32 exec_lo, exec_lo, s25
	s_cbranch_execz .LBB2_2468
.LBB2_2667:                             ;   in Loop: Header=BB2_2021 Depth=2
	v_cmp_ne_u16_e32 vcc_lo, 0, v96
	v_mov_b32_e32 v115, 0
	s_and_not1_b32 s10, s10, exec_lo
	s_and_b32 s24, vcc_lo, exec_lo
	s_delay_alu instid0(SALU_CYCLE_1)
	s_or_b32 s10, s10, s24
	s_or_b32 exec_lo, exec_lo, s25
	s_and_saveexec_b32 s24, s10
	s_cbranch_execnz .LBB2_2469
	s_branch .LBB2_2470
.LBB2_2668:                             ;   in Loop: Header=BB2_1935 Depth=1
	s_or_b32 exec_lo, exec_lo, s22
.LBB2_2669:                             ;   in Loop: Header=BB2_1935 Depth=1
	s_delay_alu instid0(SALU_CYCLE_1) | instskip(SKIP_3) | instid1(VALU_DEP_1)
	s_or_b32 exec_lo, exec_lo, s21
	v_dual_mov_b32 v81, 0 :: v_dual_and_b32 v10, 15, v28
	s_mov_b32 s21, 0
	s_mov_b32 s10, exec_lo
                                        ; implicit-def: $vgpr48
	v_cndmask_b32_e64 v82, v83, v10, s7
	s_delay_alu instid0(VALU_DEP_1)
	v_cmpx_ne_u32_e32 0, v82
	s_cbranch_execz .LBB2_3325
; %bb.2670:                             ;   in Loop: Header=BB2_1935 Depth=1
	v_cmp_lt_i32_e32 vcc_lo, 0, v84
	s_mov_b32 s21, exec_lo
	v_cndmask_b32_e32 v11, 0, v39, vcc_lo
	s_delay_alu instid0(VALU_DEP_1) | instskip(NEXT) | instid1(VALU_DEP_1)
	v_sub_nc_u32_e32 v11, v11, v84
	v_lshl_add_u32 v11, v11, 5, v52
	s_delay_alu instid0(VALU_DEP_1) | instskip(NEXT) | instid1(VALU_DEP_1)
	v_ashrrev_i32_e32 v12, 31, v11
	v_lshrrev_b32_e32 v12, 27, v12
	s_delay_alu instid0(VALU_DEP_1) | instskip(NEXT) | instid1(VALU_DEP_1)
	v_add_nc_u32_e32 v12, v11, v12
	v_and_b32_e32 v13, 0xffffffe0, v12
	s_delay_alu instid0(VALU_DEP_1) | instskip(SKIP_2) | instid1(VALU_DEP_3)
	v_sub_nc_u32_e32 v84, v11, v13
	v_ashrrev_i32_e32 v11, 5, v12
	v_sub_nc_u32_e32 v13, v83, v10
	v_lshlrev_b32_e32 v12, 4, v84
	s_delay_alu instid0(VALU_DEP_3) | instskip(NEXT) | instid1(VALU_DEP_2)
	v_sub_nc_u32_e32 v83, 0, v11
	v_lshl_add_u32 v10, v11, 9, v12
	s_delay_alu instid0(VALU_DEP_4) | instskip(NEXT) | instid1(VALU_DEP_2)
	v_cndmask_b32_e64 v12, 0, v13, s7
	v_sub_nc_u32_e32 v85, v82, v10
	s_delay_alu instid0(VALU_DEP_2) | instskip(NEXT) | instid1(VALU_DEP_2)
	v_and_or_b32 v81, 0x3ffffe00, v28, v12
	v_cmpx_lt_i32_e32 15, v85
	s_cbranch_execz .LBB2_3324
; %bb.2671:                             ;   in Loop: Header=BB2_1935 Depth=1
	s_cbranch_execnz .LBB2_5205
; %bb.2672:                             ;   in Loop: Header=BB2_1935 Depth=1
	ds_load_b64 v[11:12], v0
	ds_load_b128 v[35:38], v0
	v_add_nc_u32_e32 v10, v10, v81
	s_delay_alu instid0(VALU_DEP_1)
	v_ashrrev_i32_e32 v13, 31, v10
	s_waitcnt lgkmcnt(1)
	v_readfirstlane_b32 s7, v11
	s_waitcnt lgkmcnt(0)
	v_add_co_u32 v35, vcc_lo, v35, v10
	v_add_co_ci_u32_e32 v36, vcc_lo, v36, v13, vcc_lo
	s_delay_alu instid0(VALU_DEP_3)
	s_and_b32 s22, s7, 7
	s_bfe_u32 s25, s7, 0x40003
	s_clz_i32_u32 s23, s22
	v_add_co_u32 v37, vcc_lo, v37, v10
	s_min_u32 s23, s23, 32
	v_add_co_ci_u32_e32 v38, vcc_lo, v38, v13, vcc_lo
	s_sub_i32 s24, s23, 28
	s_sub_i32 s23, 29, s23
	s_lshl_b32 s24, s7, s24
	v_add_co_u32 v48, vcc_lo, v11, v10
	s_and_b32 s24, s24, 7
	s_cmp_eq_u32 s25, 0
	v_add_co_ci_u32_e32 v49, vcc_lo, v12, v13, vcc_lo
	s_cselect_b32 s23, s23, s25
	s_cselect_b32 s22, s24, s22
	s_lshl_b32 s7, s7, 24
	s_lshl_b32 s24, s22, 20
	;; [unrolled: 1-line block ×3, first 2 shown]
	s_and_b32 s7, s7, 0x80000000
	s_add_i32 s22, s22, 0x3b800000
	v_and_b32_e32 v86, 0xff, v11
	s_or_b32 s7, s7, s22
	s_mov_b32 s22, 0
	s_or_b32 s23, s7, s24
	s_branch .LBB2_2676
.LBB2_2673:                             ;   in Loop: Header=BB2_2676 Depth=2
	s_or_b32 exec_lo, exec_lo, s7
	s_delay_alu instid0(VALU_DEP_1) | instskip(NEXT) | instid1(VALU_DEP_2)
	v_lshrrev_b32_e32 v100, 20, v100
	v_min_i32_e32 v117, 15, v98
	v_cmp_gt_i32_e32 vcc_lo, 16, v98
	v_lshrrev_b32_e32 v13, 24, v13
	s_delay_alu instid0(VALU_DEP_3) | instskip(NEXT) | instid1(VALU_DEP_2)
	v_dual_cndmask_b32 v100, 7, v100 :: v_dual_lshlrev_b32 v117, 3, v117
	v_and_b32_e32 v13, 0x80, v13
	s_delay_alu instid0(VALU_DEP_2) | instskip(NEXT) | instid1(VALU_DEP_3)
	v_and_b32_e32 v117, 0xf8, v117
	v_and_b32_e32 v118, 7, v100
	v_or_b32_e32 v98, v98, v100
	s_delay_alu instid0(VALU_DEP_2) | instskip(NEXT) | instid1(VALU_DEP_2)
	v_or3_b32 v13, v13, v117, v118
	v_cmp_ne_u32_e32 vcc_lo, 0, v98
	s_delay_alu instid0(VALU_DEP_2) | instskip(NEXT) | instid1(VALU_DEP_1)
	v_lshlrev_b32_e32 v13, 8, v13
	v_cndmask_b32_e32 v98, 0, v13, vcc_lo
.LBB2_2674:                             ;   in Loop: Header=BB2_2676 Depth=2
	s_or_b32 exec_lo, exec_lo, s25
.LBB2_2675:                             ;   in Loop: Header=BB2_2676 Depth=2
	s_delay_alu instid0(SALU_CYCLE_1)
	s_or_b32 exec_lo, exec_lo, s24
	v_or_b32_e32 v11, v11, v114
	v_and_b32_e32 v13, 0xff, v113
	v_lshlrev_b32_e32 v99, 8, v99
	v_and_b32_e32 v101, 0xff, v101
	v_lshlrev_b32_e32 v102, 8, v102
	v_or_b32_e32 v96, v98, v96
	v_and_b32_e32 v100, 0xff, v115
	v_lshlrev_b32_e32 v10, 24, v10
	v_lshlrev_b32_e32 v11, 16, v11
	;; [unrolled: 1-line block ×3, first 2 shown]
	v_perm_b32 v87, v99, v87, 0xc0c0500
	v_lshlrev_b32_e32 v12, 24, v12
	v_lshlrev_b32_e32 v98, 16, v101
	v_perm_b32 v99, v102, v112, 0xc0c0500
	v_and_b32_e32 v97, 0xff, v97
	v_lshlrev_b32_e32 v96, 16, v96
	v_add_co_u32 v35, vcc_lo, v35, v65
	v_or3_b32 v11, v116, v100, v11
	v_or3_b32 v10, v10, v13, v87
	;; [unrolled: 1-line block ×4, first 2 shown]
	v_sub_nc_u32_e32 v85, v85, v51
	v_add_co_ci_u32_e32 v36, vcc_lo, v36, v66, vcc_lo
	v_add_co_u32 v37, vcc_lo, v37, v65
	v_add_co_ci_u32_e32 v38, vcc_lo, v38, v66, vcc_lo
	global_store_b128 v[48:49], v[10:13], off glc slc dlc
	v_cmp_gt_i32_e32 vcc_lo, 16, v85
	v_add_co_u32 v48, s7, v48, v65
	s_delay_alu instid0(VALU_DEP_1) | instskip(SKIP_2) | instid1(SALU_CYCLE_1)
	v_add_co_ci_u32_e64 v49, s7, v49, v66, s7
	v_sub_nc_u32_e32 v83, v83, v39
	s_or_b32 s22, vcc_lo, s22
	s_and_not1_b32 exec_lo, exec_lo, s22
	s_cbranch_execz .LBB2_3323
.LBB2_2676:                             ;   Parent Loop BB2_1935 Depth=1
                                        ; =>  This Inner Loop Header: Depth=2
	v_cmp_gt_i16_e32 vcc_lo, 0x80, v86
	s_cbranch_vccnz .LBB2_2680
; %bb.2677:                             ;   in Loop: Header=BB2_2676 Depth=2
	v_cmp_eq_u16_e32 vcc_lo, 0x80, v86
	s_mov_b32 s7, -1
                                        ; implicit-def: $sgpr24
	s_cbranch_vccz .LBB2_2679
; %bb.2678:                             ;   in Loop: Header=BB2_2676 Depth=2
	s_mov_b32 s7, 0
	s_mov_b32 s24, 0x7f800001
.LBB2_2679:                             ;   in Loop: Header=BB2_2676 Depth=2
	s_mov_b32 s25, 0
	s_branch .LBB2_2681
.LBB2_2680:                             ;   in Loop: Header=BB2_2676 Depth=2
	s_mov_b32 s25, -1
	s_mov_b32 s7, 0
                                        ; implicit-def: $sgpr24
.LBB2_2681:                             ;   in Loop: Header=BB2_2676 Depth=2
	s_and_b32 vcc_lo, exec_lo, s25
	s_cbranch_vccz .LBB2_2683
; %bb.2682:                             ;   in Loop: Header=BB2_2676 Depth=2
	v_cmp_ne_u16_e64 s7, 0, v86
	s_mov_b32 s24, 0
.LBB2_2683:                             ;   in Loop: Header=BB2_2676 Depth=2
	s_delay_alu instid0(VALU_DEP_1)
	s_and_not1_b32 vcc_lo, exec_lo, s7
	s_cbranch_vccnz .LBB2_2685
; %bb.2684:                             ;   in Loop: Header=BB2_2676 Depth=2
	s_mov_b32 s24, s23
.LBB2_2685:                             ;   in Loop: Header=BB2_2676 Depth=2
	global_load_b128 v[10:13], v[35:36], off slc dlc
	s_mov_b32 s7, 0
	s_mov_b32 s26, exec_lo
                                        ; implicit-def: $sgpr25
	s_waitcnt vmcnt(0)
	v_and_b32_e32 v96, 0xff, v10
	s_delay_alu instid0(VALU_DEP_1)
	v_cmpx_lt_i16_e32 0x7f, v96
	s_xor_b32 s26, exec_lo, s26
	s_cbranch_execnz .LBB2_3131
; %bb.2686:                             ;   in Loop: Header=BB2_2676 Depth=2
	s_or_saveexec_b32 s26, s26
	v_mov_b32_e32 v87, s25
	s_xor_b32 exec_lo, exec_lo, s26
	s_cbranch_execnz .LBB2_3134
.LBB2_2687:                             ;   in Loop: Header=BB2_2676 Depth=2
	s_or_b32 exec_lo, exec_lo, s26
	s_and_saveexec_b32 s25, s7
	s_cbranch_execz .LBB2_2689
.LBB2_2688:                             ;   in Loop: Header=BB2_2676 Depth=2
	v_bfe_u32 v98, v10, 3, 4
	v_lshlrev_b32_e32 v99, 24, v10
	s_delay_alu instid0(VALU_DEP_2) | instskip(SKIP_1) | instid1(VALU_DEP_1)
	v_cmp_eq_u32_e32 vcc_lo, 0, v98
	v_and_b32_e32 v87, 7, v10
	v_clz_i32_u32_e32 v96, v87
	s_delay_alu instid0(VALU_DEP_1) | instskip(NEXT) | instid1(VALU_DEP_1)
	v_min_u32_e32 v96, 32, v96
	v_subrev_nc_u32_e32 v97, 28, v96
	v_sub_nc_u32_e32 v96, 29, v96
	s_delay_alu instid0(VALU_DEP_1) | instskip(NEXT) | instid1(VALU_DEP_1)
	v_dual_cndmask_b32 v96, v98, v96 :: v_dual_lshlrev_b32 v97, v97, v10
	v_and_b32_e32 v97, 7, v97
	s_delay_alu instid0(VALU_DEP_2) | instskip(NEXT) | instid1(VALU_DEP_2)
	v_lshl_add_u32 v96, v96, 23, 0x3b800000
	v_cndmask_b32_e32 v87, v87, v97, vcc_lo
	v_and_b32_e32 v97, 0x80000000, v99
	s_delay_alu instid0(VALU_DEP_2) | instskip(NEXT) | instid1(VALU_DEP_1)
	v_lshlrev_b32_e32 v87, 20, v87
	v_or3_b32 v87, v97, v96, v87
.LBB2_2689:                             ;   in Loop: Header=BB2_2676 Depth=2
	s_or_b32 exec_lo, exec_lo, s25
	s_delay_alu instid0(VALU_DEP_1) | instskip(NEXT) | instid1(VALU_DEP_1)
	v_mul_f32_e32 v96, s24, v87
	v_and_b32_e32 v87, 0x7f800000, v96
	s_delay_alu instid0(VALU_DEP_1)
	v_cmp_ne_u32_e32 vcc_lo, 0x7f800000, v87
	v_mov_b32_e32 v87, 0x80
	s_and_saveexec_b32 s25, vcc_lo
	s_cbranch_execz .LBB2_2697
; %bb.2690:                             ;   in Loop: Header=BB2_2676 Depth=2
	v_mov_b32_e32 v87, 0
	s_mov_b32 s26, exec_lo
	v_cmpx_ne_u32_e32 0, v96
	s_cbranch_execz .LBB2_2696
; %bb.2691:                             ;   in Loop: Header=BB2_2676 Depth=2
	v_bfe_u32 v87, v96, 23, 8
	s_delay_alu instid0(VALU_DEP_1) | instskip(SKIP_1) | instid1(VALU_DEP_2)
	v_sub_nc_u32_e32 v98, 0x78, v87
	v_cmp_gt_u32_e32 vcc_lo, 0x79, v87
	v_dual_cndmask_b32 v98, 0, v98 :: v_dual_and_b32 v97, 0x7fffff, v96
	s_delay_alu instid0(VALU_DEP_1) | instskip(SKIP_2) | instid1(VALU_DEP_4)
	v_or_b32_e32 v99, 0x800000, v97
	v_cmp_eq_u32_e32 vcc_lo, 0, v87
	v_add_nc_u32_e32 v87, 0xffffff89, v87
	v_cndmask_b32_e64 v98, v98, 0x77, vcc_lo
	s_delay_alu instid0(VALU_DEP_2) | instskip(SKIP_1) | instid1(VALU_DEP_3)
	v_cndmask_b32_e64 v87, v87, 0xffffff8a, vcc_lo
	v_cndmask_b32_e32 v97, v99, v97, vcc_lo
	v_lshl_add_u32 v99, 0x100000, v98, -1
	v_lshlrev_b32_e64 v102, v98, 0x80000
	s_delay_alu instid0(VALU_DEP_3) | instskip(SKIP_1) | instid1(VALU_DEP_4)
	v_lshrrev_b32_e32 v100, v98, v97
	v_add_nc_u32_e32 v98, v98, v87
	v_and_b32_e32 v97, v99, v97
	s_delay_alu instid0(VALU_DEP_3) | instskip(NEXT) | instid1(VALU_DEP_2)
	v_bfe_u32 v101, v100, 20, 1
	v_cmp_eq_u32_e64 s7, v97, v102
	s_delay_alu instid0(VALU_DEP_2) | instskip(NEXT) | instid1(VALU_DEP_1)
	v_add_nc_u32_e32 v99, -1, v101
	v_cndmask_b32_e64 v97, 0, v99, s7
	v_lshrrev_b32_e32 v99, 23, v100
	s_mov_b32 s7, exec_lo
	s_delay_alu instid0(VALU_DEP_2) | instskip(NEXT) | instid1(VALU_DEP_2)
	v_add_nc_u32_e32 v97, v97, v100
	v_xor_b32_e32 v99, 1, v99
	s_delay_alu instid0(VALU_DEP_2) | instskip(NEXT) | instid1(VALU_DEP_1)
	v_and_b32_e32 v87, 0xfffff, v97
	v_add_nc_u32_e32 v97, v87, v100
                                        ; implicit-def: $vgpr87
	s_delay_alu instid0(VALU_DEP_3)
	v_cmpx_ne_u32_e64 v98, v99
	s_xor_b32 s7, exec_lo, s7
; %bb.2692:                             ;   in Loop: Header=BB2_2676 Depth=2
	s_delay_alu instid0(VALU_DEP_2) | instskip(SKIP_2) | instid1(VALU_DEP_2)
	v_cmp_lt_u32_e32 vcc_lo, 0xffffff, v97
	v_sub_nc_u32_e32 v87, v98, v99
	v_cndmask_b32_e64 v98, 0, 1, vcc_lo
	v_add_co_ci_u32_e32 v87, vcc_lo, 0, v87, vcc_lo
	s_delay_alu instid0(VALU_DEP_2)
	v_lshrrev_b32_e32 v97, v98, v97
; %bb.2693:                             ;   in Loop: Header=BB2_2676 Depth=2
	s_and_not1_saveexec_b32 s7, s7
; %bb.2694:                             ;   in Loop: Header=BB2_2676 Depth=2
	s_delay_alu instid0(VALU_DEP_1)
	v_bfe_u32 v87, v97, 23, 1
; %bb.2695:                             ;   in Loop: Header=BB2_2676 Depth=2
	s_or_b32 exec_lo, exec_lo, s7
	v_lshrrev_b32_e32 v97, 20, v97
	s_delay_alu instid0(VALU_DEP_2) | instskip(SKIP_2) | instid1(VALU_DEP_2)
	v_cmp_gt_i32_e32 vcc_lo, 16, v87
	v_lshrrev_b32_e32 v96, 24, v96
	v_min_i32_e32 v98, 15, v87
	v_dual_cndmask_b32 v97, 7, v97 :: v_dual_and_b32 v96, 0x80, v96
	s_delay_alu instid0(VALU_DEP_1) | instskip(SKIP_1) | instid1(VALU_DEP_2)
	v_or_b32_e32 v87, v87, v97
	v_and_b32_e32 v99, 7, v97
	v_cmp_ne_u32_e32 vcc_lo, 0, v87
	v_lshlrev_b32_e32 v98, 3, v98
	s_delay_alu instid0(VALU_DEP_1) | instskip(NEXT) | instid1(VALU_DEP_1)
	v_or3_b32 v96, v98, v96, v99
	v_cndmask_b32_e32 v87, 0, v96, vcc_lo
.LBB2_2696:                             ;   in Loop: Header=BB2_2676 Depth=2
	s_or_b32 exec_lo, exec_lo, s26
.LBB2_2697:                             ;   in Loop: Header=BB2_2676 Depth=2
	s_delay_alu instid0(SALU_CYCLE_1) | instskip(SKIP_3) | instid1(VALU_DEP_1)
	s_or_b32 exec_lo, exec_lo, s25
	v_lshrrev_b16 v96, 8, v10
	s_mov_b32 s7, 0
	s_mov_b32 s26, exec_lo
                                        ; implicit-def: $sgpr25
	v_cmpx_lt_i16_e32 0x7f, v96
	s_xor_b32 s26, exec_lo, s26
	s_cbranch_execnz .LBB2_3135
; %bb.2698:                             ;   in Loop: Header=BB2_2676 Depth=2
	s_or_saveexec_b32 s26, s26
	v_mov_b32_e32 v97, s25
	s_xor_b32 exec_lo, exec_lo, s26
	s_cbranch_execnz .LBB2_3138
.LBB2_2699:                             ;   in Loop: Header=BB2_2676 Depth=2
	s_or_b32 exec_lo, exec_lo, s26
	s_and_saveexec_b32 s25, s7
	s_cbranch_execz .LBB2_2701
.LBB2_2700:                             ;   in Loop: Header=BB2_2676 Depth=2
	v_and_b32_e32 v97, 0xffff, v96
	v_lshlrev_b32_e32 v96, 24, v96
	s_delay_alu instid0(VALU_DEP_2) | instskip(NEXT) | instid1(VALU_DEP_2)
	v_and_b32_e32 v98, 7, v97
	v_and_b32_e32 v96, 0x80000000, v96
	s_delay_alu instid0(VALU_DEP_2) | instskip(NEXT) | instid1(VALU_DEP_1)
	v_clz_i32_u32_e32 v99, v98
	v_min_u32_e32 v99, 32, v99
	s_delay_alu instid0(VALU_DEP_1) | instskip(SKIP_1) | instid1(VALU_DEP_2)
	v_subrev_nc_u32_e32 v100, 28, v99
	v_sub_nc_u32_e32 v99, 29, v99
	v_lshlrev_b32_e32 v100, v100, v97
	v_bfe_u32 v97, v97, 3, 4
	s_delay_alu instid0(VALU_DEP_2) | instskip(NEXT) | instid1(VALU_DEP_2)
	v_and_b32_e32 v100, 7, v100
	v_cmp_eq_u32_e32 vcc_lo, 0, v97
	s_delay_alu instid0(VALU_DEP_2) | instskip(NEXT) | instid1(VALU_DEP_1)
	v_dual_cndmask_b32 v97, v97, v99 :: v_dual_cndmask_b32 v98, v98, v100
	v_lshl_add_u32 v97, v97, 23, 0x3b800000
	s_delay_alu instid0(VALU_DEP_2) | instskip(NEXT) | instid1(VALU_DEP_1)
	v_lshlrev_b32_e32 v98, 20, v98
	v_or3_b32 v97, v96, v97, v98
.LBB2_2701:                             ;   in Loop: Header=BB2_2676 Depth=2
	s_or_b32 exec_lo, exec_lo, s25
	s_delay_alu instid0(VALU_DEP_1) | instskip(SKIP_1) | instid1(VALU_DEP_1)
	v_dual_mul_f32 v96, s24, v97 :: v_dual_mov_b32 v99, 0x80
	s_mov_b32 s25, exec_lo
	v_and_b32_e32 v97, 0x7f800000, v96
	s_delay_alu instid0(VALU_DEP_1)
	v_cmpx_ne_u32_e32 0x7f800000, v97
	s_cbranch_execz .LBB2_2709
; %bb.2702:                             ;   in Loop: Header=BB2_2676 Depth=2
	v_mov_b32_e32 v99, 0
	s_mov_b32 s26, exec_lo
	v_cmpx_ne_u32_e32 0, v96
	s_cbranch_execz .LBB2_2708
; %bb.2703:                             ;   in Loop: Header=BB2_2676 Depth=2
	v_bfe_u32 v97, v96, 23, 8
	s_delay_alu instid0(VALU_DEP_1) | instskip(SKIP_1) | instid1(VALU_DEP_2)
	v_sub_nc_u32_e32 v99, 0x78, v97
	v_cmp_gt_u32_e32 vcc_lo, 0x79, v97
	v_dual_cndmask_b32 v99, 0, v99 :: v_dual_and_b32 v98, 0x7fffff, v96
	s_delay_alu instid0(VALU_DEP_1) | instskip(SKIP_2) | instid1(VALU_DEP_4)
	v_or_b32_e32 v100, 0x800000, v98
	v_cmp_eq_u32_e32 vcc_lo, 0, v97
	v_add_nc_u32_e32 v97, 0xffffff89, v97
	v_cndmask_b32_e64 v99, v99, 0x77, vcc_lo
	s_delay_alu instid0(VALU_DEP_4) | instskip(NEXT) | instid1(VALU_DEP_3)
	v_cndmask_b32_e32 v98, v100, v98, vcc_lo
	v_cndmask_b32_e64 v97, v97, 0xffffff8a, vcc_lo
	s_delay_alu instid0(VALU_DEP_3) | instskip(NEXT) | instid1(VALU_DEP_3)
	v_lshl_add_u32 v100, 0x100000, v99, -1
	v_lshrrev_b32_e32 v101, v99, v98
	v_lshlrev_b32_e64 v103, v99, 0x80000
	s_delay_alu instid0(VALU_DEP_4) | instskip(NEXT) | instid1(VALU_DEP_4)
	v_add_nc_u32_e32 v99, v99, v97
	v_and_b32_e32 v98, v100, v98
	s_delay_alu instid0(VALU_DEP_4) | instskip(NEXT) | instid1(VALU_DEP_2)
	v_bfe_u32 v102, v101, 20, 1
	v_cmp_eq_u32_e64 s7, v98, v103
	s_delay_alu instid0(VALU_DEP_2) | instskip(NEXT) | instid1(VALU_DEP_1)
	v_add_nc_u32_e32 v100, -1, v102
	v_cndmask_b32_e64 v98, 0, v100, s7
	v_lshrrev_b32_e32 v100, 23, v101
	s_mov_b32 s7, exec_lo
	s_delay_alu instid0(VALU_DEP_2) | instskip(NEXT) | instid1(VALU_DEP_2)
	v_add_nc_u32_e32 v98, v98, v101
	v_xor_b32_e32 v100, 1, v100
	s_delay_alu instid0(VALU_DEP_2) | instskip(NEXT) | instid1(VALU_DEP_1)
	v_and_b32_e32 v97, 0xfffff, v98
	v_add_nc_u32_e32 v98, v97, v101
                                        ; implicit-def: $vgpr97
	s_delay_alu instid0(VALU_DEP_3)
	v_cmpx_ne_u32_e64 v99, v100
	s_xor_b32 s7, exec_lo, s7
; %bb.2704:                             ;   in Loop: Header=BB2_2676 Depth=2
	s_delay_alu instid0(VALU_DEP_2) | instskip(SKIP_2) | instid1(VALU_DEP_2)
	v_cmp_lt_u32_e32 vcc_lo, 0xffffff, v98
	v_sub_nc_u32_e32 v97, v99, v100
	v_cndmask_b32_e64 v99, 0, 1, vcc_lo
	v_add_co_ci_u32_e32 v97, vcc_lo, 0, v97, vcc_lo
	s_delay_alu instid0(VALU_DEP_2)
	v_lshrrev_b32_e32 v98, v99, v98
; %bb.2705:                             ;   in Loop: Header=BB2_2676 Depth=2
	s_and_not1_saveexec_b32 s7, s7
; %bb.2706:                             ;   in Loop: Header=BB2_2676 Depth=2
	s_delay_alu instid0(VALU_DEP_1)
	v_bfe_u32 v97, v98, 23, 1
; %bb.2707:                             ;   in Loop: Header=BB2_2676 Depth=2
	s_or_b32 exec_lo, exec_lo, s7
	v_lshrrev_b32_e32 v98, 20, v98
	s_delay_alu instid0(VALU_DEP_2) | instskip(SKIP_2) | instid1(VALU_DEP_2)
	v_cmp_gt_i32_e32 vcc_lo, 16, v97
	v_min_i32_e32 v99, 15, v97
	v_lshrrev_b32_e32 v96, 24, v96
	v_dual_cndmask_b32 v98, 7, v98 :: v_dual_lshlrev_b32 v99, 3, v99
	s_delay_alu instid0(VALU_DEP_2) | instskip(NEXT) | instid1(VALU_DEP_2)
	v_and_b32_e32 v96, 0x80, v96
	v_or_b32_e32 v97, v97, v98
	s_delay_alu instid0(VALU_DEP_1) | instskip(SKIP_1) | instid1(VALU_DEP_1)
	v_cmp_ne_u32_e32 vcc_lo, 0, v97
	v_and_b32_e32 v100, 7, v98
	v_or3_b32 v96, v99, v96, v100
	s_delay_alu instid0(VALU_DEP_1)
	v_cndmask_b32_e32 v99, 0, v96, vcc_lo
.LBB2_2708:                             ;   in Loop: Header=BB2_2676 Depth=2
	s_or_b32 exec_lo, exec_lo, s26
.LBB2_2709:                             ;   in Loop: Header=BB2_2676 Depth=2
	s_delay_alu instid0(SALU_CYCLE_1) | instskip(SKIP_3) | instid1(VALU_DEP_1)
	s_or_b32 exec_lo, exec_lo, s25
	v_lshrrev_b32_e32 v96, 16, v10
	s_mov_b32 s7, 0
	s_mov_b32 s26, exec_lo
                                        ; implicit-def: $sgpr25
	v_and_b32_e32 v98, 0xff, v96
	s_delay_alu instid0(VALU_DEP_1)
	v_cmpx_lt_i16_e32 0x7f, v98
	s_xor_b32 s26, exec_lo, s26
	s_cbranch_execnz .LBB2_3139
; %bb.2710:                             ;   in Loop: Header=BB2_2676 Depth=2
	s_or_saveexec_b32 s26, s26
	v_mov_b32_e32 v97, s25
	s_xor_b32 exec_lo, exec_lo, s26
	s_cbranch_execnz .LBB2_3142
.LBB2_2711:                             ;   in Loop: Header=BB2_2676 Depth=2
	s_or_b32 exec_lo, exec_lo, s26
	s_and_saveexec_b32 s25, s7
	s_cbranch_execz .LBB2_2713
.LBB2_2712:                             ;   in Loop: Header=BB2_2676 Depth=2
	v_bfe_u32 v97, v10, 16, 3
	s_delay_alu instid0(VALU_DEP_1) | instskip(NEXT) | instid1(VALU_DEP_1)
	v_clz_i32_u32_e32 v98, v97
	v_min_u32_e32 v98, 32, v98
	s_delay_alu instid0(VALU_DEP_1) | instskip(SKIP_1) | instid1(VALU_DEP_2)
	v_subrev_nc_u32_e32 v100, 28, v98
	v_sub_nc_u32_e32 v98, 29, v98
	v_lshlrev_b32_e32 v96, v100, v96
	v_bfe_u32 v100, v10, 19, 4
	s_delay_alu instid0(VALU_DEP_2) | instskip(NEXT) | instid1(VALU_DEP_2)
	v_and_b32_e32 v96, 7, v96
	v_cmp_eq_u32_e32 vcc_lo, 0, v100
	s_delay_alu instid0(VALU_DEP_2) | instskip(NEXT) | instid1(VALU_DEP_1)
	v_dual_cndmask_b32 v96, v97, v96 :: v_dual_lshlrev_b32 v101, 8, v10
	v_dual_cndmask_b32 v98, v100, v98 :: v_dual_and_b32 v97, 0x80000000, v101
	s_delay_alu instid0(VALU_DEP_2) | instskip(NEXT) | instid1(VALU_DEP_2)
	v_lshlrev_b32_e32 v96, 20, v96
	v_lshl_add_u32 v98, v98, 23, 0x3b800000
	s_delay_alu instid0(VALU_DEP_1)
	v_or3_b32 v97, v97, v98, v96
.LBB2_2713:                             ;   in Loop: Header=BB2_2676 Depth=2
	s_or_b32 exec_lo, exec_lo, s25
	s_delay_alu instid0(VALU_DEP_1) | instskip(SKIP_1) | instid1(VALU_DEP_1)
	v_dual_mul_f32 v96, s24, v97 :: v_dual_mov_b32 v113, 0x80
	s_mov_b32 s25, exec_lo
	v_and_b32_e32 v97, 0x7f800000, v96
	s_delay_alu instid0(VALU_DEP_1)
	v_cmpx_ne_u32_e32 0x7f800000, v97
	s_cbranch_execz .LBB2_2721
; %bb.2714:                             ;   in Loop: Header=BB2_2676 Depth=2
	v_mov_b32_e32 v113, 0
	s_mov_b32 s26, exec_lo
	v_cmpx_ne_u32_e32 0, v96
	s_cbranch_execz .LBB2_2720
; %bb.2715:                             ;   in Loop: Header=BB2_2676 Depth=2
	v_bfe_u32 v97, v96, 23, 8
	v_and_b32_e32 v98, 0x7fffff, v96
	s_delay_alu instid0(VALU_DEP_2) | instskip(SKIP_1) | instid1(VALU_DEP_3)
	v_sub_nc_u32_e32 v100, 0x78, v97
	v_cmp_gt_u32_e32 vcc_lo, 0x79, v97
	v_or_b32_e32 v101, 0x800000, v98
	s_delay_alu instid0(VALU_DEP_3) | instskip(SKIP_2) | instid1(VALU_DEP_3)
	v_cndmask_b32_e32 v100, 0, v100, vcc_lo
	v_cmp_eq_u32_e32 vcc_lo, 0, v97
	v_add_nc_u32_e32 v97, 0xffffff89, v97
	v_cndmask_b32_e64 v100, v100, 0x77, vcc_lo
	v_cndmask_b32_e32 v98, v101, v98, vcc_lo
	s_delay_alu instid0(VALU_DEP_3) | instskip(NEXT) | instid1(VALU_DEP_3)
	v_cndmask_b32_e64 v97, v97, 0xffffff8a, vcc_lo
	v_lshl_add_u32 v101, 0x100000, v100, -1
	s_delay_alu instid0(VALU_DEP_3) | instskip(SKIP_1) | instid1(VALU_DEP_4)
	v_lshrrev_b32_e32 v102, v100, v98
	v_lshlrev_b32_e64 v112, v100, 0x80000
	v_add_nc_u32_e32 v100, v100, v97
	s_delay_alu instid0(VALU_DEP_4) | instskip(NEXT) | instid1(VALU_DEP_4)
	v_and_b32_e32 v98, v101, v98
	v_bfe_u32 v103, v102, 20, 1
	s_delay_alu instid0(VALU_DEP_2) | instskip(NEXT) | instid1(VALU_DEP_2)
	v_cmp_eq_u32_e64 s7, v98, v112
	v_add_nc_u32_e32 v101, -1, v103
	s_delay_alu instid0(VALU_DEP_1) | instskip(SKIP_2) | instid1(VALU_DEP_2)
	v_cndmask_b32_e64 v98, 0, v101, s7
	v_lshrrev_b32_e32 v101, 23, v102
	s_mov_b32 s7, exec_lo
	v_add_nc_u32_e32 v98, v98, v102
	s_delay_alu instid0(VALU_DEP_2) | instskip(NEXT) | instid1(VALU_DEP_2)
	v_xor_b32_e32 v101, 1, v101
	v_and_b32_e32 v97, 0xfffff, v98
	s_delay_alu instid0(VALU_DEP_1) | instskip(NEXT) | instid1(VALU_DEP_3)
	v_add_nc_u32_e32 v98, v97, v102
                                        ; implicit-def: $vgpr97
	v_cmpx_ne_u32_e64 v100, v101
	s_xor_b32 s7, exec_lo, s7
; %bb.2716:                             ;   in Loop: Header=BB2_2676 Depth=2
	s_delay_alu instid0(VALU_DEP_2) | instskip(SKIP_2) | instid1(VALU_DEP_2)
	v_cmp_lt_u32_e32 vcc_lo, 0xffffff, v98
	v_sub_nc_u32_e32 v97, v100, v101
	v_cndmask_b32_e64 v100, 0, 1, vcc_lo
	v_add_co_ci_u32_e32 v97, vcc_lo, 0, v97, vcc_lo
	s_delay_alu instid0(VALU_DEP_2)
	v_lshrrev_b32_e32 v98, v100, v98
; %bb.2717:                             ;   in Loop: Header=BB2_2676 Depth=2
	s_and_not1_saveexec_b32 s7, s7
; %bb.2718:                             ;   in Loop: Header=BB2_2676 Depth=2
	s_delay_alu instid0(VALU_DEP_1)
	v_bfe_u32 v97, v98, 23, 1
; %bb.2719:                             ;   in Loop: Header=BB2_2676 Depth=2
	s_or_b32 exec_lo, exec_lo, s7
	v_lshrrev_b32_e32 v98, 20, v98
	s_delay_alu instid0(VALU_DEP_2) | instskip(SKIP_2) | instid1(VALU_DEP_4)
	v_cmp_gt_i32_e32 vcc_lo, 16, v97
	v_lshrrev_b32_e32 v96, 24, v96
	v_min_i32_e32 v100, 15, v97
	v_cndmask_b32_e32 v98, 7, v98, vcc_lo
	s_delay_alu instid0(VALU_DEP_3) | instskip(NEXT) | instid1(VALU_DEP_3)
	v_and_b32_e32 v96, 0x80, v96
	v_lshlrev_b32_e32 v100, 3, v100
	s_delay_alu instid0(VALU_DEP_3) | instskip(SKIP_1) | instid1(VALU_DEP_2)
	v_and_b32_e32 v101, 7, v98
	v_or_b32_e32 v97, v97, v98
	v_or3_b32 v96, v100, v96, v101
	s_delay_alu instid0(VALU_DEP_2) | instskip(NEXT) | instid1(VALU_DEP_2)
	v_cmp_ne_u32_e32 vcc_lo, 0, v97
	v_cndmask_b32_e32 v113, 0, v96, vcc_lo
.LBB2_2720:                             ;   in Loop: Header=BB2_2676 Depth=2
	s_or_b32 exec_lo, exec_lo, s26
.LBB2_2721:                             ;   in Loop: Header=BB2_2676 Depth=2
	s_delay_alu instid0(SALU_CYCLE_1) | instskip(SKIP_3) | instid1(VALU_DEP_1)
	s_or_b32 exec_lo, exec_lo, s25
	v_lshrrev_b32_e32 v96, 24, v10
	s_mov_b32 s7, 0
	s_mov_b32 s26, exec_lo
                                        ; implicit-def: $sgpr25
	v_cmpx_lt_i16_e32 0x7f, v96
	s_xor_b32 s26, exec_lo, s26
	s_cbranch_execnz .LBB2_3143
; %bb.2722:                             ;   in Loop: Header=BB2_2676 Depth=2
	s_or_saveexec_b32 s26, s26
	v_mov_b32_e32 v97, s25
	s_xor_b32 exec_lo, exec_lo, s26
	s_cbranch_execnz .LBB2_3146
.LBB2_2723:                             ;   in Loop: Header=BB2_2676 Depth=2
	s_or_b32 exec_lo, exec_lo, s26
	s_and_saveexec_b32 s25, s7
	s_cbranch_execz .LBB2_2725
.LBB2_2724:                             ;   in Loop: Header=BB2_2676 Depth=2
	v_bfe_u32 v97, v10, 24, 3
	s_delay_alu instid0(VALU_DEP_1) | instskip(NEXT) | instid1(VALU_DEP_1)
	v_clz_i32_u32_e32 v98, v97
	v_min_u32_e32 v98, 32, v98
	s_delay_alu instid0(VALU_DEP_1) | instskip(SKIP_1) | instid1(VALU_DEP_2)
	v_subrev_nc_u32_e32 v100, 28, v98
	v_sub_nc_u32_e32 v98, 29, v98
	v_lshlrev_b32_e32 v96, v100, v96
	v_bfe_u32 v100, v10, 27, 4
	v_and_b32_e32 v10, 0x80000000, v10
	s_delay_alu instid0(VALU_DEP_3) | instskip(NEXT) | instid1(VALU_DEP_3)
	v_and_b32_e32 v96, 7, v96
	v_cmp_eq_u32_e32 vcc_lo, 0, v100
	v_cndmask_b32_e32 v98, v100, v98, vcc_lo
	s_delay_alu instid0(VALU_DEP_3) | instskip(NEXT) | instid1(VALU_DEP_2)
	v_cndmask_b32_e32 v96, v97, v96, vcc_lo
	v_lshl_add_u32 v97, v98, 23, 0x3b800000
	s_delay_alu instid0(VALU_DEP_2) | instskip(NEXT) | instid1(VALU_DEP_1)
	v_lshlrev_b32_e32 v96, 20, v96
	v_or3_b32 v97, v10, v97, v96
.LBB2_2725:                             ;   in Loop: Header=BB2_2676 Depth=2
	s_or_b32 exec_lo, exec_lo, s25
	s_delay_alu instid0(VALU_DEP_1) | instskip(SKIP_2) | instid1(VALU_DEP_2)
	v_mul_f32_e32 v10, s24, v97
	v_mov_b32_e32 v116, 0x80
	s_mov_b32 s25, exec_lo
	v_and_b32_e32 v96, 0x7f800000, v10
	s_delay_alu instid0(VALU_DEP_1)
	v_cmpx_ne_u32_e32 0x7f800000, v96
	s_cbranch_execz .LBB2_2733
; %bb.2726:                             ;   in Loop: Header=BB2_2676 Depth=2
	v_mov_b32_e32 v116, 0
	s_mov_b32 s26, exec_lo
	v_cmpx_ne_u32_e32 0, v10
	s_cbranch_execz .LBB2_2732
; %bb.2727:                             ;   in Loop: Header=BB2_2676 Depth=2
	v_bfe_u32 v96, v10, 23, 8
	v_and_b32_e32 v97, 0x7fffff, v10
	s_delay_alu instid0(VALU_DEP_2) | instskip(SKIP_1) | instid1(VALU_DEP_3)
	v_sub_nc_u32_e32 v98, 0x78, v96
	v_cmp_gt_u32_e32 vcc_lo, 0x79, v96
	v_or_b32_e32 v100, 0x800000, v97
	s_delay_alu instid0(VALU_DEP_3) | instskip(SKIP_1) | instid1(VALU_DEP_3)
	v_cndmask_b32_e32 v98, 0, v98, vcc_lo
	v_cmp_eq_u32_e32 vcc_lo, 0, v96
	v_dual_cndmask_b32 v97, v100, v97 :: v_dual_add_nc_u32 v96, 0xffffff89, v96
	s_delay_alu instid0(VALU_DEP_3) | instskip(NEXT) | instid1(VALU_DEP_2)
	v_cndmask_b32_e64 v98, v98, 0x77, vcc_lo
	v_cndmask_b32_e64 v96, v96, 0xffffff8a, vcc_lo
	s_delay_alu instid0(VALU_DEP_2) | instskip(SKIP_2) | instid1(VALU_DEP_4)
	v_lshrrev_b32_e32 v101, v98, v97
	v_lshl_add_u32 v100, 0x100000, v98, -1
	v_lshlrev_b32_e64 v103, v98, 0x80000
	v_add_nc_u32_e32 v98, v98, v96
	s_delay_alu instid0(VALU_DEP_4) | instskip(NEXT) | instid1(VALU_DEP_4)
	v_bfe_u32 v102, v101, 20, 1
	v_and_b32_e32 v97, v100, v97
	s_delay_alu instid0(VALU_DEP_2) | instskip(NEXT) | instid1(VALU_DEP_2)
	v_add_nc_u32_e32 v100, -1, v102
	v_cmp_eq_u32_e64 s7, v97, v103
	s_delay_alu instid0(VALU_DEP_1) | instskip(SKIP_2) | instid1(VALU_DEP_2)
	v_cndmask_b32_e64 v97, 0, v100, s7
	v_lshrrev_b32_e32 v100, 23, v101
	s_mov_b32 s7, exec_lo
	v_add_nc_u32_e32 v97, v97, v101
	s_delay_alu instid0(VALU_DEP_2) | instskip(NEXT) | instid1(VALU_DEP_2)
	v_xor_b32_e32 v100, 1, v100
	v_and_b32_e32 v96, 0xfffff, v97
	s_delay_alu instid0(VALU_DEP_1) | instskip(NEXT) | instid1(VALU_DEP_3)
	v_add_nc_u32_e32 v97, v96, v101
                                        ; implicit-def: $vgpr96
	v_cmpx_ne_u32_e64 v98, v100
	s_xor_b32 s7, exec_lo, s7
; %bb.2728:                             ;   in Loop: Header=BB2_2676 Depth=2
	s_delay_alu instid0(VALU_DEP_2) | instskip(SKIP_2) | instid1(VALU_DEP_2)
	v_cmp_lt_u32_e32 vcc_lo, 0xffffff, v97
	v_sub_nc_u32_e32 v96, v98, v100
	v_cndmask_b32_e64 v98, 0, 1, vcc_lo
	v_add_co_ci_u32_e32 v96, vcc_lo, 0, v96, vcc_lo
	s_delay_alu instid0(VALU_DEP_2)
	v_lshrrev_b32_e32 v97, v98, v97
; %bb.2729:                             ;   in Loop: Header=BB2_2676 Depth=2
	s_and_not1_saveexec_b32 s7, s7
; %bb.2730:                             ;   in Loop: Header=BB2_2676 Depth=2
	s_delay_alu instid0(VALU_DEP_1)
	v_bfe_u32 v96, v97, 23, 1
; %bb.2731:                             ;   in Loop: Header=BB2_2676 Depth=2
	s_or_b32 exec_lo, exec_lo, s7
	v_lshrrev_b32_e32 v97, 20, v97
	s_delay_alu instid0(VALU_DEP_2) | instskip(SKIP_2) | instid1(VALU_DEP_2)
	v_cmp_gt_i32_e32 vcc_lo, 16, v96
	v_lshrrev_b32_e32 v10, 24, v10
	v_min_i32_e32 v98, 15, v96
	v_dual_cndmask_b32 v97, 7, v97 :: v_dual_and_b32 v10, 0x80, v10
	s_delay_alu instid0(VALU_DEP_2) | instskip(NEXT) | instid1(VALU_DEP_2)
	v_lshlrev_b32_e32 v98, 3, v98
	v_and_b32_e32 v100, 7, v97
	v_or_b32_e32 v96, v96, v97
	s_delay_alu instid0(VALU_DEP_2) | instskip(NEXT) | instid1(VALU_DEP_2)
	v_or3_b32 v10, v98, v10, v100
	v_cmp_ne_u32_e32 vcc_lo, 0, v96
	s_delay_alu instid0(VALU_DEP_2)
	v_cndmask_b32_e32 v116, 0, v10, vcc_lo
.LBB2_2732:                             ;   in Loop: Header=BB2_2676 Depth=2
	s_or_b32 exec_lo, exec_lo, s26
.LBB2_2733:                             ;   in Loop: Header=BB2_2676 Depth=2
	s_delay_alu instid0(SALU_CYCLE_1) | instskip(SKIP_3) | instid1(VALU_DEP_1)
	s_or_b32 exec_lo, exec_lo, s25
	v_and_b32_e32 v96, 0xff, v11
	s_mov_b32 s7, 0
	s_mov_b32 s26, exec_lo
                                        ; implicit-def: $sgpr25
	v_cmpx_lt_i16_e32 0x7f, v96
	s_xor_b32 s26, exec_lo, s26
	s_cbranch_execnz .LBB2_3147
; %bb.2734:                             ;   in Loop: Header=BB2_2676 Depth=2
	s_or_saveexec_b32 s26, s26
	v_mov_b32_e32 v10, s25
	s_xor_b32 exec_lo, exec_lo, s26
	s_cbranch_execnz .LBB2_3150
.LBB2_2735:                             ;   in Loop: Header=BB2_2676 Depth=2
	s_or_b32 exec_lo, exec_lo, s26
	s_and_saveexec_b32 s25, s7
	s_cbranch_execz .LBB2_2737
.LBB2_2736:                             ;   in Loop: Header=BB2_2676 Depth=2
	v_and_b32_e32 v10, 7, v11
	v_bfe_u32 v98, v11, 3, 4
	v_lshlrev_b32_e32 v100, 24, v11
	s_delay_alu instid0(VALU_DEP_3) | instskip(NEXT) | instid1(VALU_DEP_3)
	v_clz_i32_u32_e32 v96, v10
	v_cmp_eq_u32_e32 vcc_lo, 0, v98
	s_delay_alu instid0(VALU_DEP_2) | instskip(NEXT) | instid1(VALU_DEP_1)
	v_min_u32_e32 v96, 32, v96
	v_subrev_nc_u32_e32 v97, 28, v96
	v_sub_nc_u32_e32 v96, 29, v96
	s_delay_alu instid0(VALU_DEP_1) | instskip(NEXT) | instid1(VALU_DEP_1)
	v_dual_cndmask_b32 v96, v98, v96 :: v_dual_lshlrev_b32 v97, v97, v11
	v_and_b32_e32 v97, 7, v97
	s_delay_alu instid0(VALU_DEP_2) | instskip(NEXT) | instid1(VALU_DEP_2)
	v_lshl_add_u32 v96, v96, 23, 0x3b800000
	v_dual_cndmask_b32 v10, v10, v97 :: v_dual_and_b32 v97, 0x80000000, v100
	s_delay_alu instid0(VALU_DEP_1) | instskip(NEXT) | instid1(VALU_DEP_1)
	v_lshlrev_b32_e32 v10, 20, v10
	v_or3_b32 v10, v97, v96, v10
.LBB2_2737:                             ;   in Loop: Header=BB2_2676 Depth=2
	s_or_b32 exec_lo, exec_lo, s25
	s_delay_alu instid0(VALU_DEP_1) | instskip(SKIP_1) | instid1(VALU_DEP_1)
	v_dual_mul_f32 v10, s24, v10 :: v_dual_mov_b32 v115, 0x80
	s_mov_b32 s25, exec_lo
	v_and_b32_e32 v96, 0x7f800000, v10
	s_delay_alu instid0(VALU_DEP_1)
	v_cmpx_ne_u32_e32 0x7f800000, v96
	s_cbranch_execz .LBB2_2745
; %bb.2738:                             ;   in Loop: Header=BB2_2676 Depth=2
	v_mov_b32_e32 v115, 0
	s_mov_b32 s26, exec_lo
	v_cmpx_ne_u32_e32 0, v10
	s_cbranch_execz .LBB2_2744
; %bb.2739:                             ;   in Loop: Header=BB2_2676 Depth=2
	v_bfe_u32 v96, v10, 23, 8
	v_and_b32_e32 v97, 0x7fffff, v10
	s_delay_alu instid0(VALU_DEP_2) | instskip(SKIP_1) | instid1(VALU_DEP_3)
	v_sub_nc_u32_e32 v98, 0x78, v96
	v_cmp_gt_u32_e32 vcc_lo, 0x79, v96
	v_or_b32_e32 v100, 0x800000, v97
	s_delay_alu instid0(VALU_DEP_3) | instskip(SKIP_1) | instid1(VALU_DEP_3)
	v_cndmask_b32_e32 v98, 0, v98, vcc_lo
	v_cmp_eq_u32_e32 vcc_lo, 0, v96
	v_dual_cndmask_b32 v97, v100, v97 :: v_dual_add_nc_u32 v96, 0xffffff89, v96
	s_delay_alu instid0(VALU_DEP_3) | instskip(NEXT) | instid1(VALU_DEP_2)
	v_cndmask_b32_e64 v98, v98, 0x77, vcc_lo
	v_cndmask_b32_e64 v96, v96, 0xffffff8a, vcc_lo
	s_delay_alu instid0(VALU_DEP_2) | instskip(SKIP_2) | instid1(VALU_DEP_4)
	v_lshrrev_b32_e32 v101, v98, v97
	v_lshl_add_u32 v100, 0x100000, v98, -1
	v_lshlrev_b32_e64 v103, v98, 0x80000
	v_add_nc_u32_e32 v98, v98, v96
	s_delay_alu instid0(VALU_DEP_4) | instskip(NEXT) | instid1(VALU_DEP_4)
	v_bfe_u32 v102, v101, 20, 1
	v_and_b32_e32 v97, v100, v97
	s_delay_alu instid0(VALU_DEP_2) | instskip(NEXT) | instid1(VALU_DEP_2)
	v_add_nc_u32_e32 v100, -1, v102
	v_cmp_eq_u32_e64 s7, v97, v103
	s_delay_alu instid0(VALU_DEP_1) | instskip(SKIP_2) | instid1(VALU_DEP_2)
	v_cndmask_b32_e64 v97, 0, v100, s7
	v_lshrrev_b32_e32 v100, 23, v101
	s_mov_b32 s7, exec_lo
	v_add_nc_u32_e32 v97, v97, v101
	s_delay_alu instid0(VALU_DEP_2) | instskip(NEXT) | instid1(VALU_DEP_2)
	v_xor_b32_e32 v100, 1, v100
	v_and_b32_e32 v96, 0xfffff, v97
	s_delay_alu instid0(VALU_DEP_1) | instskip(NEXT) | instid1(VALU_DEP_3)
	v_add_nc_u32_e32 v97, v96, v101
                                        ; implicit-def: $vgpr96
	v_cmpx_ne_u32_e64 v98, v100
	s_xor_b32 s7, exec_lo, s7
; %bb.2740:                             ;   in Loop: Header=BB2_2676 Depth=2
	s_delay_alu instid0(VALU_DEP_2) | instskip(SKIP_2) | instid1(VALU_DEP_2)
	v_cmp_lt_u32_e32 vcc_lo, 0xffffff, v97
	v_sub_nc_u32_e32 v96, v98, v100
	v_cndmask_b32_e64 v98, 0, 1, vcc_lo
	v_add_co_ci_u32_e32 v96, vcc_lo, 0, v96, vcc_lo
	s_delay_alu instid0(VALU_DEP_2)
	v_lshrrev_b32_e32 v97, v98, v97
; %bb.2741:                             ;   in Loop: Header=BB2_2676 Depth=2
	s_and_not1_saveexec_b32 s7, s7
; %bb.2742:                             ;   in Loop: Header=BB2_2676 Depth=2
	s_delay_alu instid0(VALU_DEP_1)
	v_bfe_u32 v96, v97, 23, 1
; %bb.2743:                             ;   in Loop: Header=BB2_2676 Depth=2
	s_or_b32 exec_lo, exec_lo, s7
	v_lshrrev_b32_e32 v97, 20, v97
	s_delay_alu instid0(VALU_DEP_2) | instskip(SKIP_2) | instid1(VALU_DEP_2)
	v_cmp_gt_i32_e32 vcc_lo, 16, v96
	v_min_i32_e32 v98, 15, v96
	v_lshrrev_b32_e32 v10, 24, v10
	v_dual_cndmask_b32 v97, 7, v97 :: v_dual_lshlrev_b32 v98, 3, v98
	s_delay_alu instid0(VALU_DEP_2) | instskip(NEXT) | instid1(VALU_DEP_2)
	v_and_b32_e32 v10, 0x80, v10
	v_or_b32_e32 v96, v96, v97
	s_delay_alu instid0(VALU_DEP_3) | instskip(NEXT) | instid1(VALU_DEP_2)
	v_and_b32_e32 v98, 0xf8, v98
	v_cmp_ne_u32_e32 vcc_lo, 0, v96
	v_and_b32_e32 v100, 7, v97
	s_delay_alu instid0(VALU_DEP_1) | instskip(NEXT) | instid1(VALU_DEP_1)
	v_or3_b32 v10, v98, v10, v100
	v_cndmask_b32_e32 v115, 0, v10, vcc_lo
.LBB2_2744:                             ;   in Loop: Header=BB2_2676 Depth=2
	s_or_b32 exec_lo, exec_lo, s26
.LBB2_2745:                             ;   in Loop: Header=BB2_2676 Depth=2
	s_delay_alu instid0(SALU_CYCLE_1) | instskip(SKIP_3) | instid1(VALU_DEP_1)
	s_or_b32 exec_lo, exec_lo, s25
	v_lshrrev_b16 v10, 8, v11
	s_mov_b32 s7, 0
	s_mov_b32 s26, exec_lo
                                        ; implicit-def: $sgpr25
	v_cmpx_lt_i16_e32 0x7f, v10
	s_xor_b32 s26, exec_lo, s26
	s_cbranch_execnz .LBB2_3151
; %bb.2746:                             ;   in Loop: Header=BB2_2676 Depth=2
	s_or_saveexec_b32 s26, s26
	v_mov_b32_e32 v96, s25
	s_xor_b32 exec_lo, exec_lo, s26
	s_cbranch_execnz .LBB2_3154
.LBB2_2747:                             ;   in Loop: Header=BB2_2676 Depth=2
	s_or_b32 exec_lo, exec_lo, s26
	s_and_saveexec_b32 s25, s7
	s_cbranch_execz .LBB2_2749
.LBB2_2748:                             ;   in Loop: Header=BB2_2676 Depth=2
	v_and_b32_e32 v96, 0xffff, v10
	v_lshlrev_b32_e32 v10, 24, v10
	s_delay_alu instid0(VALU_DEP_2) | instskip(NEXT) | instid1(VALU_DEP_2)
	v_and_b32_e32 v97, 7, v96
	v_and_b32_e32 v10, 0x80000000, v10
	s_delay_alu instid0(VALU_DEP_2) | instskip(NEXT) | instid1(VALU_DEP_1)
	v_clz_i32_u32_e32 v98, v97
	v_min_u32_e32 v98, 32, v98
	s_delay_alu instid0(VALU_DEP_1) | instskip(SKIP_1) | instid1(VALU_DEP_2)
	v_subrev_nc_u32_e32 v100, 28, v98
	v_sub_nc_u32_e32 v98, 29, v98
	v_lshlrev_b32_e32 v100, v100, v96
	v_bfe_u32 v96, v96, 3, 4
	s_delay_alu instid0(VALU_DEP_2) | instskip(NEXT) | instid1(VALU_DEP_2)
	v_and_b32_e32 v100, 7, v100
	v_cmp_eq_u32_e32 vcc_lo, 0, v96
	s_delay_alu instid0(VALU_DEP_2) | instskip(NEXT) | instid1(VALU_DEP_1)
	v_dual_cndmask_b32 v96, v96, v98 :: v_dual_cndmask_b32 v97, v97, v100
	v_lshl_add_u32 v96, v96, 23, 0x3b800000
	s_delay_alu instid0(VALU_DEP_2) | instskip(NEXT) | instid1(VALU_DEP_1)
	v_lshlrev_b32_e32 v97, 20, v97
	v_or3_b32 v96, v10, v96, v97
.LBB2_2749:                             ;   in Loop: Header=BB2_2676 Depth=2
	s_or_b32 exec_lo, exec_lo, s25
	s_delay_alu instid0(VALU_DEP_1) | instskip(SKIP_2) | instid1(VALU_DEP_2)
	v_mul_f32_e32 v10, s24, v96
	v_mov_b32_e32 v118, 0x8000
	s_mov_b32 s25, exec_lo
	v_and_b32_e32 v96, 0x7f800000, v10
	s_delay_alu instid0(VALU_DEP_1)
	v_cmpx_ne_u32_e32 0x7f800000, v96
	s_cbranch_execz .LBB2_2757
; %bb.2750:                             ;   in Loop: Header=BB2_2676 Depth=2
	v_mov_b32_e32 v118, 0
	s_mov_b32 s26, exec_lo
	v_cmpx_ne_u32_e32 0, v10
	s_cbranch_execz .LBB2_2756
; %bb.2751:                             ;   in Loop: Header=BB2_2676 Depth=2
	v_bfe_u32 v96, v10, 23, 8
	v_and_b32_e32 v97, 0x7fffff, v10
	s_delay_alu instid0(VALU_DEP_2) | instskip(SKIP_1) | instid1(VALU_DEP_3)
	v_sub_nc_u32_e32 v98, 0x78, v96
	v_cmp_gt_u32_e32 vcc_lo, 0x79, v96
	v_or_b32_e32 v100, 0x800000, v97
	s_delay_alu instid0(VALU_DEP_3) | instskip(SKIP_1) | instid1(VALU_DEP_3)
	v_cndmask_b32_e32 v98, 0, v98, vcc_lo
	v_cmp_eq_u32_e32 vcc_lo, 0, v96
	v_dual_cndmask_b32 v97, v100, v97 :: v_dual_add_nc_u32 v96, 0xffffff89, v96
	s_delay_alu instid0(VALU_DEP_3) | instskip(NEXT) | instid1(VALU_DEP_2)
	v_cndmask_b32_e64 v98, v98, 0x77, vcc_lo
	v_cndmask_b32_e64 v96, v96, 0xffffff8a, vcc_lo
	s_delay_alu instid0(VALU_DEP_2) | instskip(SKIP_2) | instid1(VALU_DEP_4)
	v_lshrrev_b32_e32 v101, v98, v97
	v_lshl_add_u32 v100, 0x100000, v98, -1
	v_lshlrev_b32_e64 v103, v98, 0x80000
	v_add_nc_u32_e32 v98, v98, v96
	s_delay_alu instid0(VALU_DEP_4) | instskip(NEXT) | instid1(VALU_DEP_4)
	v_bfe_u32 v102, v101, 20, 1
	v_and_b32_e32 v97, v100, v97
	s_delay_alu instid0(VALU_DEP_2) | instskip(NEXT) | instid1(VALU_DEP_2)
	v_add_nc_u32_e32 v100, -1, v102
	v_cmp_eq_u32_e64 s7, v97, v103
	s_delay_alu instid0(VALU_DEP_1) | instskip(SKIP_2) | instid1(VALU_DEP_2)
	v_cndmask_b32_e64 v97, 0, v100, s7
	v_lshrrev_b32_e32 v100, 23, v101
	s_mov_b32 s7, exec_lo
	v_add_nc_u32_e32 v97, v97, v101
	s_delay_alu instid0(VALU_DEP_2) | instskip(NEXT) | instid1(VALU_DEP_2)
	v_xor_b32_e32 v100, 1, v100
	v_and_b32_e32 v96, 0xfffff, v97
	s_delay_alu instid0(VALU_DEP_1) | instskip(NEXT) | instid1(VALU_DEP_3)
	v_add_nc_u32_e32 v97, v96, v101
                                        ; implicit-def: $vgpr96
	v_cmpx_ne_u32_e64 v98, v100
	s_xor_b32 s7, exec_lo, s7
; %bb.2752:                             ;   in Loop: Header=BB2_2676 Depth=2
	s_delay_alu instid0(VALU_DEP_2) | instskip(SKIP_2) | instid1(VALU_DEP_2)
	v_cmp_lt_u32_e32 vcc_lo, 0xffffff, v97
	v_sub_nc_u32_e32 v96, v98, v100
	v_cndmask_b32_e64 v98, 0, 1, vcc_lo
	v_add_co_ci_u32_e32 v96, vcc_lo, 0, v96, vcc_lo
	s_delay_alu instid0(VALU_DEP_2)
	v_lshrrev_b32_e32 v97, v98, v97
; %bb.2753:                             ;   in Loop: Header=BB2_2676 Depth=2
	s_and_not1_saveexec_b32 s7, s7
; %bb.2754:                             ;   in Loop: Header=BB2_2676 Depth=2
	s_delay_alu instid0(VALU_DEP_1)
	v_bfe_u32 v96, v97, 23, 1
; %bb.2755:                             ;   in Loop: Header=BB2_2676 Depth=2
	s_or_b32 exec_lo, exec_lo, s7
	v_lshrrev_b32_e32 v97, 20, v97
	s_delay_alu instid0(VALU_DEP_2) | instskip(SKIP_2) | instid1(VALU_DEP_3)
	v_min_i32_e32 v98, 15, v96
	v_cmp_gt_i32_e32 vcc_lo, 16, v96
	v_lshrrev_b32_e32 v10, 24, v10
	v_dual_cndmask_b32 v97, 7, v97 :: v_dual_lshlrev_b32 v98, 3, v98
	s_delay_alu instid0(VALU_DEP_2) | instskip(NEXT) | instid1(VALU_DEP_2)
	v_and_b32_e32 v10, 0x80, v10
	v_and_b32_e32 v98, 0xf8, v98
	s_delay_alu instid0(VALU_DEP_3) | instskip(SKIP_1) | instid1(VALU_DEP_2)
	v_and_b32_e32 v100, 7, v97
	v_or_b32_e32 v96, v96, v97
	v_or3_b32 v10, v10, v98, v100
	s_delay_alu instid0(VALU_DEP_2) | instskip(NEXT) | instid1(VALU_DEP_2)
	v_cmp_ne_u32_e32 vcc_lo, 0, v96
	v_lshlrev_b32_e32 v10, 8, v10
	s_delay_alu instid0(VALU_DEP_1)
	v_cndmask_b32_e32 v118, 0, v10, vcc_lo
.LBB2_2756:                             ;   in Loop: Header=BB2_2676 Depth=2
	s_or_b32 exec_lo, exec_lo, s26
.LBB2_2757:                             ;   in Loop: Header=BB2_2676 Depth=2
	s_delay_alu instid0(SALU_CYCLE_1) | instskip(SKIP_3) | instid1(VALU_DEP_1)
	s_or_b32 exec_lo, exec_lo, s25
	v_lshrrev_b32_e32 v10, 16, v11
	s_mov_b32 s7, 0
	s_mov_b32 s26, exec_lo
                                        ; implicit-def: $sgpr25
	v_and_b32_e32 v97, 0xff, v10
	s_delay_alu instid0(VALU_DEP_1)
	v_cmpx_lt_i16_e32 0x7f, v97
	s_xor_b32 s26, exec_lo, s26
	s_cbranch_execnz .LBB2_3155
; %bb.2758:                             ;   in Loop: Header=BB2_2676 Depth=2
	s_or_saveexec_b32 s26, s26
	v_mov_b32_e32 v96, s25
	s_xor_b32 exec_lo, exec_lo, s26
	s_cbranch_execnz .LBB2_3158
.LBB2_2759:                             ;   in Loop: Header=BB2_2676 Depth=2
	s_or_b32 exec_lo, exec_lo, s26
	s_and_saveexec_b32 s25, s7
	s_cbranch_execz .LBB2_2761
.LBB2_2760:                             ;   in Loop: Header=BB2_2676 Depth=2
	v_bfe_u32 v96, v11, 16, 3
	v_lshlrev_b32_e32 v100, 8, v11
	s_delay_alu instid0(VALU_DEP_2) | instskip(NEXT) | instid1(VALU_DEP_1)
	v_clz_i32_u32_e32 v97, v96
	v_min_u32_e32 v97, 32, v97
	s_delay_alu instid0(VALU_DEP_1) | instskip(SKIP_1) | instid1(VALU_DEP_2)
	v_subrev_nc_u32_e32 v98, 28, v97
	v_sub_nc_u32_e32 v97, 29, v97
	v_lshlrev_b32_e32 v10, v98, v10
	v_bfe_u32 v98, v11, 19, 4
	s_delay_alu instid0(VALU_DEP_1) | instskip(NEXT) | instid1(VALU_DEP_3)
	v_cmp_eq_u32_e32 vcc_lo, 0, v98
	v_dual_cndmask_b32 v97, v98, v97 :: v_dual_and_b32 v10, 7, v10
	s_delay_alu instid0(VALU_DEP_1) | instskip(SKIP_1) | instid1(VALU_DEP_3)
	v_cndmask_b32_e32 v10, v96, v10, vcc_lo
	v_and_b32_e32 v96, 0x80000000, v100
	v_lshl_add_u32 v97, v97, 23, 0x3b800000
	s_delay_alu instid0(VALU_DEP_3) | instskip(NEXT) | instid1(VALU_DEP_1)
	v_lshlrev_b32_e32 v10, 20, v10
	v_or3_b32 v96, v96, v97, v10
.LBB2_2761:                             ;   in Loop: Header=BB2_2676 Depth=2
	s_or_b32 exec_lo, exec_lo, s25
	s_delay_alu instid0(VALU_DEP_1) | instskip(SKIP_2) | instid1(VALU_DEP_2)
	v_mul_f32_e32 v10, s24, v96
	v_mov_b32_e32 v114, 0x80
	s_mov_b32 s25, exec_lo
	v_and_b32_e32 v96, 0x7f800000, v10
	s_delay_alu instid0(VALU_DEP_1)
	v_cmpx_ne_u32_e32 0x7f800000, v96
	s_cbranch_execz .LBB2_2769
; %bb.2762:                             ;   in Loop: Header=BB2_2676 Depth=2
	v_mov_b32_e32 v114, 0
	s_mov_b32 s26, exec_lo
	v_cmpx_ne_u32_e32 0, v10
	s_cbranch_execz .LBB2_2768
; %bb.2763:                             ;   in Loop: Header=BB2_2676 Depth=2
	v_bfe_u32 v96, v10, 23, 8
	v_and_b32_e32 v97, 0x7fffff, v10
	s_delay_alu instid0(VALU_DEP_2) | instskip(SKIP_1) | instid1(VALU_DEP_3)
	v_sub_nc_u32_e32 v98, 0x78, v96
	v_cmp_gt_u32_e32 vcc_lo, 0x79, v96
	v_or_b32_e32 v100, 0x800000, v97
	s_delay_alu instid0(VALU_DEP_3) | instskip(SKIP_1) | instid1(VALU_DEP_3)
	v_cndmask_b32_e32 v98, 0, v98, vcc_lo
	v_cmp_eq_u32_e32 vcc_lo, 0, v96
	v_dual_cndmask_b32 v97, v100, v97 :: v_dual_add_nc_u32 v96, 0xffffff89, v96
	s_delay_alu instid0(VALU_DEP_3) | instskip(NEXT) | instid1(VALU_DEP_2)
	v_cndmask_b32_e64 v98, v98, 0x77, vcc_lo
	v_cndmask_b32_e64 v96, v96, 0xffffff8a, vcc_lo
	s_delay_alu instid0(VALU_DEP_2) | instskip(SKIP_2) | instid1(VALU_DEP_4)
	v_lshrrev_b32_e32 v101, v98, v97
	v_lshl_add_u32 v100, 0x100000, v98, -1
	v_lshlrev_b32_e64 v103, v98, 0x80000
	v_add_nc_u32_e32 v98, v98, v96
	s_delay_alu instid0(VALU_DEP_4) | instskip(NEXT) | instid1(VALU_DEP_4)
	v_bfe_u32 v102, v101, 20, 1
	v_and_b32_e32 v97, v100, v97
	s_delay_alu instid0(VALU_DEP_2) | instskip(NEXT) | instid1(VALU_DEP_2)
	v_add_nc_u32_e32 v100, -1, v102
	v_cmp_eq_u32_e64 s7, v97, v103
	s_delay_alu instid0(VALU_DEP_1) | instskip(SKIP_2) | instid1(VALU_DEP_2)
	v_cndmask_b32_e64 v97, 0, v100, s7
	v_lshrrev_b32_e32 v100, 23, v101
	s_mov_b32 s7, exec_lo
	v_add_nc_u32_e32 v97, v97, v101
	s_delay_alu instid0(VALU_DEP_2) | instskip(NEXT) | instid1(VALU_DEP_2)
	v_xor_b32_e32 v100, 1, v100
	v_and_b32_e32 v96, 0xfffff, v97
	s_delay_alu instid0(VALU_DEP_1) | instskip(NEXT) | instid1(VALU_DEP_3)
	v_add_nc_u32_e32 v97, v96, v101
                                        ; implicit-def: $vgpr96
	v_cmpx_ne_u32_e64 v98, v100
	s_xor_b32 s7, exec_lo, s7
; %bb.2764:                             ;   in Loop: Header=BB2_2676 Depth=2
	s_delay_alu instid0(VALU_DEP_2) | instskip(SKIP_2) | instid1(VALU_DEP_2)
	v_cmp_lt_u32_e32 vcc_lo, 0xffffff, v97
	v_sub_nc_u32_e32 v96, v98, v100
	v_cndmask_b32_e64 v98, 0, 1, vcc_lo
	v_add_co_ci_u32_e32 v96, vcc_lo, 0, v96, vcc_lo
	s_delay_alu instid0(VALU_DEP_2)
	v_lshrrev_b32_e32 v97, v98, v97
; %bb.2765:                             ;   in Loop: Header=BB2_2676 Depth=2
	s_and_not1_saveexec_b32 s7, s7
; %bb.2766:                             ;   in Loop: Header=BB2_2676 Depth=2
	s_delay_alu instid0(VALU_DEP_1)
	v_bfe_u32 v96, v97, 23, 1
; %bb.2767:                             ;   in Loop: Header=BB2_2676 Depth=2
	s_or_b32 exec_lo, exec_lo, s7
	v_lshrrev_b32_e32 v97, 20, v97
	s_delay_alu instid0(VALU_DEP_2) | instskip(SKIP_2) | instid1(VALU_DEP_3)
	v_min_i32_e32 v98, 15, v96
	v_cmp_gt_i32_e32 vcc_lo, 16, v96
	v_lshrrev_b32_e32 v10, 24, v10
	v_dual_cndmask_b32 v97, 7, v97 :: v_dual_lshlrev_b32 v98, 3, v98
	s_delay_alu instid0(VALU_DEP_2) | instskip(NEXT) | instid1(VALU_DEP_2)
	v_and_b32_e32 v10, 0x80, v10
	v_and_b32_e32 v98, 0xf8, v98
	s_delay_alu instid0(VALU_DEP_3) | instskip(SKIP_1) | instid1(VALU_DEP_2)
	v_and_b32_e32 v100, 7, v97
	v_or_b32_e32 v96, v96, v97
	v_or3_b32 v10, v98, v10, v100
	s_delay_alu instid0(VALU_DEP_2) | instskip(NEXT) | instid1(VALU_DEP_2)
	v_cmp_ne_u32_e32 vcc_lo, 0, v96
	v_cndmask_b32_e32 v114, 0, v10, vcc_lo
.LBB2_2768:                             ;   in Loop: Header=BB2_2676 Depth=2
	s_or_b32 exec_lo, exec_lo, s26
.LBB2_2769:                             ;   in Loop: Header=BB2_2676 Depth=2
	s_delay_alu instid0(SALU_CYCLE_1) | instskip(SKIP_3) | instid1(VALU_DEP_1)
	s_or_b32 exec_lo, exec_lo, s25
	v_lshrrev_b32_e32 v10, 24, v11
	s_mov_b32 s7, 0
	s_mov_b32 s26, exec_lo
                                        ; implicit-def: $sgpr25
	v_cmpx_lt_i16_e32 0x7f, v10
	s_xor_b32 s26, exec_lo, s26
	s_cbranch_execnz .LBB2_3159
; %bb.2770:                             ;   in Loop: Header=BB2_2676 Depth=2
	s_or_saveexec_b32 s26, s26
	v_mov_b32_e32 v96, s25
	s_xor_b32 exec_lo, exec_lo, s26
	s_cbranch_execnz .LBB2_3162
.LBB2_2771:                             ;   in Loop: Header=BB2_2676 Depth=2
	s_or_b32 exec_lo, exec_lo, s26
	s_and_saveexec_b32 s25, s7
	s_cbranch_execz .LBB2_2773
.LBB2_2772:                             ;   in Loop: Header=BB2_2676 Depth=2
	v_bfe_u32 v96, v11, 24, 3
	s_delay_alu instid0(VALU_DEP_1) | instskip(NEXT) | instid1(VALU_DEP_1)
	v_clz_i32_u32_e32 v97, v96
	v_min_u32_e32 v97, 32, v97
	s_delay_alu instid0(VALU_DEP_1) | instskip(SKIP_1) | instid1(VALU_DEP_2)
	v_subrev_nc_u32_e32 v98, 28, v97
	v_sub_nc_u32_e32 v97, 29, v97
	v_lshlrev_b32_e32 v10, v98, v10
	v_bfe_u32 v98, v11, 27, 4
	v_and_b32_e32 v11, 0x80000000, v11
	s_delay_alu instid0(VALU_DEP_2) | instskip(NEXT) | instid1(VALU_DEP_4)
	v_cmp_eq_u32_e32 vcc_lo, 0, v98
	v_dual_cndmask_b32 v97, v98, v97 :: v_dual_and_b32 v10, 7, v10
	s_delay_alu instid0(VALU_DEP_1) | instskip(NEXT) | instid1(VALU_DEP_2)
	v_cndmask_b32_e32 v10, v96, v10, vcc_lo
	v_lshl_add_u32 v96, v97, 23, 0x3b800000
	s_delay_alu instid0(VALU_DEP_2) | instskip(NEXT) | instid1(VALU_DEP_1)
	v_lshlrev_b32_e32 v10, 20, v10
	v_or3_b32 v96, v11, v96, v10
.LBB2_2773:                             ;   in Loop: Header=BB2_2676 Depth=2
	s_or_b32 exec_lo, exec_lo, s25
	s_delay_alu instid0(VALU_DEP_1) | instskip(SKIP_1) | instid1(VALU_DEP_1)
	v_dual_mul_f32 v10, s24, v96 :: v_dual_mov_b32 v117, 0x8000
	s_mov_b32 s25, exec_lo
	v_and_b32_e32 v11, 0x7f800000, v10
	s_delay_alu instid0(VALU_DEP_1)
	v_cmpx_ne_u32_e32 0x7f800000, v11
	s_cbranch_execz .LBB2_2781
; %bb.2774:                             ;   in Loop: Header=BB2_2676 Depth=2
	v_mov_b32_e32 v117, 0
	s_mov_b32 s26, exec_lo
	v_cmpx_ne_u32_e32 0, v10
	s_cbranch_execz .LBB2_2780
; %bb.2775:                             ;   in Loop: Header=BB2_2676 Depth=2
	v_bfe_u32 v11, v10, 23, 8
	s_delay_alu instid0(VALU_DEP_1) | instskip(SKIP_1) | instid1(VALU_DEP_2)
	v_sub_nc_u32_e32 v97, 0x78, v11
	v_cmp_gt_u32_e32 vcc_lo, 0x79, v11
	v_dual_cndmask_b32 v97, 0, v97 :: v_dual_and_b32 v96, 0x7fffff, v10
	s_delay_alu instid0(VALU_DEP_1) | instskip(SKIP_2) | instid1(VALU_DEP_4)
	v_or_b32_e32 v98, 0x800000, v96
	v_cmp_eq_u32_e32 vcc_lo, 0, v11
	v_add_nc_u32_e32 v11, 0xffffff89, v11
	v_cndmask_b32_e64 v97, v97, 0x77, vcc_lo
	s_delay_alu instid0(VALU_DEP_4) | instskip(NEXT) | instid1(VALU_DEP_3)
	v_cndmask_b32_e32 v96, v98, v96, vcc_lo
	v_cndmask_b32_e64 v11, v11, 0xffffff8a, vcc_lo
	s_delay_alu instid0(VALU_DEP_3) | instskip(NEXT) | instid1(VALU_DEP_3)
	v_lshl_add_u32 v98, 0x100000, v97, -1
	v_lshrrev_b32_e32 v100, v97, v96
	v_lshlrev_b32_e64 v102, v97, 0x80000
	s_delay_alu instid0(VALU_DEP_4) | instskip(NEXT) | instid1(VALU_DEP_4)
	v_add_nc_u32_e32 v97, v97, v11
	v_and_b32_e32 v96, v98, v96
	s_delay_alu instid0(VALU_DEP_4) | instskip(NEXT) | instid1(VALU_DEP_2)
	v_bfe_u32 v101, v100, 20, 1
	v_cmp_eq_u32_e64 s7, v96, v102
	s_delay_alu instid0(VALU_DEP_2) | instskip(NEXT) | instid1(VALU_DEP_1)
	v_add_nc_u32_e32 v98, -1, v101
	v_cndmask_b32_e64 v96, 0, v98, s7
	v_lshrrev_b32_e32 v98, 23, v100
	s_mov_b32 s7, exec_lo
	s_delay_alu instid0(VALU_DEP_2) | instskip(NEXT) | instid1(VALU_DEP_2)
	v_add_nc_u32_e32 v96, v96, v100
	v_xor_b32_e32 v98, 1, v98
	s_delay_alu instid0(VALU_DEP_2) | instskip(NEXT) | instid1(VALU_DEP_1)
	v_and_b32_e32 v11, 0xfffff, v96
	v_add_nc_u32_e32 v96, v11, v100
                                        ; implicit-def: $vgpr11
	s_delay_alu instid0(VALU_DEP_3)
	v_cmpx_ne_u32_e64 v97, v98
	s_xor_b32 s7, exec_lo, s7
; %bb.2776:                             ;   in Loop: Header=BB2_2676 Depth=2
	s_delay_alu instid0(VALU_DEP_2) | instskip(SKIP_2) | instid1(VALU_DEP_2)
	v_cmp_lt_u32_e32 vcc_lo, 0xffffff, v96
	v_sub_nc_u32_e32 v11, v97, v98
	v_cndmask_b32_e64 v97, 0, 1, vcc_lo
	v_add_co_ci_u32_e32 v11, vcc_lo, 0, v11, vcc_lo
	s_delay_alu instid0(VALU_DEP_2)
	v_lshrrev_b32_e32 v96, v97, v96
; %bb.2777:                             ;   in Loop: Header=BB2_2676 Depth=2
	s_and_not1_saveexec_b32 s7, s7
; %bb.2778:                             ;   in Loop: Header=BB2_2676 Depth=2
	s_delay_alu instid0(VALU_DEP_1)
	v_bfe_u32 v11, v96, 23, 1
; %bb.2779:                             ;   in Loop: Header=BB2_2676 Depth=2
	s_or_b32 exec_lo, exec_lo, s7
	v_lshrrev_b32_e32 v96, 20, v96
	s_delay_alu instid0(VALU_DEP_2) | instskip(SKIP_2) | instid1(VALU_DEP_2)
	v_cmp_gt_i32_e32 vcc_lo, 16, v11
	v_min_i32_e32 v97, 15, v11
	v_lshrrev_b32_e32 v10, 24, v10
	v_dual_cndmask_b32 v96, 7, v96 :: v_dual_lshlrev_b32 v97, 3, v97
	s_delay_alu instid0(VALU_DEP_2) | instskip(NEXT) | instid1(VALU_DEP_2)
	v_and_b32_e32 v10, 0x80, v10
	v_or_b32_e32 v11, v11, v96
	s_delay_alu instid0(VALU_DEP_3) | instskip(NEXT) | instid1(VALU_DEP_2)
	v_and_b32_e32 v97, 0xf8, v97
	v_cmp_ne_u32_e32 vcc_lo, 0, v11
	v_and_b32_e32 v98, 7, v96
	s_delay_alu instid0(VALU_DEP_1) | instskip(NEXT) | instid1(VALU_DEP_1)
	v_or3_b32 v10, v10, v97, v98
	v_lshlrev_b32_e32 v10, 8, v10
	s_delay_alu instid0(VALU_DEP_1)
	v_cndmask_b32_e32 v117, 0, v10, vcc_lo
.LBB2_2780:                             ;   in Loop: Header=BB2_2676 Depth=2
	s_or_b32 exec_lo, exec_lo, s26
.LBB2_2781:                             ;   in Loop: Header=BB2_2676 Depth=2
	s_delay_alu instid0(SALU_CYCLE_1) | instskip(SKIP_3) | instid1(VALU_DEP_1)
	s_or_b32 exec_lo, exec_lo, s25
	v_and_b32_e32 v11, 0xff, v12
	s_mov_b32 s7, 0
	s_mov_b32 s26, exec_lo
                                        ; implicit-def: $sgpr25
	v_cmpx_lt_i16_e32 0x7f, v11
	s_xor_b32 s26, exec_lo, s26
	s_cbranch_execnz .LBB2_3163
; %bb.2782:                             ;   in Loop: Header=BB2_2676 Depth=2
	s_or_saveexec_b32 s26, s26
	v_mov_b32_e32 v10, s25
	s_xor_b32 exec_lo, exec_lo, s26
	s_cbranch_execnz .LBB2_3166
.LBB2_2783:                             ;   in Loop: Header=BB2_2676 Depth=2
	s_or_b32 exec_lo, exec_lo, s26
	s_and_saveexec_b32 s25, s7
	s_cbranch_execz .LBB2_2785
.LBB2_2784:                             ;   in Loop: Header=BB2_2676 Depth=2
	v_bfe_u32 v97, v12, 3, 4
	v_lshlrev_b32_e32 v98, 24, v12
	s_delay_alu instid0(VALU_DEP_2) | instskip(SKIP_1) | instid1(VALU_DEP_1)
	v_cmp_eq_u32_e32 vcc_lo, 0, v97
	v_and_b32_e32 v10, 7, v12
	v_clz_i32_u32_e32 v11, v10
	s_delay_alu instid0(VALU_DEP_1) | instskip(NEXT) | instid1(VALU_DEP_1)
	v_min_u32_e32 v11, 32, v11
	v_subrev_nc_u32_e32 v96, 28, v11
	v_sub_nc_u32_e32 v11, 29, v11
	s_delay_alu instid0(VALU_DEP_1) | instskip(NEXT) | instid1(VALU_DEP_1)
	v_dual_cndmask_b32 v11, v97, v11 :: v_dual_lshlrev_b32 v96, v96, v12
	v_and_b32_e32 v96, 7, v96
	s_delay_alu instid0(VALU_DEP_2) | instskip(NEXT) | instid1(VALU_DEP_2)
	v_lshl_add_u32 v11, v11, 23, 0x3b800000
	v_cndmask_b32_e32 v10, v10, v96, vcc_lo
	v_and_b32_e32 v96, 0x80000000, v98
	s_delay_alu instid0(VALU_DEP_2) | instskip(NEXT) | instid1(VALU_DEP_1)
	v_lshlrev_b32_e32 v10, 20, v10
	v_or3_b32 v10, v96, v11, v10
.LBB2_2785:                             ;   in Loop: Header=BB2_2676 Depth=2
	s_or_b32 exec_lo, exec_lo, s25
	s_delay_alu instid0(VALU_DEP_1) | instskip(SKIP_2) | instid1(VALU_DEP_2)
	v_mul_f32_e32 v10, s24, v10
	v_mov_b32_e32 v112, 0x80
	s_mov_b32 s25, exec_lo
	v_and_b32_e32 v11, 0x7f800000, v10
	s_delay_alu instid0(VALU_DEP_1)
	v_cmpx_ne_u32_e32 0x7f800000, v11
	s_cbranch_execz .LBB2_2793
; %bb.2786:                             ;   in Loop: Header=BB2_2676 Depth=2
	v_mov_b32_e32 v112, 0
	s_mov_b32 s26, exec_lo
	v_cmpx_ne_u32_e32 0, v10
	s_cbranch_execz .LBB2_2792
; %bb.2787:                             ;   in Loop: Header=BB2_2676 Depth=2
	v_bfe_u32 v11, v10, 23, 8
	s_delay_alu instid0(VALU_DEP_1) | instskip(SKIP_1) | instid1(VALU_DEP_2)
	v_sub_nc_u32_e32 v97, 0x78, v11
	v_cmp_gt_u32_e32 vcc_lo, 0x79, v11
	v_dual_cndmask_b32 v97, 0, v97 :: v_dual_and_b32 v96, 0x7fffff, v10
	s_delay_alu instid0(VALU_DEP_1) | instskip(SKIP_2) | instid1(VALU_DEP_4)
	v_or_b32_e32 v98, 0x800000, v96
	v_cmp_eq_u32_e32 vcc_lo, 0, v11
	v_add_nc_u32_e32 v11, 0xffffff89, v11
	v_cndmask_b32_e64 v97, v97, 0x77, vcc_lo
	s_delay_alu instid0(VALU_DEP_4) | instskip(NEXT) | instid1(VALU_DEP_3)
	v_cndmask_b32_e32 v96, v98, v96, vcc_lo
	v_cndmask_b32_e64 v11, v11, 0xffffff8a, vcc_lo
	s_delay_alu instid0(VALU_DEP_3) | instskip(NEXT) | instid1(VALU_DEP_3)
	v_lshl_add_u32 v98, 0x100000, v97, -1
	v_lshrrev_b32_e32 v100, v97, v96
	v_lshlrev_b32_e64 v102, v97, 0x80000
	s_delay_alu instid0(VALU_DEP_4) | instskip(NEXT) | instid1(VALU_DEP_4)
	v_add_nc_u32_e32 v97, v97, v11
	v_and_b32_e32 v96, v98, v96
	s_delay_alu instid0(VALU_DEP_4) | instskip(NEXT) | instid1(VALU_DEP_2)
	v_bfe_u32 v101, v100, 20, 1
	v_cmp_eq_u32_e64 s7, v96, v102
	s_delay_alu instid0(VALU_DEP_2) | instskip(NEXT) | instid1(VALU_DEP_1)
	v_add_nc_u32_e32 v98, -1, v101
	v_cndmask_b32_e64 v96, 0, v98, s7
	v_lshrrev_b32_e32 v98, 23, v100
	s_mov_b32 s7, exec_lo
	s_delay_alu instid0(VALU_DEP_2) | instskip(NEXT) | instid1(VALU_DEP_2)
	v_add_nc_u32_e32 v96, v96, v100
	v_xor_b32_e32 v98, 1, v98
	s_delay_alu instid0(VALU_DEP_2) | instskip(NEXT) | instid1(VALU_DEP_1)
	v_and_b32_e32 v11, 0xfffff, v96
	v_add_nc_u32_e32 v96, v11, v100
                                        ; implicit-def: $vgpr11
	s_delay_alu instid0(VALU_DEP_3)
	v_cmpx_ne_u32_e64 v97, v98
	s_xor_b32 s7, exec_lo, s7
; %bb.2788:                             ;   in Loop: Header=BB2_2676 Depth=2
	s_delay_alu instid0(VALU_DEP_2) | instskip(SKIP_2) | instid1(VALU_DEP_2)
	v_cmp_lt_u32_e32 vcc_lo, 0xffffff, v96
	v_sub_nc_u32_e32 v11, v97, v98
	v_cndmask_b32_e64 v97, 0, 1, vcc_lo
	v_add_co_ci_u32_e32 v11, vcc_lo, 0, v11, vcc_lo
	s_delay_alu instid0(VALU_DEP_2)
	v_lshrrev_b32_e32 v96, v97, v96
; %bb.2789:                             ;   in Loop: Header=BB2_2676 Depth=2
	s_and_not1_saveexec_b32 s7, s7
; %bb.2790:                             ;   in Loop: Header=BB2_2676 Depth=2
	s_delay_alu instid0(VALU_DEP_1)
	v_bfe_u32 v11, v96, 23, 1
; %bb.2791:                             ;   in Loop: Header=BB2_2676 Depth=2
	s_or_b32 exec_lo, exec_lo, s7
	v_lshrrev_b32_e32 v96, 20, v96
	s_delay_alu instid0(VALU_DEP_2) | instskip(SKIP_2) | instid1(VALU_DEP_4)
	v_cmp_gt_i32_e32 vcc_lo, 16, v11
	v_lshrrev_b32_e32 v10, 24, v10
	v_min_i32_e32 v97, 15, v11
	v_cndmask_b32_e32 v96, 7, v96, vcc_lo
	s_delay_alu instid0(VALU_DEP_3) | instskip(NEXT) | instid1(VALU_DEP_3)
	v_and_b32_e32 v10, 0x80, v10
	v_lshlrev_b32_e32 v97, 3, v97
	s_delay_alu instid0(VALU_DEP_3) | instskip(SKIP_1) | instid1(VALU_DEP_2)
	v_and_b32_e32 v98, 7, v96
	v_or_b32_e32 v11, v11, v96
	v_or3_b32 v10, v97, v10, v98
	s_delay_alu instid0(VALU_DEP_2) | instskip(NEXT) | instid1(VALU_DEP_2)
	v_cmp_ne_u32_e32 vcc_lo, 0, v11
	v_cndmask_b32_e32 v112, 0, v10, vcc_lo
.LBB2_2792:                             ;   in Loop: Header=BB2_2676 Depth=2
	s_or_b32 exec_lo, exec_lo, s26
.LBB2_2793:                             ;   in Loop: Header=BB2_2676 Depth=2
	s_delay_alu instid0(SALU_CYCLE_1) | instskip(SKIP_3) | instid1(VALU_DEP_1)
	s_or_b32 exec_lo, exec_lo, s25
	v_lshrrev_b16 v10, 8, v12
	s_mov_b32 s7, 0
	s_mov_b32 s26, exec_lo
                                        ; implicit-def: $sgpr25
	v_cmpx_lt_i16_e32 0x7f, v10
	s_xor_b32 s26, exec_lo, s26
	s_cbranch_execnz .LBB2_3167
; %bb.2794:                             ;   in Loop: Header=BB2_2676 Depth=2
	s_or_saveexec_b32 s26, s26
	v_mov_b32_e32 v11, s25
	s_xor_b32 exec_lo, exec_lo, s26
	s_cbranch_execnz .LBB2_3170
.LBB2_2795:                             ;   in Loop: Header=BB2_2676 Depth=2
	s_or_b32 exec_lo, exec_lo, s26
	s_and_saveexec_b32 s25, s7
	s_cbranch_execz .LBB2_2797
.LBB2_2796:                             ;   in Loop: Header=BB2_2676 Depth=2
	v_and_b32_e32 v11, 0xffff, v10
	v_lshlrev_b32_e32 v10, 24, v10
	s_delay_alu instid0(VALU_DEP_2) | instskip(NEXT) | instid1(VALU_DEP_2)
	v_and_b32_e32 v96, 7, v11
	v_and_b32_e32 v10, 0x80000000, v10
	s_delay_alu instid0(VALU_DEP_2) | instskip(NEXT) | instid1(VALU_DEP_1)
	v_clz_i32_u32_e32 v97, v96
	v_min_u32_e32 v97, 32, v97
	s_delay_alu instid0(VALU_DEP_1) | instskip(SKIP_1) | instid1(VALU_DEP_2)
	v_subrev_nc_u32_e32 v98, 28, v97
	v_sub_nc_u32_e32 v97, 29, v97
	v_lshlrev_b32_e32 v98, v98, v11
	v_bfe_u32 v11, v11, 3, 4
	s_delay_alu instid0(VALU_DEP_2) | instskip(NEXT) | instid1(VALU_DEP_2)
	v_and_b32_e32 v98, 7, v98
	v_cmp_eq_u32_e32 vcc_lo, 0, v11
	s_delay_alu instid0(VALU_DEP_2) | instskip(NEXT) | instid1(VALU_DEP_1)
	v_dual_cndmask_b32 v11, v11, v97 :: v_dual_cndmask_b32 v96, v96, v98
	v_lshl_add_u32 v11, v11, 23, 0x3b800000
	s_delay_alu instid0(VALU_DEP_2) | instskip(NEXT) | instid1(VALU_DEP_1)
	v_lshlrev_b32_e32 v96, 20, v96
	v_or3_b32 v11, v10, v11, v96
.LBB2_2797:                             ;   in Loop: Header=BB2_2676 Depth=2
	s_or_b32 exec_lo, exec_lo, s25
	s_delay_alu instid0(VALU_DEP_1) | instskip(SKIP_2) | instid1(VALU_DEP_2)
	v_mul_f32_e32 v10, s24, v11
	v_mov_b32_e32 v102, 0x80
	s_mov_b32 s25, exec_lo
	v_and_b32_e32 v11, 0x7f800000, v10
	s_delay_alu instid0(VALU_DEP_1)
	v_cmpx_ne_u32_e32 0x7f800000, v11
	s_cbranch_execz .LBB2_2805
; %bb.2798:                             ;   in Loop: Header=BB2_2676 Depth=2
	v_mov_b32_e32 v102, 0
	s_mov_b32 s26, exec_lo
	v_cmpx_ne_u32_e32 0, v10
	s_cbranch_execz .LBB2_2804
; %bb.2799:                             ;   in Loop: Header=BB2_2676 Depth=2
	v_bfe_u32 v11, v10, 23, 8
	s_delay_alu instid0(VALU_DEP_1) | instskip(SKIP_1) | instid1(VALU_DEP_2)
	v_sub_nc_u32_e32 v97, 0x78, v11
	v_cmp_gt_u32_e32 vcc_lo, 0x79, v11
	v_dual_cndmask_b32 v97, 0, v97 :: v_dual_and_b32 v96, 0x7fffff, v10
	s_delay_alu instid0(VALU_DEP_1) | instskip(SKIP_2) | instid1(VALU_DEP_4)
	v_or_b32_e32 v98, 0x800000, v96
	v_cmp_eq_u32_e32 vcc_lo, 0, v11
	v_add_nc_u32_e32 v11, 0xffffff89, v11
	v_cndmask_b32_e64 v97, v97, 0x77, vcc_lo
	s_delay_alu instid0(VALU_DEP_4) | instskip(NEXT) | instid1(VALU_DEP_3)
	v_cndmask_b32_e32 v96, v98, v96, vcc_lo
	v_cndmask_b32_e64 v11, v11, 0xffffff8a, vcc_lo
	s_delay_alu instid0(VALU_DEP_3) | instskip(NEXT) | instid1(VALU_DEP_3)
	v_lshl_add_u32 v98, 0x100000, v97, -1
	v_lshrrev_b32_e32 v100, v97, v96
	v_lshlrev_b32_e64 v102, v97, 0x80000
	s_delay_alu instid0(VALU_DEP_4) | instskip(NEXT) | instid1(VALU_DEP_4)
	v_add_nc_u32_e32 v97, v97, v11
	v_and_b32_e32 v96, v98, v96
	s_delay_alu instid0(VALU_DEP_4) | instskip(NEXT) | instid1(VALU_DEP_2)
	v_bfe_u32 v101, v100, 20, 1
	v_cmp_eq_u32_e64 s7, v96, v102
	s_delay_alu instid0(VALU_DEP_2) | instskip(NEXT) | instid1(VALU_DEP_1)
	v_add_nc_u32_e32 v98, -1, v101
	v_cndmask_b32_e64 v96, 0, v98, s7
	v_lshrrev_b32_e32 v98, 23, v100
	s_mov_b32 s7, exec_lo
	s_delay_alu instid0(VALU_DEP_2) | instskip(NEXT) | instid1(VALU_DEP_2)
	v_add_nc_u32_e32 v96, v96, v100
	v_xor_b32_e32 v98, 1, v98
	s_delay_alu instid0(VALU_DEP_2) | instskip(NEXT) | instid1(VALU_DEP_1)
	v_and_b32_e32 v11, 0xfffff, v96
	v_add_nc_u32_e32 v96, v11, v100
                                        ; implicit-def: $vgpr11
	s_delay_alu instid0(VALU_DEP_3)
	v_cmpx_ne_u32_e64 v97, v98
	s_xor_b32 s7, exec_lo, s7
; %bb.2800:                             ;   in Loop: Header=BB2_2676 Depth=2
	s_delay_alu instid0(VALU_DEP_2) | instskip(SKIP_2) | instid1(VALU_DEP_2)
	v_cmp_lt_u32_e32 vcc_lo, 0xffffff, v96
	v_sub_nc_u32_e32 v11, v97, v98
	v_cndmask_b32_e64 v97, 0, 1, vcc_lo
	v_add_co_ci_u32_e32 v11, vcc_lo, 0, v11, vcc_lo
	s_delay_alu instid0(VALU_DEP_2)
	v_lshrrev_b32_e32 v96, v97, v96
; %bb.2801:                             ;   in Loop: Header=BB2_2676 Depth=2
	s_and_not1_saveexec_b32 s7, s7
; %bb.2802:                             ;   in Loop: Header=BB2_2676 Depth=2
	s_delay_alu instid0(VALU_DEP_1)
	v_bfe_u32 v11, v96, 23, 1
; %bb.2803:                             ;   in Loop: Header=BB2_2676 Depth=2
	s_or_b32 exec_lo, exec_lo, s7
	v_lshrrev_b32_e32 v96, 20, v96
	s_delay_alu instid0(VALU_DEP_2) | instskip(SKIP_2) | instid1(VALU_DEP_4)
	v_cmp_gt_i32_e32 vcc_lo, 16, v11
	v_lshrrev_b32_e32 v10, 24, v10
	v_min_i32_e32 v97, 15, v11
	v_cndmask_b32_e32 v96, 7, v96, vcc_lo
	s_delay_alu instid0(VALU_DEP_3) | instskip(NEXT) | instid1(VALU_DEP_3)
	v_and_b32_e32 v10, 0x80, v10
	v_lshlrev_b32_e32 v97, 3, v97
	s_delay_alu instid0(VALU_DEP_3) | instskip(SKIP_1) | instid1(VALU_DEP_2)
	v_and_b32_e32 v98, 7, v96
	v_or_b32_e32 v11, v11, v96
	v_or3_b32 v10, v97, v10, v98
	s_delay_alu instid0(VALU_DEP_2) | instskip(NEXT) | instid1(VALU_DEP_2)
	v_cmp_ne_u32_e32 vcc_lo, 0, v11
	v_cndmask_b32_e32 v102, 0, v10, vcc_lo
.LBB2_2804:                             ;   in Loop: Header=BB2_2676 Depth=2
	s_or_b32 exec_lo, exec_lo, s26
.LBB2_2805:                             ;   in Loop: Header=BB2_2676 Depth=2
	s_delay_alu instid0(SALU_CYCLE_1) | instskip(SKIP_3) | instid1(VALU_DEP_1)
	s_or_b32 exec_lo, exec_lo, s25
	v_lshrrev_b32_e32 v10, 16, v12
	s_mov_b32 s7, 0
	s_mov_b32 s26, exec_lo
                                        ; implicit-def: $sgpr25
	v_and_b32_e32 v96, 0xff, v10
	s_delay_alu instid0(VALU_DEP_1)
	v_cmpx_lt_i16_e32 0x7f, v96
	s_xor_b32 s26, exec_lo, s26
	s_cbranch_execnz .LBB2_3171
; %bb.2806:                             ;   in Loop: Header=BB2_2676 Depth=2
	s_or_saveexec_b32 s26, s26
	v_mov_b32_e32 v11, s25
	s_xor_b32 exec_lo, exec_lo, s26
	s_cbranch_execnz .LBB2_3174
.LBB2_2807:                             ;   in Loop: Header=BB2_2676 Depth=2
	s_or_b32 exec_lo, exec_lo, s26
	s_and_saveexec_b32 s25, s7
	s_cbranch_execz .LBB2_2809
.LBB2_2808:                             ;   in Loop: Header=BB2_2676 Depth=2
	v_bfe_u32 v11, v12, 16, 3
	v_lshlrev_b32_e32 v98, 8, v12
	s_delay_alu instid0(VALU_DEP_2) | instskip(NEXT) | instid1(VALU_DEP_1)
	v_clz_i32_u32_e32 v96, v11
	v_min_u32_e32 v96, 32, v96
	s_delay_alu instid0(VALU_DEP_1) | instskip(SKIP_1) | instid1(VALU_DEP_2)
	v_subrev_nc_u32_e32 v97, 28, v96
	v_sub_nc_u32_e32 v96, 29, v96
	v_lshlrev_b32_e32 v10, v97, v10
	v_bfe_u32 v97, v12, 19, 4
	s_delay_alu instid0(VALU_DEP_2) | instskip(NEXT) | instid1(VALU_DEP_2)
	v_and_b32_e32 v10, 7, v10
	v_cmp_eq_u32_e32 vcc_lo, 0, v97
	v_cndmask_b32_e32 v96, v97, v96, vcc_lo
	s_delay_alu instid0(VALU_DEP_3) | instskip(SKIP_1) | instid1(VALU_DEP_3)
	v_cndmask_b32_e32 v10, v11, v10, vcc_lo
	v_and_b32_e32 v11, 0x80000000, v98
	v_lshl_add_u32 v96, v96, 23, 0x3b800000
	s_delay_alu instid0(VALU_DEP_3) | instskip(NEXT) | instid1(VALU_DEP_1)
	v_lshlrev_b32_e32 v10, 20, v10
	v_or3_b32 v11, v11, v96, v10
.LBB2_2809:                             ;   in Loop: Header=BB2_2676 Depth=2
	s_or_b32 exec_lo, exec_lo, s25
	s_delay_alu instid0(VALU_DEP_1) | instskip(SKIP_1) | instid1(VALU_DEP_1)
	v_dual_mul_f32 v10, s24, v11 :: v_dual_mov_b32 v101, 0x80
	s_mov_b32 s25, exec_lo
	v_and_b32_e32 v11, 0x7f800000, v10
	s_delay_alu instid0(VALU_DEP_1)
	v_cmpx_ne_u32_e32 0x7f800000, v11
	s_cbranch_execz .LBB2_2817
; %bb.2810:                             ;   in Loop: Header=BB2_2676 Depth=2
	v_mov_b32_e32 v101, 0
	s_mov_b32 s26, exec_lo
	v_cmpx_ne_u32_e32 0, v10
	s_cbranch_execz .LBB2_2816
; %bb.2811:                             ;   in Loop: Header=BB2_2676 Depth=2
	v_bfe_u32 v11, v10, 23, 8
	s_delay_alu instid0(VALU_DEP_1) | instskip(SKIP_1) | instid1(VALU_DEP_2)
	v_sub_nc_u32_e32 v97, 0x78, v11
	v_cmp_gt_u32_e32 vcc_lo, 0x79, v11
	v_dual_cndmask_b32 v97, 0, v97 :: v_dual_and_b32 v96, 0x7fffff, v10
	s_delay_alu instid0(VALU_DEP_1) | instskip(SKIP_2) | instid1(VALU_DEP_4)
	v_or_b32_e32 v98, 0x800000, v96
	v_cmp_eq_u32_e32 vcc_lo, 0, v11
	v_add_nc_u32_e32 v11, 0xffffff89, v11
	v_cndmask_b32_e64 v97, v97, 0x77, vcc_lo
	s_delay_alu instid0(VALU_DEP_4) | instskip(NEXT) | instid1(VALU_DEP_3)
	v_cndmask_b32_e32 v96, v98, v96, vcc_lo
	v_cndmask_b32_e64 v11, v11, 0xffffff8a, vcc_lo
	s_delay_alu instid0(VALU_DEP_3) | instskip(NEXT) | instid1(VALU_DEP_3)
	v_lshl_add_u32 v98, 0x100000, v97, -1
	v_lshrrev_b32_e32 v100, v97, v96
	v_lshlrev_b32_e64 v103, v97, 0x80000
	s_delay_alu instid0(VALU_DEP_4) | instskip(NEXT) | instid1(VALU_DEP_4)
	v_add_nc_u32_e32 v97, v97, v11
	v_and_b32_e32 v96, v98, v96
	s_delay_alu instid0(VALU_DEP_4) | instskip(NEXT) | instid1(VALU_DEP_2)
	v_bfe_u32 v101, v100, 20, 1
	v_cmp_eq_u32_e64 s7, v96, v103
	s_delay_alu instid0(VALU_DEP_2) | instskip(NEXT) | instid1(VALU_DEP_1)
	v_add_nc_u32_e32 v98, -1, v101
	v_cndmask_b32_e64 v96, 0, v98, s7
	v_lshrrev_b32_e32 v98, 23, v100
	s_mov_b32 s7, exec_lo
	s_delay_alu instid0(VALU_DEP_2) | instskip(NEXT) | instid1(VALU_DEP_2)
	v_add_nc_u32_e32 v96, v96, v100
	v_xor_b32_e32 v98, 1, v98
	s_delay_alu instid0(VALU_DEP_2) | instskip(NEXT) | instid1(VALU_DEP_1)
	v_and_b32_e32 v11, 0xfffff, v96
	v_add_nc_u32_e32 v96, v11, v100
                                        ; implicit-def: $vgpr11
	s_delay_alu instid0(VALU_DEP_3)
	v_cmpx_ne_u32_e64 v97, v98
	s_xor_b32 s7, exec_lo, s7
; %bb.2812:                             ;   in Loop: Header=BB2_2676 Depth=2
	s_delay_alu instid0(VALU_DEP_2) | instskip(SKIP_2) | instid1(VALU_DEP_2)
	v_cmp_lt_u32_e32 vcc_lo, 0xffffff, v96
	v_sub_nc_u32_e32 v11, v97, v98
	v_cndmask_b32_e64 v97, 0, 1, vcc_lo
	v_add_co_ci_u32_e32 v11, vcc_lo, 0, v11, vcc_lo
	s_delay_alu instid0(VALU_DEP_2)
	v_lshrrev_b32_e32 v96, v97, v96
; %bb.2813:                             ;   in Loop: Header=BB2_2676 Depth=2
	s_and_not1_saveexec_b32 s7, s7
; %bb.2814:                             ;   in Loop: Header=BB2_2676 Depth=2
	s_delay_alu instid0(VALU_DEP_1)
	v_bfe_u32 v11, v96, 23, 1
; %bb.2815:                             ;   in Loop: Header=BB2_2676 Depth=2
	s_or_b32 exec_lo, exec_lo, s7
	v_lshrrev_b32_e32 v96, 20, v96
	s_delay_alu instid0(VALU_DEP_2) | instskip(SKIP_2) | instid1(VALU_DEP_2)
	v_cmp_gt_i32_e32 vcc_lo, 16, v11
	v_min_i32_e32 v97, 15, v11
	v_lshrrev_b32_e32 v10, 24, v10
	v_dual_cndmask_b32 v96, 7, v96 :: v_dual_lshlrev_b32 v97, 3, v97
	s_delay_alu instid0(VALU_DEP_2) | instskip(NEXT) | instid1(VALU_DEP_2)
	v_and_b32_e32 v10, 0x80, v10
	v_or_b32_e32 v11, v11, v96
	s_delay_alu instid0(VALU_DEP_1) | instskip(SKIP_1) | instid1(VALU_DEP_1)
	v_cmp_ne_u32_e32 vcc_lo, 0, v11
	v_and_b32_e32 v98, 7, v96
	v_or3_b32 v10, v97, v10, v98
	s_delay_alu instid0(VALU_DEP_1)
	v_cndmask_b32_e32 v101, 0, v10, vcc_lo
.LBB2_2816:                             ;   in Loop: Header=BB2_2676 Depth=2
	s_or_b32 exec_lo, exec_lo, s26
.LBB2_2817:                             ;   in Loop: Header=BB2_2676 Depth=2
	s_delay_alu instid0(SALU_CYCLE_1) | instskip(SKIP_3) | instid1(VALU_DEP_1)
	s_or_b32 exec_lo, exec_lo, s25
	v_lshrrev_b32_e32 v10, 24, v12
	s_mov_b32 s7, 0
	s_mov_b32 s26, exec_lo
                                        ; implicit-def: $sgpr25
	v_cmpx_lt_i16_e32 0x7f, v10
	s_xor_b32 s26, exec_lo, s26
	s_cbranch_execnz .LBB2_3175
; %bb.2818:                             ;   in Loop: Header=BB2_2676 Depth=2
	s_or_saveexec_b32 s26, s26
	v_mov_b32_e32 v11, s25
	s_xor_b32 exec_lo, exec_lo, s26
	s_cbranch_execnz .LBB2_3178
.LBB2_2819:                             ;   in Loop: Header=BB2_2676 Depth=2
	s_or_b32 exec_lo, exec_lo, s26
	s_and_saveexec_b32 s25, s7
	s_cbranch_execz .LBB2_2821
.LBB2_2820:                             ;   in Loop: Header=BB2_2676 Depth=2
	v_bfe_u32 v11, v12, 24, 3
	s_delay_alu instid0(VALU_DEP_1) | instskip(NEXT) | instid1(VALU_DEP_1)
	v_clz_i32_u32_e32 v96, v11
	v_min_u32_e32 v96, 32, v96
	s_delay_alu instid0(VALU_DEP_1) | instskip(SKIP_1) | instid1(VALU_DEP_2)
	v_subrev_nc_u32_e32 v97, 28, v96
	v_sub_nc_u32_e32 v96, 29, v96
	v_lshlrev_b32_e32 v10, v97, v10
	v_bfe_u32 v97, v12, 27, 4
	s_delay_alu instid0(VALU_DEP_2) | instskip(NEXT) | instid1(VALU_DEP_2)
	v_and_b32_e32 v10, 7, v10
	v_cmp_eq_u32_e32 vcc_lo, 0, v97
	v_cndmask_b32_e32 v96, v97, v96, vcc_lo
	s_delay_alu instid0(VALU_DEP_3) | instskip(NEXT) | instid1(VALU_DEP_2)
	v_dual_cndmask_b32 v10, v11, v10 :: v_dual_and_b32 v11, 0x80000000, v12
	v_lshl_add_u32 v12, v96, 23, 0x3b800000
	s_delay_alu instid0(VALU_DEP_2) | instskip(NEXT) | instid1(VALU_DEP_1)
	v_lshlrev_b32_e32 v10, 20, v10
	v_or3_b32 v11, v11, v12, v10
.LBB2_2821:                             ;   in Loop: Header=BB2_2676 Depth=2
	s_or_b32 exec_lo, exec_lo, s25
	s_delay_alu instid0(VALU_DEP_1) | instskip(SKIP_2) | instid1(VALU_DEP_2)
	v_mul_f32_e32 v10, s24, v11
	v_mov_b32_e32 v98, 0x80
	s_mov_b32 s25, exec_lo
	v_and_b32_e32 v11, 0x7f800000, v10
	s_delay_alu instid0(VALU_DEP_1)
	v_cmpx_ne_u32_e32 0x7f800000, v11
	s_cbranch_execz .LBB2_2829
; %bb.2822:                             ;   in Loop: Header=BB2_2676 Depth=2
	v_mov_b32_e32 v98, 0
	s_mov_b32 s26, exec_lo
	v_cmpx_ne_u32_e32 0, v10
	s_cbranch_execz .LBB2_2828
; %bb.2823:                             ;   in Loop: Header=BB2_2676 Depth=2
	v_bfe_u32 v11, v10, 23, 8
	v_and_b32_e32 v12, 0x7fffff, v10
	s_delay_alu instid0(VALU_DEP_2) | instskip(SKIP_1) | instid1(VALU_DEP_3)
	v_sub_nc_u32_e32 v96, 0x78, v11
	v_cmp_gt_u32_e32 vcc_lo, 0x79, v11
	v_or_b32_e32 v97, 0x800000, v12
	s_delay_alu instid0(VALU_DEP_3) | instskip(SKIP_2) | instid1(VALU_DEP_3)
	v_cndmask_b32_e32 v96, 0, v96, vcc_lo
	v_cmp_eq_u32_e32 vcc_lo, 0, v11
	v_add_nc_u32_e32 v11, 0xffffff89, v11
	v_cndmask_b32_e64 v96, v96, 0x77, vcc_lo
	v_cndmask_b32_e32 v12, v97, v12, vcc_lo
	s_delay_alu instid0(VALU_DEP_3) | instskip(NEXT) | instid1(VALU_DEP_3)
	v_cndmask_b32_e64 v11, v11, 0xffffff8a, vcc_lo
	v_lshl_add_u32 v97, 0x100000, v96, -1
	s_delay_alu instid0(VALU_DEP_3) | instskip(SKIP_1) | instid1(VALU_DEP_4)
	v_lshrrev_b32_e32 v98, v96, v12
	v_lshlrev_b32_e64 v103, v96, 0x80000
	v_add_nc_u32_e32 v96, v96, v11
	s_delay_alu instid0(VALU_DEP_4) | instskip(NEXT) | instid1(VALU_DEP_4)
	v_and_b32_e32 v12, v97, v12
	v_bfe_u32 v100, v98, 20, 1
	s_delay_alu instid0(VALU_DEP_2) | instskip(NEXT) | instid1(VALU_DEP_2)
	v_cmp_eq_u32_e64 s7, v12, v103
	v_add_nc_u32_e32 v97, -1, v100
	s_delay_alu instid0(VALU_DEP_1) | instskip(SKIP_2) | instid1(VALU_DEP_2)
	v_cndmask_b32_e64 v12, 0, v97, s7
	v_lshrrev_b32_e32 v97, 23, v98
	s_mov_b32 s7, exec_lo
	v_add_nc_u32_e32 v12, v12, v98
	s_delay_alu instid0(VALU_DEP_2) | instskip(NEXT) | instid1(VALU_DEP_2)
	v_xor_b32_e32 v97, 1, v97
	v_and_b32_e32 v11, 0xfffff, v12
	s_delay_alu instid0(VALU_DEP_1) | instskip(NEXT) | instid1(VALU_DEP_3)
	v_add_nc_u32_e32 v12, v11, v98
                                        ; implicit-def: $vgpr11
	v_cmpx_ne_u32_e64 v96, v97
	s_xor_b32 s7, exec_lo, s7
; %bb.2824:                             ;   in Loop: Header=BB2_2676 Depth=2
	s_delay_alu instid0(VALU_DEP_2) | instskip(SKIP_2) | instid1(VALU_DEP_2)
	v_cmp_lt_u32_e32 vcc_lo, 0xffffff, v12
	v_sub_nc_u32_e32 v11, v96, v97
	v_cndmask_b32_e64 v96, 0, 1, vcc_lo
	v_add_co_ci_u32_e32 v11, vcc_lo, 0, v11, vcc_lo
	s_delay_alu instid0(VALU_DEP_2)
	v_lshrrev_b32_e32 v12, v96, v12
; %bb.2825:                             ;   in Loop: Header=BB2_2676 Depth=2
	s_and_not1_saveexec_b32 s7, s7
; %bb.2826:                             ;   in Loop: Header=BB2_2676 Depth=2
	s_delay_alu instid0(VALU_DEP_1)
	v_bfe_u32 v11, v12, 23, 1
; %bb.2827:                             ;   in Loop: Header=BB2_2676 Depth=2
	s_or_b32 exec_lo, exec_lo, s7
	v_lshrrev_b32_e32 v12, 20, v12
	s_delay_alu instid0(VALU_DEP_2) | instskip(SKIP_2) | instid1(VALU_DEP_4)
	v_cmp_gt_i32_e32 vcc_lo, 16, v11
	v_lshrrev_b32_e32 v10, 24, v10
	v_min_i32_e32 v96, 15, v11
	v_cndmask_b32_e32 v12, 7, v12, vcc_lo
	s_delay_alu instid0(VALU_DEP_3) | instskip(NEXT) | instid1(VALU_DEP_3)
	v_and_b32_e32 v10, 0x80, v10
	v_lshlrev_b32_e32 v96, 3, v96
	s_delay_alu instid0(VALU_DEP_3) | instskip(NEXT) | instid1(VALU_DEP_1)
	v_or_b32_e32 v11, v11, v12
	v_cmp_ne_u32_e32 vcc_lo, 0, v11
	v_and_b32_e32 v97, 7, v12
	s_delay_alu instid0(VALU_DEP_1) | instskip(NEXT) | instid1(VALU_DEP_1)
	v_or3_b32 v10, v96, v10, v97
	v_cndmask_b32_e32 v98, 0, v10, vcc_lo
.LBB2_2828:                             ;   in Loop: Header=BB2_2676 Depth=2
	s_or_b32 exec_lo, exec_lo, s26
.LBB2_2829:                             ;   in Loop: Header=BB2_2676 Depth=2
	s_delay_alu instid0(SALU_CYCLE_1) | instskip(SKIP_3) | instid1(VALU_DEP_1)
	s_or_b32 exec_lo, exec_lo, s25
	v_and_b32_e32 v11, 0xff, v13
	s_mov_b32 s7, 0
	s_mov_b32 s26, exec_lo
                                        ; implicit-def: $sgpr25
	v_cmpx_lt_i16_e32 0x7f, v11
	s_xor_b32 s26, exec_lo, s26
	s_cbranch_execnz .LBB2_3179
; %bb.2830:                             ;   in Loop: Header=BB2_2676 Depth=2
	s_or_saveexec_b32 s26, s26
	v_mov_b32_e32 v10, s25
	s_xor_b32 exec_lo, exec_lo, s26
	s_cbranch_execnz .LBB2_3182
.LBB2_2831:                             ;   in Loop: Header=BB2_2676 Depth=2
	s_or_b32 exec_lo, exec_lo, s26
	s_and_saveexec_b32 s25, s7
	s_cbranch_execz .LBB2_2833
.LBB2_2832:                             ;   in Loop: Header=BB2_2676 Depth=2
	v_bfe_u32 v96, v13, 3, 4
	s_delay_alu instid0(VALU_DEP_1) | instskip(SKIP_1) | instid1(VALU_DEP_1)
	v_cmp_eq_u32_e32 vcc_lo, 0, v96
	v_and_b32_e32 v10, 7, v13
	v_clz_i32_u32_e32 v11, v10
	s_delay_alu instid0(VALU_DEP_1) | instskip(NEXT) | instid1(VALU_DEP_1)
	v_min_u32_e32 v11, 32, v11
	v_subrev_nc_u32_e32 v12, 28, v11
	v_sub_nc_u32_e32 v11, 29, v11
	s_delay_alu instid0(VALU_DEP_2) | instskip(NEXT) | instid1(VALU_DEP_1)
	v_lshlrev_b32_e32 v12, v12, v13
	v_dual_cndmask_b32 v11, v96, v11 :: v_dual_and_b32 v12, 7, v12
	v_lshlrev_b32_e32 v97, 24, v13
	s_delay_alu instid0(VALU_DEP_2) | instskip(NEXT) | instid1(VALU_DEP_3)
	v_lshl_add_u32 v11, v11, 23, 0x3b800000
	v_cndmask_b32_e32 v10, v10, v12, vcc_lo
	s_delay_alu instid0(VALU_DEP_3) | instskip(NEXT) | instid1(VALU_DEP_2)
	v_and_b32_e32 v12, 0x80000000, v97
	v_lshlrev_b32_e32 v10, 20, v10
	s_delay_alu instid0(VALU_DEP_1)
	v_or3_b32 v10, v12, v11, v10
.LBB2_2833:                             ;   in Loop: Header=BB2_2676 Depth=2
	s_or_b32 exec_lo, exec_lo, s25
	s_delay_alu instid0(VALU_DEP_1) | instskip(SKIP_1) | instid1(VALU_DEP_1)
	v_dual_mul_f32 v10, s24, v10 :: v_dual_mov_b32 v97, 0x80
	s_mov_b32 s25, exec_lo
	v_and_b32_e32 v11, 0x7f800000, v10
	s_delay_alu instid0(VALU_DEP_1)
	v_cmpx_ne_u32_e32 0x7f800000, v11
	s_cbranch_execz .LBB2_2841
; %bb.2834:                             ;   in Loop: Header=BB2_2676 Depth=2
	v_mov_b32_e32 v97, 0
	s_mov_b32 s26, exec_lo
	v_cmpx_ne_u32_e32 0, v10
	s_cbranch_execz .LBB2_2840
; %bb.2835:                             ;   in Loop: Header=BB2_2676 Depth=2
	v_bfe_u32 v11, v10, 23, 8
	v_and_b32_e32 v12, 0x7fffff, v10
	s_delay_alu instid0(VALU_DEP_2) | instskip(SKIP_1) | instid1(VALU_DEP_3)
	v_sub_nc_u32_e32 v96, 0x78, v11
	v_cmp_gt_u32_e32 vcc_lo, 0x79, v11
	v_or_b32_e32 v97, 0x800000, v12
	s_delay_alu instid0(VALU_DEP_3) | instskip(SKIP_2) | instid1(VALU_DEP_3)
	v_cndmask_b32_e32 v96, 0, v96, vcc_lo
	v_cmp_eq_u32_e32 vcc_lo, 0, v11
	v_add_nc_u32_e32 v11, 0xffffff89, v11
	v_cndmask_b32_e64 v96, v96, 0x77, vcc_lo
	v_cndmask_b32_e32 v12, v97, v12, vcc_lo
	s_delay_alu instid0(VALU_DEP_3) | instskip(NEXT) | instid1(VALU_DEP_3)
	v_cndmask_b32_e64 v11, v11, 0xffffff8a, vcc_lo
	v_lshl_add_u32 v97, 0x100000, v96, -1
	s_delay_alu instid0(VALU_DEP_3) | instskip(SKIP_1) | instid1(VALU_DEP_4)
	v_lshrrev_b32_e32 v100, v96, v12
	v_lshlrev_b32_e64 v119, v96, 0x80000
	v_add_nc_u32_e32 v96, v96, v11
	s_delay_alu instid0(VALU_DEP_4) | instskip(NEXT) | instid1(VALU_DEP_4)
	v_and_b32_e32 v12, v97, v12
	v_bfe_u32 v103, v100, 20, 1
	s_delay_alu instid0(VALU_DEP_2) | instskip(NEXT) | instid1(VALU_DEP_2)
	v_cmp_eq_u32_e64 s7, v12, v119
	v_add_nc_u32_e32 v97, -1, v103
	s_delay_alu instid0(VALU_DEP_1) | instskip(SKIP_2) | instid1(VALU_DEP_2)
	v_cndmask_b32_e64 v12, 0, v97, s7
	v_lshrrev_b32_e32 v97, 23, v100
	s_mov_b32 s7, exec_lo
	v_add_nc_u32_e32 v12, v12, v100
	s_delay_alu instid0(VALU_DEP_2) | instskip(NEXT) | instid1(VALU_DEP_2)
	v_xor_b32_e32 v97, 1, v97
	v_and_b32_e32 v11, 0xfffff, v12
	s_delay_alu instid0(VALU_DEP_1) | instskip(NEXT) | instid1(VALU_DEP_3)
	v_add_nc_u32_e32 v12, v11, v100
                                        ; implicit-def: $vgpr11
	v_cmpx_ne_u32_e64 v96, v97
	s_xor_b32 s7, exec_lo, s7
; %bb.2836:                             ;   in Loop: Header=BB2_2676 Depth=2
	s_delay_alu instid0(VALU_DEP_2) | instskip(SKIP_2) | instid1(VALU_DEP_2)
	v_cmp_lt_u32_e32 vcc_lo, 0xffffff, v12
	v_sub_nc_u32_e32 v11, v96, v97
	v_cndmask_b32_e64 v96, 0, 1, vcc_lo
	v_add_co_ci_u32_e32 v11, vcc_lo, 0, v11, vcc_lo
	s_delay_alu instid0(VALU_DEP_2)
	v_lshrrev_b32_e32 v12, v96, v12
; %bb.2837:                             ;   in Loop: Header=BB2_2676 Depth=2
	s_and_not1_saveexec_b32 s7, s7
; %bb.2838:                             ;   in Loop: Header=BB2_2676 Depth=2
	s_delay_alu instid0(VALU_DEP_1)
	v_bfe_u32 v11, v12, 23, 1
; %bb.2839:                             ;   in Loop: Header=BB2_2676 Depth=2
	s_or_b32 exec_lo, exec_lo, s7
	v_lshrrev_b32_e32 v12, 20, v12
	s_delay_alu instid0(VALU_DEP_2) | instskip(SKIP_2) | instid1(VALU_DEP_3)
	v_min_i32_e32 v96, 15, v11
	v_cmp_gt_i32_e32 vcc_lo, 16, v11
	v_lshrrev_b32_e32 v10, 24, v10
	v_lshlrev_b32_e32 v96, 3, v96
	v_cndmask_b32_e32 v12, 7, v12, vcc_lo
	s_delay_alu instid0(VALU_DEP_3) | instskip(NEXT) | instid1(VALU_DEP_3)
	v_and_b32_e32 v10, 0x80, v10
	v_and_b32_e32 v96, 0xf8, v96
	s_delay_alu instid0(VALU_DEP_3) | instskip(SKIP_1) | instid1(VALU_DEP_2)
	v_and_b32_e32 v97, 7, v12
	v_or_b32_e32 v11, v11, v12
	v_or3_b32 v10, v96, v10, v97
	s_delay_alu instid0(VALU_DEP_2) | instskip(NEXT) | instid1(VALU_DEP_2)
	v_cmp_ne_u32_e32 vcc_lo, 0, v11
	v_cndmask_b32_e32 v97, 0, v10, vcc_lo
.LBB2_2840:                             ;   in Loop: Header=BB2_2676 Depth=2
	s_or_b32 exec_lo, exec_lo, s26
.LBB2_2841:                             ;   in Loop: Header=BB2_2676 Depth=2
	s_delay_alu instid0(SALU_CYCLE_1) | instskip(SKIP_3) | instid1(VALU_DEP_1)
	s_or_b32 exec_lo, exec_lo, s25
	v_lshrrev_b16 v10, 8, v13
	s_mov_b32 s7, 0
	s_mov_b32 s26, exec_lo
                                        ; implicit-def: $sgpr25
	v_cmpx_lt_i16_e32 0x7f, v10
	s_xor_b32 s26, exec_lo, s26
	s_cbranch_execnz .LBB2_3183
; %bb.2842:                             ;   in Loop: Header=BB2_2676 Depth=2
	s_or_saveexec_b32 s26, s26
	v_mov_b32_e32 v11, s25
	s_xor_b32 exec_lo, exec_lo, s26
	s_cbranch_execnz .LBB2_3186
.LBB2_2843:                             ;   in Loop: Header=BB2_2676 Depth=2
	s_or_b32 exec_lo, exec_lo, s26
	s_and_saveexec_b32 s25, s7
	s_cbranch_execz .LBB2_2845
.LBB2_2844:                             ;   in Loop: Header=BB2_2676 Depth=2
	v_and_b32_e32 v11, 0xffff, v10
	v_lshlrev_b32_e32 v10, 24, v10
	s_delay_alu instid0(VALU_DEP_2) | instskip(NEXT) | instid1(VALU_DEP_2)
	v_and_b32_e32 v12, 7, v11
	v_and_b32_e32 v10, 0x80000000, v10
	s_delay_alu instid0(VALU_DEP_2) | instskip(NEXT) | instid1(VALU_DEP_1)
	v_clz_i32_u32_e32 v96, v12
	v_min_u32_e32 v96, 32, v96
	s_delay_alu instid0(VALU_DEP_1) | instskip(SKIP_1) | instid1(VALU_DEP_2)
	v_subrev_nc_u32_e32 v100, 28, v96
	v_sub_nc_u32_e32 v96, 29, v96
	v_lshlrev_b32_e32 v100, v100, v11
	v_bfe_u32 v11, v11, 3, 4
	s_delay_alu instid0(VALU_DEP_2) | instskip(NEXT) | instid1(VALU_DEP_2)
	v_and_b32_e32 v100, 7, v100
	v_cmp_eq_u32_e32 vcc_lo, 0, v11
	v_cndmask_b32_e32 v11, v11, v96, vcc_lo
	s_delay_alu instid0(VALU_DEP_3) | instskip(NEXT) | instid1(VALU_DEP_2)
	v_cndmask_b32_e32 v12, v12, v100, vcc_lo
	v_lshl_add_u32 v11, v11, 23, 0x3b800000
	s_delay_alu instid0(VALU_DEP_2) | instskip(NEXT) | instid1(VALU_DEP_1)
	v_lshlrev_b32_e32 v12, 20, v12
	v_or3_b32 v11, v10, v11, v12
.LBB2_2845:                             ;   in Loop: Header=BB2_2676 Depth=2
	s_or_b32 exec_lo, exec_lo, s25
	s_delay_alu instid0(VALU_DEP_1) | instskip(SKIP_1) | instid1(VALU_DEP_1)
	v_dual_mul_f32 v10, s24, v11 :: v_dual_mov_b32 v103, 0x8000
	s_mov_b32 s25, exec_lo
	v_and_b32_e32 v11, 0x7f800000, v10
	s_delay_alu instid0(VALU_DEP_1)
	v_cmpx_ne_u32_e32 0x7f800000, v11
	s_cbranch_execz .LBB2_2853
; %bb.2846:                             ;   in Loop: Header=BB2_2676 Depth=2
	v_mov_b32_e32 v103, 0
	s_mov_b32 s26, exec_lo
	v_cmpx_ne_u32_e32 0, v10
	s_cbranch_execz .LBB2_2852
; %bb.2847:                             ;   in Loop: Header=BB2_2676 Depth=2
	v_bfe_u32 v11, v10, 23, 8
	v_and_b32_e32 v12, 0x7fffff, v10
	s_delay_alu instid0(VALU_DEP_2) | instskip(SKIP_1) | instid1(VALU_DEP_3)
	v_sub_nc_u32_e32 v96, 0x78, v11
	v_cmp_gt_u32_e32 vcc_lo, 0x79, v11
	v_or_b32_e32 v100, 0x800000, v12
	s_delay_alu instid0(VALU_DEP_3) | instskip(SKIP_2) | instid1(VALU_DEP_3)
	v_cndmask_b32_e32 v96, 0, v96, vcc_lo
	v_cmp_eq_u32_e32 vcc_lo, 0, v11
	v_add_nc_u32_e32 v11, 0xffffff89, v11
	v_cndmask_b32_e64 v96, v96, 0x77, vcc_lo
	v_cndmask_b32_e32 v12, v100, v12, vcc_lo
	s_delay_alu instid0(VALU_DEP_3) | instskip(NEXT) | instid1(VALU_DEP_3)
	v_cndmask_b32_e64 v11, v11, 0xffffff8a, vcc_lo
	v_lshl_add_u32 v100, 0x100000, v96, -1
	s_delay_alu instid0(VALU_DEP_3) | instskip(SKIP_1) | instid1(VALU_DEP_4)
	v_lshrrev_b32_e32 v103, v96, v12
	v_lshlrev_b32_e64 v128, v96, 0x80000
	v_add_nc_u32_e32 v96, v96, v11
	s_delay_alu instid0(VALU_DEP_4) | instskip(NEXT) | instid1(VALU_DEP_4)
	v_and_b32_e32 v12, v100, v12
	v_bfe_u32 v119, v103, 20, 1
	s_delay_alu instid0(VALU_DEP_2) | instskip(NEXT) | instid1(VALU_DEP_2)
	v_cmp_eq_u32_e64 s7, v12, v128
	v_add_nc_u32_e32 v100, -1, v119
	s_delay_alu instid0(VALU_DEP_1) | instskip(SKIP_2) | instid1(VALU_DEP_2)
	v_cndmask_b32_e64 v12, 0, v100, s7
	v_lshrrev_b32_e32 v100, 23, v103
	s_mov_b32 s7, exec_lo
	v_add_nc_u32_e32 v12, v12, v103
	s_delay_alu instid0(VALU_DEP_2) | instskip(NEXT) | instid1(VALU_DEP_2)
	v_xor_b32_e32 v100, 1, v100
	v_and_b32_e32 v11, 0xfffff, v12
	s_delay_alu instid0(VALU_DEP_1) | instskip(NEXT) | instid1(VALU_DEP_3)
	v_add_nc_u32_e32 v12, v11, v103
                                        ; implicit-def: $vgpr11
	v_cmpx_ne_u32_e64 v96, v100
	s_xor_b32 s7, exec_lo, s7
; %bb.2848:                             ;   in Loop: Header=BB2_2676 Depth=2
	s_delay_alu instid0(VALU_DEP_2) | instskip(SKIP_2) | instid1(VALU_DEP_2)
	v_cmp_lt_u32_e32 vcc_lo, 0xffffff, v12
	v_sub_nc_u32_e32 v11, v96, v100
	v_cndmask_b32_e64 v96, 0, 1, vcc_lo
	v_add_co_ci_u32_e32 v11, vcc_lo, 0, v11, vcc_lo
	s_delay_alu instid0(VALU_DEP_2)
	v_lshrrev_b32_e32 v12, v96, v12
; %bb.2849:                             ;   in Loop: Header=BB2_2676 Depth=2
	s_and_not1_saveexec_b32 s7, s7
; %bb.2850:                             ;   in Loop: Header=BB2_2676 Depth=2
	s_delay_alu instid0(VALU_DEP_1)
	v_bfe_u32 v11, v12, 23, 1
; %bb.2851:                             ;   in Loop: Header=BB2_2676 Depth=2
	s_or_b32 exec_lo, exec_lo, s7
	v_lshrrev_b32_e32 v12, 20, v12
	s_delay_alu instid0(VALU_DEP_2) | instskip(SKIP_2) | instid1(VALU_DEP_3)
	v_min_i32_e32 v96, 15, v11
	v_cmp_gt_i32_e32 vcc_lo, 16, v11
	v_lshrrev_b32_e32 v10, 24, v10
	v_lshlrev_b32_e32 v96, 3, v96
	v_cndmask_b32_e32 v12, 7, v12, vcc_lo
	s_delay_alu instid0(VALU_DEP_3) | instskip(NEXT) | instid1(VALU_DEP_3)
	v_and_b32_e32 v10, 0x80, v10
	v_and_b32_e32 v96, 0xf8, v96
	s_delay_alu instid0(VALU_DEP_3) | instskip(SKIP_1) | instid1(VALU_DEP_2)
	v_and_b32_e32 v100, 7, v12
	v_or_b32_e32 v11, v11, v12
	v_or3_b32 v10, v10, v96, v100
	s_delay_alu instid0(VALU_DEP_2) | instskip(NEXT) | instid1(VALU_DEP_2)
	v_cmp_ne_u32_e32 vcc_lo, 0, v11
	v_lshlrev_b32_e32 v10, 8, v10
	s_delay_alu instid0(VALU_DEP_1)
	v_cndmask_b32_e32 v103, 0, v10, vcc_lo
.LBB2_2852:                             ;   in Loop: Header=BB2_2676 Depth=2
	s_or_b32 exec_lo, exec_lo, s26
.LBB2_2853:                             ;   in Loop: Header=BB2_2676 Depth=2
	s_delay_alu instid0(SALU_CYCLE_1) | instskip(SKIP_3) | instid1(VALU_DEP_1)
	s_or_b32 exec_lo, exec_lo, s25
	v_lshrrev_b32_e32 v10, 16, v13
	s_mov_b32 s7, 0
	s_mov_b32 s26, exec_lo
                                        ; implicit-def: $sgpr25
	v_and_b32_e32 v12, 0xff, v10
	s_delay_alu instid0(VALU_DEP_1)
	v_cmpx_lt_i16_e32 0x7f, v12
	s_xor_b32 s26, exec_lo, s26
	s_cbranch_execnz .LBB2_3187
; %bb.2854:                             ;   in Loop: Header=BB2_2676 Depth=2
	s_or_saveexec_b32 s26, s26
	v_mov_b32_e32 v11, s25
	s_xor_b32 exec_lo, exec_lo, s26
	s_cbranch_execnz .LBB2_3190
.LBB2_2855:                             ;   in Loop: Header=BB2_2676 Depth=2
	s_or_b32 exec_lo, exec_lo, s26
	s_and_saveexec_b32 s25, s7
	s_cbranch_execz .LBB2_2857
.LBB2_2856:                             ;   in Loop: Header=BB2_2676 Depth=2
	v_bfe_u32 v11, v13, 16, 3
	v_lshlrev_b32_e32 v100, 8, v13
	s_delay_alu instid0(VALU_DEP_2) | instskip(NEXT) | instid1(VALU_DEP_1)
	v_clz_i32_u32_e32 v12, v11
	v_min_u32_e32 v12, 32, v12
	s_delay_alu instid0(VALU_DEP_1) | instskip(SKIP_1) | instid1(VALU_DEP_2)
	v_subrev_nc_u32_e32 v96, 28, v12
	v_sub_nc_u32_e32 v12, 29, v12
	v_lshlrev_b32_e32 v10, v96, v10
	v_bfe_u32 v96, v13, 19, 4
	s_delay_alu instid0(VALU_DEP_2) | instskip(NEXT) | instid1(VALU_DEP_2)
	v_and_b32_e32 v10, 7, v10
	v_cmp_eq_u32_e32 vcc_lo, 0, v96
	v_cndmask_b32_e32 v12, v96, v12, vcc_lo
	s_delay_alu instid0(VALU_DEP_3) | instskip(NEXT) | instid1(VALU_DEP_2)
	v_dual_cndmask_b32 v10, v11, v10 :: v_dual_and_b32 v11, 0x80000000, v100
	v_lshl_add_u32 v12, v12, 23, 0x3b800000
	s_delay_alu instid0(VALU_DEP_2) | instskip(NEXT) | instid1(VALU_DEP_1)
	v_lshlrev_b32_e32 v10, 20, v10
	v_or3_b32 v11, v11, v12, v10
.LBB2_2857:                             ;   in Loop: Header=BB2_2676 Depth=2
	s_or_b32 exec_lo, exec_lo, s25
	s_delay_alu instid0(VALU_DEP_1) | instskip(SKIP_2) | instid1(VALU_DEP_2)
	v_mul_f32_e32 v10, s24, v11
	v_mov_b32_e32 v96, 0x80
	s_mov_b32 s25, exec_lo
	v_and_b32_e32 v11, 0x7f800000, v10
	s_delay_alu instid0(VALU_DEP_1)
	v_cmpx_ne_u32_e32 0x7f800000, v11
	s_cbranch_execz .LBB2_2865
; %bb.2858:                             ;   in Loop: Header=BB2_2676 Depth=2
	v_mov_b32_e32 v96, 0
	s_mov_b32 s26, exec_lo
	v_cmpx_ne_u32_e32 0, v10
	s_cbranch_execz .LBB2_2864
; %bb.2859:                             ;   in Loop: Header=BB2_2676 Depth=2
	v_bfe_u32 v11, v10, 23, 8
	v_and_b32_e32 v12, 0x7fffff, v10
	s_delay_alu instid0(VALU_DEP_2) | instskip(SKIP_1) | instid1(VALU_DEP_3)
	v_sub_nc_u32_e32 v96, 0x78, v11
	v_cmp_gt_u32_e32 vcc_lo, 0x79, v11
	v_or_b32_e32 v100, 0x800000, v12
	s_delay_alu instid0(VALU_DEP_3) | instskip(SKIP_2) | instid1(VALU_DEP_3)
	v_cndmask_b32_e32 v96, 0, v96, vcc_lo
	v_cmp_eq_u32_e32 vcc_lo, 0, v11
	v_add_nc_u32_e32 v11, 0xffffff89, v11
	v_cndmask_b32_e64 v96, v96, 0x77, vcc_lo
	v_cndmask_b32_e32 v12, v100, v12, vcc_lo
	s_delay_alu instid0(VALU_DEP_3) | instskip(NEXT) | instid1(VALU_DEP_3)
	v_cndmask_b32_e64 v11, v11, 0xffffff8a, vcc_lo
	v_lshl_add_u32 v100, 0x100000, v96, -1
	s_delay_alu instid0(VALU_DEP_3) | instskip(SKIP_1) | instid1(VALU_DEP_4)
	v_lshrrev_b32_e32 v119, v96, v12
	v_lshlrev_b32_e64 v129, v96, 0x80000
	v_add_nc_u32_e32 v96, v96, v11
	s_delay_alu instid0(VALU_DEP_4) | instskip(NEXT) | instid1(VALU_DEP_4)
	v_and_b32_e32 v12, v100, v12
	v_bfe_u32 v128, v119, 20, 1
	s_delay_alu instid0(VALU_DEP_2) | instskip(NEXT) | instid1(VALU_DEP_2)
	v_cmp_eq_u32_e64 s7, v12, v129
	v_add_nc_u32_e32 v100, -1, v128
	s_delay_alu instid0(VALU_DEP_1) | instskip(SKIP_2) | instid1(VALU_DEP_2)
	v_cndmask_b32_e64 v12, 0, v100, s7
	v_lshrrev_b32_e32 v100, 23, v119
	s_mov_b32 s7, exec_lo
	v_add_nc_u32_e32 v12, v12, v119
	s_delay_alu instid0(VALU_DEP_2) | instskip(NEXT) | instid1(VALU_DEP_2)
	v_xor_b32_e32 v100, 1, v100
	v_and_b32_e32 v11, 0xfffff, v12
	s_delay_alu instid0(VALU_DEP_1) | instskip(NEXT) | instid1(VALU_DEP_3)
	v_add_nc_u32_e32 v12, v11, v119
                                        ; implicit-def: $vgpr11
	v_cmpx_ne_u32_e64 v96, v100
	s_xor_b32 s7, exec_lo, s7
; %bb.2860:                             ;   in Loop: Header=BB2_2676 Depth=2
	s_delay_alu instid0(VALU_DEP_2) | instskip(SKIP_2) | instid1(VALU_DEP_2)
	v_cmp_lt_u32_e32 vcc_lo, 0xffffff, v12
	v_sub_nc_u32_e32 v11, v96, v100
	v_cndmask_b32_e64 v96, 0, 1, vcc_lo
	v_add_co_ci_u32_e32 v11, vcc_lo, 0, v11, vcc_lo
	s_delay_alu instid0(VALU_DEP_2)
	v_lshrrev_b32_e32 v12, v96, v12
; %bb.2861:                             ;   in Loop: Header=BB2_2676 Depth=2
	s_and_not1_saveexec_b32 s7, s7
; %bb.2862:                             ;   in Loop: Header=BB2_2676 Depth=2
	s_delay_alu instid0(VALU_DEP_1)
	v_bfe_u32 v11, v12, 23, 1
; %bb.2863:                             ;   in Loop: Header=BB2_2676 Depth=2
	s_or_b32 exec_lo, exec_lo, s7
	v_lshrrev_b32_e32 v12, 20, v12
	s_delay_alu instid0(VALU_DEP_2) | instskip(SKIP_2) | instid1(VALU_DEP_3)
	v_min_i32_e32 v96, 15, v11
	v_cmp_gt_i32_e32 vcc_lo, 16, v11
	v_lshrrev_b32_e32 v10, 24, v10
	v_lshlrev_b32_e32 v96, 3, v96
	v_cndmask_b32_e32 v12, 7, v12, vcc_lo
	s_delay_alu instid0(VALU_DEP_3) | instskip(NEXT) | instid1(VALU_DEP_3)
	v_and_b32_e32 v10, 0x80, v10
	v_and_b32_e32 v96, 0xf8, v96
	s_delay_alu instid0(VALU_DEP_3) | instskip(SKIP_1) | instid1(VALU_DEP_2)
	v_and_b32_e32 v100, 7, v12
	v_or_b32_e32 v11, v11, v12
	v_or3_b32 v10, v96, v10, v100
	s_delay_alu instid0(VALU_DEP_2) | instskip(NEXT) | instid1(VALU_DEP_2)
	v_cmp_ne_u32_e32 vcc_lo, 0, v11
	v_cndmask_b32_e32 v96, 0, v10, vcc_lo
.LBB2_2864:                             ;   in Loop: Header=BB2_2676 Depth=2
	s_or_b32 exec_lo, exec_lo, s26
.LBB2_2865:                             ;   in Loop: Header=BB2_2676 Depth=2
	s_delay_alu instid0(SALU_CYCLE_1) | instskip(SKIP_3) | instid1(VALU_DEP_1)
	s_or_b32 exec_lo, exec_lo, s25
	v_lshrrev_b32_e32 v10, 24, v13
	s_mov_b32 s7, 0
	s_mov_b32 s26, exec_lo
                                        ; implicit-def: $sgpr25
	v_cmpx_lt_i16_e32 0x7f, v10
	s_xor_b32 s26, exec_lo, s26
	s_cbranch_execnz .LBB2_3191
; %bb.2866:                             ;   in Loop: Header=BB2_2676 Depth=2
	s_or_saveexec_b32 s26, s26
	v_mov_b32_e32 v11, s25
	s_xor_b32 exec_lo, exec_lo, s26
	s_cbranch_execnz .LBB2_3194
.LBB2_2867:                             ;   in Loop: Header=BB2_2676 Depth=2
	s_or_b32 exec_lo, exec_lo, s26
	s_and_saveexec_b32 s25, s7
	s_cbranch_execz .LBB2_2869
.LBB2_2868:                             ;   in Loop: Header=BB2_2676 Depth=2
	v_bfe_u32 v11, v13, 24, 3
	s_delay_alu instid0(VALU_DEP_1) | instskip(NEXT) | instid1(VALU_DEP_1)
	v_clz_i32_u32_e32 v12, v11
	v_min_u32_e32 v12, 32, v12
	s_delay_alu instid0(VALU_DEP_1) | instskip(SKIP_1) | instid1(VALU_DEP_2)
	v_subrev_nc_u32_e32 v100, 28, v12
	v_sub_nc_u32_e32 v12, 29, v12
	v_lshlrev_b32_e32 v10, v100, v10
	v_bfe_u32 v100, v13, 27, 4
	s_delay_alu instid0(VALU_DEP_2) | instskip(NEXT) | instid1(VALU_DEP_2)
	v_and_b32_e32 v10, 7, v10
	v_cmp_eq_u32_e32 vcc_lo, 0, v100
	v_cndmask_b32_e32 v12, v100, v12, vcc_lo
	s_delay_alu instid0(VALU_DEP_3) | instskip(NEXT) | instid1(VALU_DEP_2)
	v_dual_cndmask_b32 v10, v11, v10 :: v_dual_and_b32 v11, 0x80000000, v13
	v_lshl_add_u32 v12, v12, 23, 0x3b800000
	s_delay_alu instid0(VALU_DEP_2) | instskip(NEXT) | instid1(VALU_DEP_1)
	v_lshlrev_b32_e32 v10, 20, v10
	v_or3_b32 v11, v11, v12, v10
.LBB2_2869:                             ;   in Loop: Header=BB2_2676 Depth=2
	s_or_b32 exec_lo, exec_lo, s25
	s_delay_alu instid0(VALU_DEP_1) | instskip(SKIP_2) | instid1(VALU_DEP_2)
	v_mul_f32_e32 v10, s24, v11
	v_mov_b32_e32 v100, 0x8000
	s_mov_b32 s24, exec_lo
	v_and_b32_e32 v11, 0x7f800000, v10
	s_delay_alu instid0(VALU_DEP_1)
	v_cmpx_ne_u32_e32 0x7f800000, v11
	s_cbranch_execz .LBB2_2877
; %bb.2870:                             ;   in Loop: Header=BB2_2676 Depth=2
	v_mov_b32_e32 v100, 0
	s_mov_b32 s25, exec_lo
	v_cmpx_ne_u32_e32 0, v10
	s_cbranch_execz .LBB2_2876
; %bb.2871:                             ;   in Loop: Header=BB2_2676 Depth=2
	v_bfe_u32 v11, v10, 23, 8
	s_delay_alu instid0(VALU_DEP_1) | instskip(SKIP_1) | instid1(VALU_DEP_2)
	v_sub_nc_u32_e32 v13, 0x78, v11
	v_cmp_gt_u32_e32 vcc_lo, 0x79, v11
	v_dual_cndmask_b32 v13, 0, v13 :: v_dual_and_b32 v12, 0x7fffff, v10
	s_delay_alu instid0(VALU_DEP_1) | instskip(SKIP_2) | instid1(VALU_DEP_4)
	v_or_b32_e32 v100, 0x800000, v12
	v_cmp_eq_u32_e32 vcc_lo, 0, v11
	v_add_nc_u32_e32 v11, 0xffffff89, v11
	v_cndmask_b32_e64 v13, v13, 0x77, vcc_lo
	s_delay_alu instid0(VALU_DEP_4) | instskip(NEXT) | instid1(VALU_DEP_3)
	v_cndmask_b32_e32 v12, v100, v12, vcc_lo
	v_cndmask_b32_e64 v11, v11, 0xffffff8a, vcc_lo
	s_delay_alu instid0(VALU_DEP_3) | instskip(NEXT) | instid1(VALU_DEP_3)
	v_lshl_add_u32 v100, 0x100000, v13, -1
	v_lshrrev_b32_e32 v119, v13, v12
	v_lshlrev_b32_e64 v129, v13, 0x80000
	s_delay_alu instid0(VALU_DEP_4) | instskip(NEXT) | instid1(VALU_DEP_4)
	v_add_nc_u32_e32 v13, v13, v11
	v_and_b32_e32 v12, v100, v12
	s_delay_alu instid0(VALU_DEP_4) | instskip(NEXT) | instid1(VALU_DEP_2)
	v_bfe_u32 v128, v119, 20, 1
	v_cmp_eq_u32_e64 s7, v12, v129
	s_delay_alu instid0(VALU_DEP_2) | instskip(NEXT) | instid1(VALU_DEP_1)
	v_add_nc_u32_e32 v100, -1, v128
	v_cndmask_b32_e64 v12, 0, v100, s7
	v_lshrrev_b32_e32 v100, 23, v119
	s_mov_b32 s7, exec_lo
	s_delay_alu instid0(VALU_DEP_2) | instskip(NEXT) | instid1(VALU_DEP_2)
	v_add_nc_u32_e32 v12, v12, v119
	v_xor_b32_e32 v100, 1, v100
	s_delay_alu instid0(VALU_DEP_2) | instskip(NEXT) | instid1(VALU_DEP_1)
	v_and_b32_e32 v11, 0xfffff, v12
	v_add_nc_u32_e32 v12, v11, v119
                                        ; implicit-def: $vgpr11
	s_delay_alu instid0(VALU_DEP_3)
	v_cmpx_ne_u32_e64 v13, v100
	s_xor_b32 s7, exec_lo, s7
; %bb.2872:                             ;   in Loop: Header=BB2_2676 Depth=2
	s_delay_alu instid0(VALU_DEP_2) | instskip(SKIP_2) | instid1(VALU_DEP_2)
	v_cmp_lt_u32_e32 vcc_lo, 0xffffff, v12
	v_sub_nc_u32_e32 v11, v13, v100
	v_cndmask_b32_e64 v13, 0, 1, vcc_lo
	v_add_co_ci_u32_e32 v11, vcc_lo, 0, v11, vcc_lo
	s_delay_alu instid0(VALU_DEP_2)
	v_lshrrev_b32_e32 v12, v13, v12
; %bb.2873:                             ;   in Loop: Header=BB2_2676 Depth=2
	s_and_not1_saveexec_b32 s7, s7
; %bb.2874:                             ;   in Loop: Header=BB2_2676 Depth=2
	s_delay_alu instid0(VALU_DEP_1)
	v_bfe_u32 v11, v12, 23, 1
; %bb.2875:                             ;   in Loop: Header=BB2_2676 Depth=2
	s_or_b32 exec_lo, exec_lo, s7
	v_lshrrev_b32_e32 v12, 20, v12
	s_delay_alu instid0(VALU_DEP_2) | instskip(SKIP_2) | instid1(VALU_DEP_2)
	v_cmp_gt_i32_e32 vcc_lo, 16, v11
	v_min_i32_e32 v13, 15, v11
	v_lshrrev_b32_e32 v10, 24, v10
	v_dual_cndmask_b32 v12, 7, v12 :: v_dual_lshlrev_b32 v13, 3, v13
	s_delay_alu instid0(VALU_DEP_2) | instskip(NEXT) | instid1(VALU_DEP_2)
	v_and_b32_e32 v10, 0x80, v10
	v_or_b32_e32 v11, v11, v12
	v_and_b32_e32 v100, 7, v12
	s_delay_alu instid0(VALU_DEP_2) | instskip(SKIP_1) | instid1(VALU_DEP_1)
	v_cmp_ne_u32_e32 vcc_lo, 0, v11
	v_and_b32_e32 v13, 0xf8, v13
	v_or3_b32 v10, v10, v13, v100
	s_delay_alu instid0(VALU_DEP_1) | instskip(NEXT) | instid1(VALU_DEP_1)
	v_lshlrev_b32_e32 v10, 8, v10
	v_cndmask_b32_e32 v100, 0, v10, vcc_lo
.LBB2_2876:                             ;   in Loop: Header=BB2_2676 Depth=2
	s_or_b32 exec_lo, exec_lo, s25
.LBB2_2877:                             ;   in Loop: Header=BB2_2676 Depth=2
	s_delay_alu instid0(SALU_CYCLE_1) | instskip(SKIP_4) | instid1(VALU_DEP_1)
	s_or_b32 exec_lo, exec_lo, s24
	global_load_b128 v[10:13], v[37:38], off slc dlc
	v_and_b32_e32 v128, 0xff, v87
	s_mov_b32 s7, 0
	s_mov_b32 s25, exec_lo
                                        ; implicit-def: $sgpr24
	v_cmpx_lt_i16_e64 0x7f, v128
	s_xor_b32 s25, exec_lo, s25
	s_cbranch_execnz .LBB2_3195
; %bb.2878:                             ;   in Loop: Header=BB2_2676 Depth=2
	s_or_saveexec_b32 s25, s25
	v_mov_b32_e32 v119, s24
	s_xor_b32 exec_lo, exec_lo, s25
	s_cbranch_execnz .LBB2_3198
.LBB2_2879:                             ;   in Loop: Header=BB2_2676 Depth=2
	s_or_b32 exec_lo, exec_lo, s25
	s_and_saveexec_b32 s24, s7
	s_cbranch_execz .LBB2_2881
.LBB2_2880:                             ;   in Loop: Header=BB2_2676 Depth=2
	v_bfe_u32 v130, v87, 3, 4
	s_delay_alu instid0(VALU_DEP_1) | instskip(SKIP_1) | instid1(VALU_DEP_1)
	v_cmp_eq_u32_e32 vcc_lo, 0, v130
	v_and_b32_e32 v119, 7, v87
	v_clz_i32_u32_e32 v128, v119
	s_delay_alu instid0(VALU_DEP_1) | instskip(NEXT) | instid1(VALU_DEP_1)
	v_min_u32_e32 v128, 32, v128
	v_subrev_nc_u32_e32 v129, 28, v128
	v_sub_nc_u32_e32 v128, 29, v128
	s_delay_alu instid0(VALU_DEP_1) | instskip(SKIP_1) | instid1(VALU_DEP_2)
	v_dual_cndmask_b32 v128, v130, v128 :: v_dual_lshlrev_b32 v129, v129, v87
	v_lshlrev_b32_e32 v87, 24, v87
	v_and_b32_e32 v129, 7, v129
	s_delay_alu instid0(VALU_DEP_3) | instskip(NEXT) | instid1(VALU_DEP_3)
	v_lshl_add_u32 v128, v128, 23, 0x3b800000
	v_and_b32_e32 v87, 0x80000000, v87
	s_delay_alu instid0(VALU_DEP_3) | instskip(NEXT) | instid1(VALU_DEP_1)
	v_cndmask_b32_e32 v119, v119, v129, vcc_lo
	v_lshlrev_b32_e32 v119, 20, v119
	s_delay_alu instid0(VALU_DEP_1)
	v_or3_b32 v119, v87, v128, v119
.LBB2_2881:                             ;   in Loop: Header=BB2_2676 Depth=2
	s_or_b32 exec_lo, exec_lo, s24
	s_waitcnt vmcnt(0)
	v_and_b32_e32 v128, 0xff, v10
	s_mov_b32 s7, 0
	s_mov_b32 s25, exec_lo
                                        ; implicit-def: $sgpr24
	s_delay_alu instid0(VALU_DEP_1)
	v_cmpx_lt_i16_e64 0x7f, v128
	s_xor_b32 s25, exec_lo, s25
	s_cbranch_execnz .LBB2_3199
; %bb.2882:                             ;   in Loop: Header=BB2_2676 Depth=2
	s_or_saveexec_b32 s25, s25
	v_mov_b32_e32 v87, s24
	s_xor_b32 exec_lo, exec_lo, s25
	s_cbranch_execnz .LBB2_3202
.LBB2_2883:                             ;   in Loop: Header=BB2_2676 Depth=2
	s_or_b32 exec_lo, exec_lo, s25
	s_and_saveexec_b32 s24, s7
	s_cbranch_execz .LBB2_2885
.LBB2_2884:                             ;   in Loop: Header=BB2_2676 Depth=2
	v_bfe_u32 v130, v10, 3, 4
	v_lshlrev_b32_e32 v131, 24, v10
	s_delay_alu instid0(VALU_DEP_2) | instskip(SKIP_1) | instid1(VALU_DEP_1)
	v_cmp_eq_u32_e32 vcc_lo, 0, v130
	v_and_b32_e32 v87, 7, v10
	v_clz_i32_u32_e32 v128, v87
	s_delay_alu instid0(VALU_DEP_1) | instskip(NEXT) | instid1(VALU_DEP_1)
	v_min_u32_e32 v128, 32, v128
	v_subrev_nc_u32_e32 v129, 28, v128
	v_sub_nc_u32_e32 v128, 29, v128
	s_delay_alu instid0(VALU_DEP_1) | instskip(NEXT) | instid1(VALU_DEP_1)
	v_dual_cndmask_b32 v128, v130, v128 :: v_dual_lshlrev_b32 v129, v129, v10
	v_and_b32_e32 v129, 7, v129
	s_delay_alu instid0(VALU_DEP_2) | instskip(NEXT) | instid1(VALU_DEP_2)
	v_lshl_add_u32 v128, v128, 23, 0x3b800000
	v_cndmask_b32_e32 v87, v87, v129, vcc_lo
	v_and_b32_e32 v129, 0x80000000, v131
	s_delay_alu instid0(VALU_DEP_2) | instskip(NEXT) | instid1(VALU_DEP_1)
	v_lshlrev_b32_e32 v87, 20, v87
	v_or3_b32 v87, v129, v128, v87
.LBB2_2885:                             ;   in Loop: Header=BB2_2676 Depth=2
	s_or_b32 exec_lo, exec_lo, s24
	s_delay_alu instid0(VALU_DEP_1) | instskip(NEXT) | instid1(VALU_DEP_1)
	v_add_f32_e32 v119, v119, v87
	v_and_b32_e32 v87, 0x7f800000, v119
	s_delay_alu instid0(VALU_DEP_1)
	v_cmp_ne_u32_e32 vcc_lo, 0x7f800000, v87
	v_mov_b32_e32 v87, 0x80
	s_and_saveexec_b32 s24, vcc_lo
	s_cbranch_execz .LBB2_2893
; %bb.2886:                             ;   in Loop: Header=BB2_2676 Depth=2
	v_mov_b32_e32 v87, 0
	s_mov_b32 s25, exec_lo
	v_cmpx_ne_u32_e32 0, v119
	s_cbranch_execz .LBB2_2892
; %bb.2887:                             ;   in Loop: Header=BB2_2676 Depth=2
	v_bfe_u32 v87, v119, 23, 8
	s_delay_alu instid0(VALU_DEP_1) | instskip(SKIP_1) | instid1(VALU_DEP_2)
	v_sub_nc_u32_e32 v129, 0x78, v87
	v_cmp_gt_u32_e32 vcc_lo, 0x79, v87
	v_dual_cndmask_b32 v129, 0, v129 :: v_dual_and_b32 v128, 0x7fffff, v119
	s_delay_alu instid0(VALU_DEP_1) | instskip(SKIP_2) | instid1(VALU_DEP_4)
	v_or_b32_e32 v130, 0x800000, v128
	v_cmp_eq_u32_e32 vcc_lo, 0, v87
	v_add_nc_u32_e32 v87, 0xffffff89, v87
	v_cndmask_b32_e64 v129, v129, 0x77, vcc_lo
	s_delay_alu instid0(VALU_DEP_4) | instskip(NEXT) | instid1(VALU_DEP_3)
	v_cndmask_b32_e32 v128, v130, v128, vcc_lo
	v_cndmask_b32_e64 v87, v87, 0xffffff8a, vcc_lo
	s_delay_alu instid0(VALU_DEP_3) | instskip(NEXT) | instid1(VALU_DEP_3)
	v_lshl_add_u32 v130, 0x100000, v129, -1
	v_lshrrev_b32_e32 v131, v129, v128
	v_lshlrev_b32_e64 v133, v129, 0x80000
	s_delay_alu instid0(VALU_DEP_4) | instskip(NEXT) | instid1(VALU_DEP_4)
	v_add_nc_u32_e32 v129, v129, v87
	v_and_b32_e32 v128, v130, v128
	s_delay_alu instid0(VALU_DEP_4) | instskip(NEXT) | instid1(VALU_DEP_2)
	v_bfe_u32 v132, v131, 20, 1
	v_cmp_eq_u32_e64 s7, v128, v133
	s_delay_alu instid0(VALU_DEP_2) | instskip(NEXT) | instid1(VALU_DEP_1)
	v_add_nc_u32_e32 v130, -1, v132
	v_cndmask_b32_e64 v128, 0, v130, s7
	v_lshrrev_b32_e32 v130, 23, v131
	s_mov_b32 s7, exec_lo
	s_delay_alu instid0(VALU_DEP_2) | instskip(NEXT) | instid1(VALU_DEP_2)
	v_add_nc_u32_e32 v128, v128, v131
	v_xor_b32_e32 v130, 1, v130
	s_delay_alu instid0(VALU_DEP_2) | instskip(NEXT) | instid1(VALU_DEP_1)
	v_and_b32_e32 v87, 0xfffff, v128
	v_add_nc_u32_e32 v128, v87, v131
                                        ; implicit-def: $vgpr87
	s_delay_alu instid0(VALU_DEP_3)
	v_cmpx_ne_u32_e64 v129, v130
	s_xor_b32 s7, exec_lo, s7
; %bb.2888:                             ;   in Loop: Header=BB2_2676 Depth=2
	s_delay_alu instid0(VALU_DEP_2) | instskip(SKIP_2) | instid1(VALU_DEP_2)
	v_cmp_lt_u32_e32 vcc_lo, 0xffffff, v128
	v_sub_nc_u32_e32 v87, v129, v130
	v_cndmask_b32_e64 v129, 0, 1, vcc_lo
	v_add_co_ci_u32_e32 v87, vcc_lo, 0, v87, vcc_lo
	s_delay_alu instid0(VALU_DEP_2)
	v_lshrrev_b32_e32 v128, v129, v128
; %bb.2889:                             ;   in Loop: Header=BB2_2676 Depth=2
	s_and_not1_saveexec_b32 s7, s7
; %bb.2890:                             ;   in Loop: Header=BB2_2676 Depth=2
	s_delay_alu instid0(VALU_DEP_1)
	v_bfe_u32 v87, v128, 23, 1
; %bb.2891:                             ;   in Loop: Header=BB2_2676 Depth=2
	s_or_b32 exec_lo, exec_lo, s7
	v_lshrrev_b32_e32 v128, 20, v128
	s_delay_alu instid0(VALU_DEP_2) | instskip(SKIP_2) | instid1(VALU_DEP_2)
	v_cmp_gt_i32_e32 vcc_lo, 16, v87
	v_lshrrev_b32_e32 v119, 24, v119
	v_min_i32_e32 v129, 15, v87
	v_dual_cndmask_b32 v128, 7, v128 :: v_dual_and_b32 v119, 0x80, v119
	s_delay_alu instid0(VALU_DEP_2) | instskip(NEXT) | instid1(VALU_DEP_2)
	v_lshlrev_b32_e32 v129, 3, v129
	v_or_b32_e32 v87, v87, v128
	s_delay_alu instid0(VALU_DEP_1) | instskip(SKIP_1) | instid1(VALU_DEP_1)
	v_cmp_ne_u32_e32 vcc_lo, 0, v87
	v_and_b32_e32 v130, 7, v128
	v_or3_b32 v119, v129, v119, v130
	s_delay_alu instid0(VALU_DEP_1)
	v_cndmask_b32_e32 v87, 0, v119, vcc_lo
.LBB2_2892:                             ;   in Loop: Header=BB2_2676 Depth=2
	s_or_b32 exec_lo, exec_lo, s25
.LBB2_2893:                             ;   in Loop: Header=BB2_2676 Depth=2
	s_delay_alu instid0(SALU_CYCLE_1) | instskip(SKIP_3) | instid1(VALU_DEP_1)
	s_or_b32 exec_lo, exec_lo, s24
	v_and_b32_e32 v128, 0xff, v99
	s_mov_b32 s7, 0
	s_mov_b32 s25, exec_lo
                                        ; implicit-def: $sgpr24
	v_cmpx_lt_i16_e64 0x7f, v128
	s_xor_b32 s25, exec_lo, s25
	s_cbranch_execnz .LBB2_3203
; %bb.2894:                             ;   in Loop: Header=BB2_2676 Depth=2
	s_or_saveexec_b32 s25, s25
	v_mov_b32_e32 v119, s24
	s_xor_b32 exec_lo, exec_lo, s25
	s_cbranch_execnz .LBB2_3206
.LBB2_2895:                             ;   in Loop: Header=BB2_2676 Depth=2
	s_or_b32 exec_lo, exec_lo, s25
	s_and_saveexec_b32 s24, s7
	s_cbranch_execz .LBB2_2897
.LBB2_2896:                             ;   in Loop: Header=BB2_2676 Depth=2
	v_bfe_u32 v130, v99, 3, 4
	s_delay_alu instid0(VALU_DEP_1) | instskip(SKIP_1) | instid1(VALU_DEP_1)
	v_cmp_eq_u32_e32 vcc_lo, 0, v130
	v_and_b32_e32 v119, 7, v99
	v_clz_i32_u32_e32 v128, v119
	s_delay_alu instid0(VALU_DEP_1) | instskip(NEXT) | instid1(VALU_DEP_1)
	v_min_u32_e32 v128, 32, v128
	v_subrev_nc_u32_e32 v129, 28, v128
	v_sub_nc_u32_e32 v128, 29, v128
	s_delay_alu instid0(VALU_DEP_1) | instskip(SKIP_1) | instid1(VALU_DEP_2)
	v_dual_cndmask_b32 v128, v130, v128 :: v_dual_lshlrev_b32 v129, v129, v99
	v_lshlrev_b32_e32 v99, 24, v99
	v_and_b32_e32 v129, 7, v129
	s_delay_alu instid0(VALU_DEP_3) | instskip(NEXT) | instid1(VALU_DEP_3)
	v_lshl_add_u32 v128, v128, 23, 0x3b800000
	v_and_b32_e32 v99, 0x80000000, v99
	s_delay_alu instid0(VALU_DEP_3) | instskip(NEXT) | instid1(VALU_DEP_1)
	v_cndmask_b32_e32 v119, v119, v129, vcc_lo
	v_lshlrev_b32_e32 v119, 20, v119
	s_delay_alu instid0(VALU_DEP_1)
	v_or3_b32 v119, v99, v128, v119
.LBB2_2897:                             ;   in Loop: Header=BB2_2676 Depth=2
	s_or_b32 exec_lo, exec_lo, s24
	v_lshrrev_b16 v99, 8, v10
	s_mov_b32 s7, 0
	s_mov_b32 s25, exec_lo
                                        ; implicit-def: $sgpr24
	s_delay_alu instid0(VALU_DEP_1)
	v_cmpx_lt_i16_e32 0x7f, v99
	s_xor_b32 s25, exec_lo, s25
	s_cbranch_execnz .LBB2_3207
; %bb.2898:                             ;   in Loop: Header=BB2_2676 Depth=2
	s_or_saveexec_b32 s25, s25
	v_mov_b32_e32 v128, s24
	s_xor_b32 exec_lo, exec_lo, s25
	s_cbranch_execnz .LBB2_3210
.LBB2_2899:                             ;   in Loop: Header=BB2_2676 Depth=2
	s_or_b32 exec_lo, exec_lo, s25
	s_and_saveexec_b32 s24, s7
	s_cbranch_execz .LBB2_2901
.LBB2_2900:                             ;   in Loop: Header=BB2_2676 Depth=2
	v_and_b32_e32 v128, 0xffff, v99
	v_lshlrev_b32_e32 v99, 24, v99
	s_delay_alu instid0(VALU_DEP_2) | instskip(NEXT) | instid1(VALU_DEP_2)
	v_and_b32_e32 v129, 7, v128
	v_and_b32_e32 v99, 0x80000000, v99
	s_delay_alu instid0(VALU_DEP_2) | instskip(NEXT) | instid1(VALU_DEP_1)
	v_clz_i32_u32_e32 v130, v129
	v_min_u32_e32 v130, 32, v130
	s_delay_alu instid0(VALU_DEP_1) | instskip(SKIP_1) | instid1(VALU_DEP_2)
	v_subrev_nc_u32_e32 v131, 28, v130
	v_sub_nc_u32_e32 v130, 29, v130
	v_lshlrev_b32_e32 v131, v131, v128
	v_bfe_u32 v128, v128, 3, 4
	s_delay_alu instid0(VALU_DEP_2) | instskip(NEXT) | instid1(VALU_DEP_2)
	v_and_b32_e32 v131, 7, v131
	v_cmp_eq_u32_e32 vcc_lo, 0, v128
	s_delay_alu instid0(VALU_DEP_2) | instskip(NEXT) | instid1(VALU_DEP_1)
	v_dual_cndmask_b32 v128, v128, v130 :: v_dual_cndmask_b32 v129, v129, v131
	v_lshl_add_u32 v128, v128, 23, 0x3b800000
	s_delay_alu instid0(VALU_DEP_2) | instskip(NEXT) | instid1(VALU_DEP_1)
	v_lshlrev_b32_e32 v129, 20, v129
	v_or3_b32 v128, v99, v128, v129
.LBB2_2901:                             ;   in Loop: Header=BB2_2676 Depth=2
	s_or_b32 exec_lo, exec_lo, s24
	s_delay_alu instid0(VALU_DEP_1) | instskip(NEXT) | instid1(VALU_DEP_1)
	v_add_f32_e32 v119, v119, v128
	v_and_b32_e32 v99, 0x7f800000, v119
	s_delay_alu instid0(VALU_DEP_1)
	v_cmp_ne_u32_e32 vcc_lo, 0x7f800000, v99
	v_mov_b32_e32 v99, 0x80
	s_and_saveexec_b32 s24, vcc_lo
	s_cbranch_execz .LBB2_2909
; %bb.2902:                             ;   in Loop: Header=BB2_2676 Depth=2
	v_mov_b32_e32 v99, 0
	s_mov_b32 s25, exec_lo
	v_cmpx_ne_u32_e32 0, v119
	s_cbranch_execz .LBB2_2908
; %bb.2903:                             ;   in Loop: Header=BB2_2676 Depth=2
	v_bfe_u32 v99, v119, 23, 8
	s_delay_alu instid0(VALU_DEP_1) | instskip(SKIP_1) | instid1(VALU_DEP_2)
	v_sub_nc_u32_e32 v129, 0x78, v99
	v_cmp_gt_u32_e32 vcc_lo, 0x79, v99
	v_dual_cndmask_b32 v129, 0, v129 :: v_dual_and_b32 v128, 0x7fffff, v119
	s_delay_alu instid0(VALU_DEP_1) | instskip(SKIP_2) | instid1(VALU_DEP_4)
	v_or_b32_e32 v130, 0x800000, v128
	v_cmp_eq_u32_e32 vcc_lo, 0, v99
	v_add_nc_u32_e32 v99, 0xffffff89, v99
	v_cndmask_b32_e64 v129, v129, 0x77, vcc_lo
	s_delay_alu instid0(VALU_DEP_4) | instskip(NEXT) | instid1(VALU_DEP_3)
	v_cndmask_b32_e32 v128, v130, v128, vcc_lo
	v_cndmask_b32_e64 v99, v99, 0xffffff8a, vcc_lo
	s_delay_alu instid0(VALU_DEP_3) | instskip(NEXT) | instid1(VALU_DEP_3)
	v_lshl_add_u32 v130, 0x100000, v129, -1
	v_lshrrev_b32_e32 v131, v129, v128
	v_lshlrev_b32_e64 v133, v129, 0x80000
	s_delay_alu instid0(VALU_DEP_4) | instskip(NEXT) | instid1(VALU_DEP_4)
	v_add_nc_u32_e32 v129, v129, v99
	v_and_b32_e32 v128, v130, v128
	s_delay_alu instid0(VALU_DEP_4) | instskip(NEXT) | instid1(VALU_DEP_2)
	v_bfe_u32 v132, v131, 20, 1
	v_cmp_eq_u32_e64 s7, v128, v133
	s_delay_alu instid0(VALU_DEP_2) | instskip(NEXT) | instid1(VALU_DEP_1)
	v_add_nc_u32_e32 v130, -1, v132
	v_cndmask_b32_e64 v128, 0, v130, s7
	v_lshrrev_b32_e32 v130, 23, v131
	s_mov_b32 s7, exec_lo
	s_delay_alu instid0(VALU_DEP_2) | instskip(NEXT) | instid1(VALU_DEP_2)
	v_add_nc_u32_e32 v128, v128, v131
	v_xor_b32_e32 v130, 1, v130
	s_delay_alu instid0(VALU_DEP_2) | instskip(NEXT) | instid1(VALU_DEP_1)
	v_and_b32_e32 v99, 0xfffff, v128
	v_add_nc_u32_e32 v128, v99, v131
                                        ; implicit-def: $vgpr99
	s_delay_alu instid0(VALU_DEP_3)
	v_cmpx_ne_u32_e64 v129, v130
	s_xor_b32 s7, exec_lo, s7
; %bb.2904:                             ;   in Loop: Header=BB2_2676 Depth=2
	s_delay_alu instid0(VALU_DEP_2) | instskip(SKIP_2) | instid1(VALU_DEP_2)
	v_cmp_lt_u32_e32 vcc_lo, 0xffffff, v128
	v_sub_nc_u32_e32 v99, v129, v130
	v_cndmask_b32_e64 v129, 0, 1, vcc_lo
	v_add_co_ci_u32_e32 v99, vcc_lo, 0, v99, vcc_lo
	s_delay_alu instid0(VALU_DEP_2)
	v_lshrrev_b32_e32 v128, v129, v128
; %bb.2905:                             ;   in Loop: Header=BB2_2676 Depth=2
	s_and_not1_saveexec_b32 s7, s7
; %bb.2906:                             ;   in Loop: Header=BB2_2676 Depth=2
	s_delay_alu instid0(VALU_DEP_1)
	v_bfe_u32 v99, v128, 23, 1
; %bb.2907:                             ;   in Loop: Header=BB2_2676 Depth=2
	s_or_b32 exec_lo, exec_lo, s7
	v_lshrrev_b32_e32 v128, 20, v128
	s_delay_alu instid0(VALU_DEP_2) | instskip(SKIP_2) | instid1(VALU_DEP_2)
	v_cmp_gt_i32_e32 vcc_lo, 16, v99
	v_lshrrev_b32_e32 v119, 24, v119
	v_min_i32_e32 v129, 15, v99
	v_dual_cndmask_b32 v128, 7, v128 :: v_dual_and_b32 v119, 0x80, v119
	s_delay_alu instid0(VALU_DEP_2) | instskip(NEXT) | instid1(VALU_DEP_2)
	v_lshlrev_b32_e32 v129, 3, v129
	v_or_b32_e32 v99, v99, v128
	s_delay_alu instid0(VALU_DEP_1) | instskip(SKIP_1) | instid1(VALU_DEP_1)
	v_cmp_ne_u32_e32 vcc_lo, 0, v99
	v_and_b32_e32 v130, 7, v128
	v_or3_b32 v119, v129, v119, v130
	s_delay_alu instid0(VALU_DEP_1)
	v_cndmask_b32_e32 v99, 0, v119, vcc_lo
.LBB2_2908:                             ;   in Loop: Header=BB2_2676 Depth=2
	s_or_b32 exec_lo, exec_lo, s25
.LBB2_2909:                             ;   in Loop: Header=BB2_2676 Depth=2
	s_delay_alu instid0(SALU_CYCLE_1) | instskip(SKIP_3) | instid1(VALU_DEP_1)
	s_or_b32 exec_lo, exec_lo, s24
	v_and_b32_e32 v128, 0xff, v113
	s_mov_b32 s7, 0
	s_mov_b32 s25, exec_lo
                                        ; implicit-def: $sgpr24
	v_cmpx_lt_i16_e64 0x7f, v128
	s_xor_b32 s25, exec_lo, s25
	s_cbranch_execnz .LBB2_3211
; %bb.2910:                             ;   in Loop: Header=BB2_2676 Depth=2
	s_or_saveexec_b32 s25, s25
	v_mov_b32_e32 v119, s24
	s_xor_b32 exec_lo, exec_lo, s25
	s_cbranch_execnz .LBB2_3214
.LBB2_2911:                             ;   in Loop: Header=BB2_2676 Depth=2
	s_or_b32 exec_lo, exec_lo, s25
	s_and_saveexec_b32 s24, s7
	s_cbranch_execz .LBB2_2913
.LBB2_2912:                             ;   in Loop: Header=BB2_2676 Depth=2
	v_bfe_u32 v130, v113, 3, 4
	s_delay_alu instid0(VALU_DEP_1) | instskip(SKIP_1) | instid1(VALU_DEP_1)
	v_cmp_eq_u32_e32 vcc_lo, 0, v130
	v_and_b32_e32 v119, 7, v113
	v_clz_i32_u32_e32 v128, v119
	s_delay_alu instid0(VALU_DEP_1) | instskip(NEXT) | instid1(VALU_DEP_1)
	v_min_u32_e32 v128, 32, v128
	v_subrev_nc_u32_e32 v129, 28, v128
	v_sub_nc_u32_e32 v128, 29, v128
	s_delay_alu instid0(VALU_DEP_1) | instskip(SKIP_1) | instid1(VALU_DEP_2)
	v_dual_cndmask_b32 v128, v130, v128 :: v_dual_lshlrev_b32 v129, v129, v113
	v_lshlrev_b32_e32 v113, 24, v113
	v_and_b32_e32 v129, 7, v129
	s_delay_alu instid0(VALU_DEP_3) | instskip(NEXT) | instid1(VALU_DEP_3)
	v_lshl_add_u32 v128, v128, 23, 0x3b800000
	v_and_b32_e32 v113, 0x80000000, v113
	s_delay_alu instid0(VALU_DEP_3) | instskip(NEXT) | instid1(VALU_DEP_1)
	v_cndmask_b32_e32 v119, v119, v129, vcc_lo
	v_lshlrev_b32_e32 v119, 20, v119
	s_delay_alu instid0(VALU_DEP_1)
	v_or3_b32 v119, v113, v128, v119
.LBB2_2913:                             ;   in Loop: Header=BB2_2676 Depth=2
	s_or_b32 exec_lo, exec_lo, s24
	v_lshrrev_b32_e32 v113, 16, v10
	s_mov_b32 s7, 0
	s_mov_b32 s25, exec_lo
                                        ; implicit-def: $sgpr24
	s_delay_alu instid0(VALU_DEP_1) | instskip(NEXT) | instid1(VALU_DEP_1)
	v_and_b32_e32 v129, 0xff, v113
	v_cmpx_lt_i16_e64 0x7f, v129
	s_xor_b32 s25, exec_lo, s25
	s_cbranch_execnz .LBB2_3215
; %bb.2914:                             ;   in Loop: Header=BB2_2676 Depth=2
	s_or_saveexec_b32 s25, s25
	v_mov_b32_e32 v128, s24
	s_xor_b32 exec_lo, exec_lo, s25
	s_cbranch_execnz .LBB2_3218
.LBB2_2915:                             ;   in Loop: Header=BB2_2676 Depth=2
	s_or_b32 exec_lo, exec_lo, s25
	s_and_saveexec_b32 s24, s7
	s_cbranch_execz .LBB2_2917
.LBB2_2916:                             ;   in Loop: Header=BB2_2676 Depth=2
	v_bfe_u32 v128, v10, 16, 3
	v_lshlrev_b32_e32 v131, 8, v10
	s_delay_alu instid0(VALU_DEP_2) | instskip(NEXT) | instid1(VALU_DEP_1)
	v_clz_i32_u32_e32 v129, v128
	v_min_u32_e32 v129, 32, v129
	s_delay_alu instid0(VALU_DEP_1) | instskip(SKIP_1) | instid1(VALU_DEP_2)
	v_subrev_nc_u32_e32 v130, 28, v129
	v_sub_nc_u32_e32 v129, 29, v129
	v_lshlrev_b32_e32 v113, v130, v113
	v_bfe_u32 v130, v10, 19, 4
	s_delay_alu instid0(VALU_DEP_2) | instskip(NEXT) | instid1(VALU_DEP_2)
	v_and_b32_e32 v113, 7, v113
	v_cmp_eq_u32_e32 vcc_lo, 0, v130
	v_cndmask_b32_e32 v129, v130, v129, vcc_lo
	s_delay_alu instid0(VALU_DEP_3) | instskip(NEXT) | instid1(VALU_DEP_2)
	v_dual_cndmask_b32 v113, v128, v113 :: v_dual_and_b32 v128, 0x80000000, v131
	v_lshl_add_u32 v129, v129, 23, 0x3b800000
	s_delay_alu instid0(VALU_DEP_2) | instskip(NEXT) | instid1(VALU_DEP_1)
	v_lshlrev_b32_e32 v113, 20, v113
	v_or3_b32 v128, v128, v129, v113
.LBB2_2917:                             ;   in Loop: Header=BB2_2676 Depth=2
	s_or_b32 exec_lo, exec_lo, s24
	s_delay_alu instid0(VALU_DEP_1) | instskip(NEXT) | instid1(VALU_DEP_1)
	v_add_f32_e32 v119, v119, v128
	v_and_b32_e32 v113, 0x7f800000, v119
	s_delay_alu instid0(VALU_DEP_1)
	v_cmp_ne_u32_e32 vcc_lo, 0x7f800000, v113
	v_mov_b32_e32 v113, 0x80
	s_and_saveexec_b32 s24, vcc_lo
	s_cbranch_execz .LBB2_2925
; %bb.2918:                             ;   in Loop: Header=BB2_2676 Depth=2
	v_mov_b32_e32 v113, 0
	s_mov_b32 s25, exec_lo
	v_cmpx_ne_u32_e32 0, v119
	s_cbranch_execz .LBB2_2924
; %bb.2919:                             ;   in Loop: Header=BB2_2676 Depth=2
	v_bfe_u32 v113, v119, 23, 8
	s_delay_alu instid0(VALU_DEP_1) | instskip(SKIP_1) | instid1(VALU_DEP_2)
	v_sub_nc_u32_e32 v129, 0x78, v113
	v_cmp_gt_u32_e32 vcc_lo, 0x79, v113
	v_dual_cndmask_b32 v129, 0, v129 :: v_dual_and_b32 v128, 0x7fffff, v119
	s_delay_alu instid0(VALU_DEP_1) | instskip(SKIP_2) | instid1(VALU_DEP_4)
	v_or_b32_e32 v130, 0x800000, v128
	v_cmp_eq_u32_e32 vcc_lo, 0, v113
	v_add_nc_u32_e32 v113, 0xffffff89, v113
	v_cndmask_b32_e64 v129, v129, 0x77, vcc_lo
	s_delay_alu instid0(VALU_DEP_4) | instskip(NEXT) | instid1(VALU_DEP_3)
	v_cndmask_b32_e32 v128, v130, v128, vcc_lo
	v_cndmask_b32_e64 v113, v113, 0xffffff8a, vcc_lo
	s_delay_alu instid0(VALU_DEP_3) | instskip(NEXT) | instid1(VALU_DEP_3)
	v_lshl_add_u32 v130, 0x100000, v129, -1
	v_lshrrev_b32_e32 v131, v129, v128
	v_lshlrev_b32_e64 v133, v129, 0x80000
	s_delay_alu instid0(VALU_DEP_4) | instskip(NEXT) | instid1(VALU_DEP_4)
	v_add_nc_u32_e32 v129, v129, v113
	v_and_b32_e32 v128, v130, v128
	s_delay_alu instid0(VALU_DEP_4) | instskip(NEXT) | instid1(VALU_DEP_2)
	v_bfe_u32 v132, v131, 20, 1
	v_cmp_eq_u32_e64 s7, v128, v133
	s_delay_alu instid0(VALU_DEP_2) | instskip(NEXT) | instid1(VALU_DEP_1)
	v_add_nc_u32_e32 v130, -1, v132
	v_cndmask_b32_e64 v128, 0, v130, s7
	v_lshrrev_b32_e32 v130, 23, v131
	s_mov_b32 s7, exec_lo
	s_delay_alu instid0(VALU_DEP_2) | instskip(NEXT) | instid1(VALU_DEP_2)
	v_add_nc_u32_e32 v128, v128, v131
	v_xor_b32_e32 v130, 1, v130
	s_delay_alu instid0(VALU_DEP_2) | instskip(NEXT) | instid1(VALU_DEP_1)
	v_and_b32_e32 v113, 0xfffff, v128
	v_add_nc_u32_e32 v128, v113, v131
                                        ; implicit-def: $vgpr113
	s_delay_alu instid0(VALU_DEP_3)
	v_cmpx_ne_u32_e64 v129, v130
	s_xor_b32 s7, exec_lo, s7
; %bb.2920:                             ;   in Loop: Header=BB2_2676 Depth=2
	s_delay_alu instid0(VALU_DEP_2) | instskip(SKIP_2) | instid1(VALU_DEP_2)
	v_cmp_lt_u32_e32 vcc_lo, 0xffffff, v128
	v_sub_nc_u32_e32 v113, v129, v130
	v_cndmask_b32_e64 v129, 0, 1, vcc_lo
	v_add_co_ci_u32_e32 v113, vcc_lo, 0, v113, vcc_lo
	s_delay_alu instid0(VALU_DEP_2)
	v_lshrrev_b32_e32 v128, v129, v128
; %bb.2921:                             ;   in Loop: Header=BB2_2676 Depth=2
	s_and_not1_saveexec_b32 s7, s7
; %bb.2922:                             ;   in Loop: Header=BB2_2676 Depth=2
	s_delay_alu instid0(VALU_DEP_1)
	v_bfe_u32 v113, v128, 23, 1
; %bb.2923:                             ;   in Loop: Header=BB2_2676 Depth=2
	s_or_b32 exec_lo, exec_lo, s7
	v_lshrrev_b32_e32 v128, 20, v128
	s_delay_alu instid0(VALU_DEP_2) | instskip(SKIP_2) | instid1(VALU_DEP_2)
	v_cmp_gt_i32_e32 vcc_lo, 16, v113
	v_lshrrev_b32_e32 v119, 24, v119
	v_min_i32_e32 v129, 15, v113
	v_dual_cndmask_b32 v128, 7, v128 :: v_dual_and_b32 v119, 0x80, v119
	s_delay_alu instid0(VALU_DEP_2) | instskip(NEXT) | instid1(VALU_DEP_2)
	v_lshlrev_b32_e32 v129, 3, v129
	v_or_b32_e32 v113, v113, v128
	s_delay_alu instid0(VALU_DEP_1) | instskip(SKIP_1) | instid1(VALU_DEP_1)
	v_cmp_ne_u32_e32 vcc_lo, 0, v113
	v_and_b32_e32 v130, 7, v128
	v_or3_b32 v119, v129, v119, v130
	s_delay_alu instid0(VALU_DEP_1)
	v_cndmask_b32_e32 v113, 0, v119, vcc_lo
.LBB2_2924:                             ;   in Loop: Header=BB2_2676 Depth=2
	s_or_b32 exec_lo, exec_lo, s25
.LBB2_2925:                             ;   in Loop: Header=BB2_2676 Depth=2
	s_delay_alu instid0(SALU_CYCLE_1) | instskip(SKIP_3) | instid1(VALU_DEP_1)
	s_or_b32 exec_lo, exec_lo, s24
	v_and_b32_e32 v128, 0xff, v116
	s_mov_b32 s7, 0
	s_mov_b32 s25, exec_lo
                                        ; implicit-def: $sgpr24
	v_cmpx_lt_i16_e64 0x7f, v128
	s_xor_b32 s25, exec_lo, s25
	s_cbranch_execnz .LBB2_3219
; %bb.2926:                             ;   in Loop: Header=BB2_2676 Depth=2
	s_or_saveexec_b32 s25, s25
	v_mov_b32_e32 v119, s24
	s_xor_b32 exec_lo, exec_lo, s25
	s_cbranch_execnz .LBB2_3222
.LBB2_2927:                             ;   in Loop: Header=BB2_2676 Depth=2
	s_or_b32 exec_lo, exec_lo, s25
	s_and_saveexec_b32 s24, s7
	s_cbranch_execz .LBB2_2929
.LBB2_2928:                             ;   in Loop: Header=BB2_2676 Depth=2
	v_lshlrev_b32_e32 v116, 8, v116
	s_delay_alu instid0(VALU_DEP_1) | instskip(SKIP_1) | instid1(VALU_DEP_2)
	v_and_b32_e32 v119, 0xff00, v116
	v_bfe_u32 v116, v116, 11, 4
	v_bfe_u32 v129, v119, 8, 3
	s_delay_alu instid0(VALU_DEP_2) | instskip(NEXT) | instid1(VALU_DEP_2)
	v_cmp_eq_u32_e32 vcc_lo, 0, v116
	v_clz_i32_u32_e32 v130, v129
	s_delay_alu instid0(VALU_DEP_1) | instskip(NEXT) | instid1(VALU_DEP_1)
	v_min_u32_e32 v130, 32, v130
	v_subrev_nc_u32_e32 v131, 28, v130
	v_sub_nc_u32_e32 v130, 29, v130
	s_delay_alu instid0(VALU_DEP_2) | instskip(NEXT) | instid1(VALU_DEP_2)
	v_lshlrev_b32_e32 v128, v131, v128
	v_cndmask_b32_e32 v116, v116, v130, vcc_lo
	s_delay_alu instid0(VALU_DEP_2) | instskip(SKIP_1) | instid1(VALU_DEP_3)
	v_and_b32_e32 v128, 7, v128
	v_lshlrev_b32_e32 v119, 16, v119
	v_lshl_add_u32 v116, v116, 23, 0x3b800000
	s_delay_alu instid0(VALU_DEP_2) | instskip(NEXT) | instid1(VALU_DEP_1)
	v_dual_cndmask_b32 v128, v129, v128 :: v_dual_and_b32 v119, 0x80000000, v119
	v_lshlrev_b32_e32 v128, 20, v128
	s_delay_alu instid0(VALU_DEP_1)
	v_or3_b32 v119, v119, v116, v128
.LBB2_2929:                             ;   in Loop: Header=BB2_2676 Depth=2
	s_or_b32 exec_lo, exec_lo, s24
	v_lshrrev_b32_e32 v116, 24, v10
	s_mov_b32 s7, 0
	s_mov_b32 s25, exec_lo
                                        ; implicit-def: $sgpr24
	s_delay_alu instid0(VALU_DEP_1)
	v_cmpx_lt_i16_e32 0x7f, v116
	s_xor_b32 s25, exec_lo, s25
	s_cbranch_execnz .LBB2_3223
; %bb.2930:                             ;   in Loop: Header=BB2_2676 Depth=2
	s_or_saveexec_b32 s25, s25
	v_mov_b32_e32 v128, s24
	s_xor_b32 exec_lo, exec_lo, s25
	s_cbranch_execnz .LBB2_3226
.LBB2_2931:                             ;   in Loop: Header=BB2_2676 Depth=2
	s_or_b32 exec_lo, exec_lo, s25
	s_and_saveexec_b32 s24, s7
	s_cbranch_execz .LBB2_2933
.LBB2_2932:                             ;   in Loop: Header=BB2_2676 Depth=2
	v_bfe_u32 v128, v10, 24, 3
	s_delay_alu instid0(VALU_DEP_1) | instskip(NEXT) | instid1(VALU_DEP_1)
	v_clz_i32_u32_e32 v129, v128
	v_min_u32_e32 v129, 32, v129
	s_delay_alu instid0(VALU_DEP_1) | instskip(SKIP_1) | instid1(VALU_DEP_2)
	v_subrev_nc_u32_e32 v130, 28, v129
	v_sub_nc_u32_e32 v129, 29, v129
	v_lshlrev_b32_e32 v116, v130, v116
	v_bfe_u32 v130, v10, 27, 4
	v_and_b32_e32 v10, 0x80000000, v10
	s_delay_alu instid0(VALU_DEP_2) | instskip(NEXT) | instid1(VALU_DEP_4)
	v_cmp_eq_u32_e32 vcc_lo, 0, v130
	v_dual_cndmask_b32 v129, v130, v129 :: v_dual_and_b32 v116, 7, v116
	s_delay_alu instid0(VALU_DEP_1) | instskip(NEXT) | instid1(VALU_DEP_2)
	v_cndmask_b32_e32 v116, v128, v116, vcc_lo
	v_lshl_add_u32 v128, v129, 23, 0x3b800000
	s_delay_alu instid0(VALU_DEP_2) | instskip(NEXT) | instid1(VALU_DEP_1)
	v_lshlrev_b32_e32 v116, 20, v116
	v_or3_b32 v128, v10, v128, v116
.LBB2_2933:                             ;   in Loop: Header=BB2_2676 Depth=2
	s_or_b32 exec_lo, exec_lo, s24
	s_delay_alu instid0(VALU_DEP_1) | instskip(NEXT) | instid1(VALU_DEP_1)
	v_add_f32_e32 v116, v119, v128
	v_and_b32_e32 v10, 0x7f800000, v116
	s_delay_alu instid0(VALU_DEP_1)
	v_cmp_ne_u32_e32 vcc_lo, 0x7f800000, v10
	v_mov_b32_e32 v10, 0x80
	s_and_saveexec_b32 s24, vcc_lo
	s_cbranch_execz .LBB2_2941
; %bb.2934:                             ;   in Loop: Header=BB2_2676 Depth=2
	v_mov_b32_e32 v10, 0
	s_mov_b32 s25, exec_lo
	v_cmpx_ne_u32_e32 0, v116
	s_cbranch_execz .LBB2_2940
; %bb.2935:                             ;   in Loop: Header=BB2_2676 Depth=2
	v_bfe_u32 v10, v116, 23, 8
	v_and_b32_e32 v119, 0x7fffff, v116
	s_delay_alu instid0(VALU_DEP_2) | instskip(SKIP_1) | instid1(VALU_DEP_3)
	v_sub_nc_u32_e32 v128, 0x78, v10
	v_cmp_gt_u32_e32 vcc_lo, 0x79, v10
	v_or_b32_e32 v129, 0x800000, v119
	s_delay_alu instid0(VALU_DEP_3) | instskip(SKIP_1) | instid1(VALU_DEP_3)
	v_cndmask_b32_e32 v128, 0, v128, vcc_lo
	v_cmp_eq_u32_e32 vcc_lo, 0, v10
	v_dual_cndmask_b32 v119, v129, v119 :: v_dual_add_nc_u32 v10, 0xffffff89, v10
	s_delay_alu instid0(VALU_DEP_3) | instskip(NEXT) | instid1(VALU_DEP_2)
	v_cndmask_b32_e64 v128, v128, 0x77, vcc_lo
	v_cndmask_b32_e64 v10, v10, 0xffffff8a, vcc_lo
	s_delay_alu instid0(VALU_DEP_2) | instskip(SKIP_2) | instid1(VALU_DEP_4)
	v_lshrrev_b32_e32 v130, v128, v119
	v_lshl_add_u32 v129, 0x100000, v128, -1
	v_lshlrev_b32_e64 v132, v128, 0x80000
	v_add_nc_u32_e32 v128, v128, v10
	s_delay_alu instid0(VALU_DEP_4) | instskip(NEXT) | instid1(VALU_DEP_4)
	v_bfe_u32 v131, v130, 20, 1
	v_and_b32_e32 v119, v129, v119
	s_delay_alu instid0(VALU_DEP_2) | instskip(NEXT) | instid1(VALU_DEP_2)
	v_add_nc_u32_e32 v129, -1, v131
	v_cmp_eq_u32_e64 s7, v119, v132
	s_delay_alu instid0(VALU_DEP_1) | instskip(SKIP_2) | instid1(VALU_DEP_2)
	v_cndmask_b32_e64 v119, 0, v129, s7
	v_lshrrev_b32_e32 v129, 23, v130
	s_mov_b32 s7, exec_lo
	v_add_nc_u32_e32 v119, v119, v130
	s_delay_alu instid0(VALU_DEP_2) | instskip(NEXT) | instid1(VALU_DEP_2)
	v_xor_b32_e32 v129, 1, v129
	v_and_b32_e32 v10, 0xfffff, v119
	s_delay_alu instid0(VALU_DEP_1) | instskip(NEXT) | instid1(VALU_DEP_3)
	v_add_nc_u32_e32 v119, v10, v130
                                        ; implicit-def: $vgpr10
	v_cmpx_ne_u32_e64 v128, v129
	s_xor_b32 s7, exec_lo, s7
; %bb.2936:                             ;   in Loop: Header=BB2_2676 Depth=2
	s_delay_alu instid0(VALU_DEP_2) | instskip(SKIP_2) | instid1(VALU_DEP_2)
	v_cmp_lt_u32_e32 vcc_lo, 0xffffff, v119
	v_sub_nc_u32_e32 v10, v128, v129
	v_cndmask_b32_e64 v128, 0, 1, vcc_lo
	v_add_co_ci_u32_e32 v10, vcc_lo, 0, v10, vcc_lo
	s_delay_alu instid0(VALU_DEP_2)
	v_lshrrev_b32_e32 v119, v128, v119
; %bb.2937:                             ;   in Loop: Header=BB2_2676 Depth=2
	s_and_not1_saveexec_b32 s7, s7
; %bb.2938:                             ;   in Loop: Header=BB2_2676 Depth=2
	s_delay_alu instid0(VALU_DEP_1)
	v_bfe_u32 v10, v119, 23, 1
; %bb.2939:                             ;   in Loop: Header=BB2_2676 Depth=2
	s_or_b32 exec_lo, exec_lo, s7
	v_lshrrev_b32_e32 v119, 20, v119
	s_delay_alu instid0(VALU_DEP_2) | instskip(SKIP_2) | instid1(VALU_DEP_2)
	v_cmp_gt_i32_e32 vcc_lo, 16, v10
	v_lshrrev_b32_e32 v116, 24, v116
	v_min_i32_e32 v128, 15, v10
	v_dual_cndmask_b32 v119, 7, v119 :: v_dual_and_b32 v116, 0x80, v116
	s_delay_alu instid0(VALU_DEP_2) | instskip(NEXT) | instid1(VALU_DEP_2)
	v_lshlrev_b32_e32 v128, 3, v128
	v_or_b32_e32 v10, v10, v119
	s_delay_alu instid0(VALU_DEP_1) | instskip(SKIP_1) | instid1(VALU_DEP_1)
	v_cmp_ne_u32_e32 vcc_lo, 0, v10
	v_and_b32_e32 v129, 7, v119
	v_or3_b32 v116, v128, v116, v129
	s_delay_alu instid0(VALU_DEP_1)
	v_cndmask_b32_e32 v10, 0, v116, vcc_lo
.LBB2_2940:                             ;   in Loop: Header=BB2_2676 Depth=2
	s_or_b32 exec_lo, exec_lo, s25
.LBB2_2941:                             ;   in Loop: Header=BB2_2676 Depth=2
	s_delay_alu instid0(SALU_CYCLE_1) | instskip(SKIP_3) | instid1(VALU_DEP_1)
	s_or_b32 exec_lo, exec_lo, s24
	v_or_b32_e32 v118, v118, v115
	s_mov_b32 s7, 0
	s_mov_b32 s25, exec_lo
                                        ; implicit-def: $sgpr24
	v_and_b32_e32 v116, 0xff, v118
	s_delay_alu instid0(VALU_DEP_1)
	v_cmpx_lt_i16_e32 0x7f, v116
	s_xor_b32 s25, exec_lo, s25
	s_cbranch_execnz .LBB2_3227
; %bb.2942:                             ;   in Loop: Header=BB2_2676 Depth=2
	s_or_saveexec_b32 s25, s25
	v_mov_b32_e32 v115, s24
	s_xor_b32 exec_lo, exec_lo, s25
	s_cbranch_execnz .LBB2_3230
.LBB2_2943:                             ;   in Loop: Header=BB2_2676 Depth=2
	s_or_b32 exec_lo, exec_lo, s25
	s_and_saveexec_b32 s24, s7
	s_cbranch_execz .LBB2_2945
.LBB2_2944:                             ;   in Loop: Header=BB2_2676 Depth=2
	v_bfe_u32 v128, v118, 3, 4
	v_lshlrev_b32_e32 v129, 24, v118
	s_delay_alu instid0(VALU_DEP_2) | instskip(SKIP_1) | instid1(VALU_DEP_1)
	v_cmp_eq_u32_e32 vcc_lo, 0, v128
	v_and_b32_e32 v115, 7, v118
	v_clz_i32_u32_e32 v116, v115
	s_delay_alu instid0(VALU_DEP_1) | instskip(NEXT) | instid1(VALU_DEP_1)
	v_min_u32_e32 v116, 32, v116
	v_subrev_nc_u32_e32 v119, 28, v116
	v_sub_nc_u32_e32 v116, 29, v116
	s_delay_alu instid0(VALU_DEP_1) | instskip(NEXT) | instid1(VALU_DEP_1)
	v_dual_cndmask_b32 v116, v128, v116 :: v_dual_lshlrev_b32 v119, v119, v118
	v_and_b32_e32 v119, 7, v119
	s_delay_alu instid0(VALU_DEP_2) | instskip(NEXT) | instid1(VALU_DEP_2)
	v_lshl_add_u32 v116, v116, 23, 0x3b800000
	v_cndmask_b32_e32 v115, v115, v119, vcc_lo
	v_and_b32_e32 v119, 0x80000000, v129
	s_delay_alu instid0(VALU_DEP_2) | instskip(NEXT) | instid1(VALU_DEP_1)
	v_lshlrev_b32_e32 v115, 20, v115
	v_or3_b32 v115, v119, v116, v115
.LBB2_2945:                             ;   in Loop: Header=BB2_2676 Depth=2
	s_or_b32 exec_lo, exec_lo, s24
	v_and_b32_e32 v119, 0xff, v11
	s_mov_b32 s7, 0
	s_mov_b32 s25, exec_lo
                                        ; implicit-def: $sgpr24
	s_delay_alu instid0(VALU_DEP_1)
	v_cmpx_lt_i16_e32 0x7f, v119
	s_xor_b32 s25, exec_lo, s25
	s_cbranch_execnz .LBB2_3231
; %bb.2946:                             ;   in Loop: Header=BB2_2676 Depth=2
	s_or_saveexec_b32 s25, s25
	v_mov_b32_e32 v116, s24
	s_xor_b32 exec_lo, exec_lo, s25
	s_cbranch_execnz .LBB2_3234
.LBB2_2947:                             ;   in Loop: Header=BB2_2676 Depth=2
	s_or_b32 exec_lo, exec_lo, s25
	s_and_saveexec_b32 s24, s7
	s_cbranch_execz .LBB2_2949
.LBB2_2948:                             ;   in Loop: Header=BB2_2676 Depth=2
	v_and_b32_e32 v116, 7, v11
	v_bfe_u32 v129, v11, 3, 4
	v_lshlrev_b32_e32 v130, 24, v11
	s_delay_alu instid0(VALU_DEP_3) | instskip(NEXT) | instid1(VALU_DEP_3)
	v_clz_i32_u32_e32 v119, v116
	v_cmp_eq_u32_e32 vcc_lo, 0, v129
	s_delay_alu instid0(VALU_DEP_2) | instskip(NEXT) | instid1(VALU_DEP_1)
	v_min_u32_e32 v119, 32, v119
	v_subrev_nc_u32_e32 v128, 28, v119
	v_sub_nc_u32_e32 v119, 29, v119
	s_delay_alu instid0(VALU_DEP_2) | instskip(NEXT) | instid1(VALU_DEP_1)
	v_lshlrev_b32_e32 v128, v128, v11
	v_dual_cndmask_b32 v119, v129, v119 :: v_dual_and_b32 v128, 7, v128
	s_delay_alu instid0(VALU_DEP_1) | instskip(NEXT) | instid1(VALU_DEP_2)
	v_lshl_add_u32 v119, v119, 23, 0x3b800000
	v_cndmask_b32_e32 v116, v116, v128, vcc_lo
	v_and_b32_e32 v128, 0x80000000, v130
	s_delay_alu instid0(VALU_DEP_2) | instskip(NEXT) | instid1(VALU_DEP_1)
	v_lshlrev_b32_e32 v116, 20, v116
	v_or3_b32 v116, v128, v119, v116
.LBB2_2949:                             ;   in Loop: Header=BB2_2676 Depth=2
	s_or_b32 exec_lo, exec_lo, s24
	s_delay_alu instid0(VALU_DEP_1) | instskip(NEXT) | instid1(VALU_DEP_1)
	v_add_f32_e32 v116, v115, v116
	v_and_b32_e32 v115, 0x7f800000, v116
	s_delay_alu instid0(VALU_DEP_1)
	v_cmp_ne_u32_e32 vcc_lo, 0x7f800000, v115
	v_mov_b32_e32 v115, 0x80
	s_and_saveexec_b32 s24, vcc_lo
	s_cbranch_execz .LBB2_2957
; %bb.2950:                             ;   in Loop: Header=BB2_2676 Depth=2
	v_mov_b32_e32 v115, 0
	s_mov_b32 s25, exec_lo
	v_cmpx_ne_u32_e32 0, v116
	s_cbranch_execz .LBB2_2956
; %bb.2951:                             ;   in Loop: Header=BB2_2676 Depth=2
	v_bfe_u32 v115, v116, 23, 8
	v_and_b32_e32 v119, 0x7fffff, v116
	s_delay_alu instid0(VALU_DEP_2) | instskip(SKIP_1) | instid1(VALU_DEP_3)
	v_sub_nc_u32_e32 v128, 0x78, v115
	v_cmp_gt_u32_e32 vcc_lo, 0x79, v115
	v_or_b32_e32 v129, 0x800000, v119
	s_delay_alu instid0(VALU_DEP_3) | instskip(SKIP_2) | instid1(VALU_DEP_4)
	v_cndmask_b32_e32 v128, 0, v128, vcc_lo
	v_cmp_eq_u32_e32 vcc_lo, 0, v115
	v_add_nc_u32_e32 v115, 0xffffff89, v115
	v_cndmask_b32_e32 v119, v129, v119, vcc_lo
	s_delay_alu instid0(VALU_DEP_4) | instskip(NEXT) | instid1(VALU_DEP_3)
	v_cndmask_b32_e64 v128, v128, 0x77, vcc_lo
	v_cndmask_b32_e64 v115, v115, 0xffffff8a, vcc_lo
	s_delay_alu instid0(VALU_DEP_2) | instskip(SKIP_2) | instid1(VALU_DEP_4)
	v_lshrrev_b32_e32 v130, v128, v119
	v_lshl_add_u32 v129, 0x100000, v128, -1
	v_lshlrev_b32_e64 v132, v128, 0x80000
	v_add_nc_u32_e32 v128, v128, v115
	s_delay_alu instid0(VALU_DEP_4) | instskip(NEXT) | instid1(VALU_DEP_4)
	v_bfe_u32 v131, v130, 20, 1
	v_and_b32_e32 v119, v129, v119
	s_delay_alu instid0(VALU_DEP_2) | instskip(NEXT) | instid1(VALU_DEP_2)
	v_add_nc_u32_e32 v129, -1, v131
	v_cmp_eq_u32_e64 s7, v119, v132
	s_delay_alu instid0(VALU_DEP_1) | instskip(SKIP_2) | instid1(VALU_DEP_2)
	v_cndmask_b32_e64 v119, 0, v129, s7
	v_lshrrev_b32_e32 v129, 23, v130
	s_mov_b32 s7, exec_lo
	v_add_nc_u32_e32 v119, v119, v130
	s_delay_alu instid0(VALU_DEP_2) | instskip(NEXT) | instid1(VALU_DEP_2)
	v_xor_b32_e32 v129, 1, v129
	v_and_b32_e32 v115, 0xfffff, v119
	s_delay_alu instid0(VALU_DEP_1) | instskip(NEXT) | instid1(VALU_DEP_3)
	v_add_nc_u32_e32 v119, v115, v130
                                        ; implicit-def: $vgpr115
	v_cmpx_ne_u32_e64 v128, v129
	s_xor_b32 s7, exec_lo, s7
; %bb.2952:                             ;   in Loop: Header=BB2_2676 Depth=2
	s_delay_alu instid0(VALU_DEP_2) | instskip(SKIP_2) | instid1(VALU_DEP_2)
	v_cmp_lt_u32_e32 vcc_lo, 0xffffff, v119
	v_sub_nc_u32_e32 v115, v128, v129
	v_cndmask_b32_e64 v128, 0, 1, vcc_lo
	v_add_co_ci_u32_e32 v115, vcc_lo, 0, v115, vcc_lo
	s_delay_alu instid0(VALU_DEP_2)
	v_lshrrev_b32_e32 v119, v128, v119
; %bb.2953:                             ;   in Loop: Header=BB2_2676 Depth=2
	s_and_not1_saveexec_b32 s7, s7
; %bb.2954:                             ;   in Loop: Header=BB2_2676 Depth=2
	s_delay_alu instid0(VALU_DEP_1)
	v_bfe_u32 v115, v119, 23, 1
; %bb.2955:                             ;   in Loop: Header=BB2_2676 Depth=2
	s_or_b32 exec_lo, exec_lo, s7
	v_lshrrev_b32_e32 v119, 20, v119
	s_delay_alu instid0(VALU_DEP_2) | instskip(SKIP_2) | instid1(VALU_DEP_2)
	v_cmp_gt_i32_e32 vcc_lo, 16, v115
	v_lshrrev_b32_e32 v116, 24, v116
	v_min_i32_e32 v128, 15, v115
	v_dual_cndmask_b32 v119, 7, v119 :: v_dual_and_b32 v116, 0x80, v116
	s_delay_alu instid0(VALU_DEP_2) | instskip(NEXT) | instid1(VALU_DEP_2)
	v_lshlrev_b32_e32 v128, 3, v128
	v_and_b32_e32 v129, 7, v119
	v_or_b32_e32 v115, v115, v119
	s_delay_alu instid0(VALU_DEP_2) | instskip(NEXT) | instid1(VALU_DEP_2)
	v_or3_b32 v116, v128, v116, v129
	v_cmp_ne_u32_e32 vcc_lo, 0, v115
	s_delay_alu instid0(VALU_DEP_2)
	v_cndmask_b32_e32 v115, 0, v116, vcc_lo
.LBB2_2956:                             ;   in Loop: Header=BB2_2676 Depth=2
	s_or_b32 exec_lo, exec_lo, s25
.LBB2_2957:                             ;   in Loop: Header=BB2_2676 Depth=2
	s_delay_alu instid0(SALU_CYCLE_1) | instskip(SKIP_3) | instid1(VALU_DEP_1)
	s_or_b32 exec_lo, exec_lo, s24
	v_lshrrev_b16 v119, 8, v118
	s_mov_b32 s7, 0
	s_mov_b32 s25, exec_lo
                                        ; implicit-def: $sgpr24
	v_cmpx_lt_i16_e32 0x7f, v119
	s_xor_b32 s25, exec_lo, s25
	s_cbranch_execnz .LBB2_3235
; %bb.2958:                             ;   in Loop: Header=BB2_2676 Depth=2
	s_or_saveexec_b32 s25, s25
	v_mov_b32_e32 v116, s24
	s_xor_b32 exec_lo, exec_lo, s25
	s_cbranch_execnz .LBB2_3238
.LBB2_2959:                             ;   in Loop: Header=BB2_2676 Depth=2
	s_or_b32 exec_lo, exec_lo, s25
	s_and_saveexec_b32 s24, s7
	s_cbranch_execz .LBB2_2961
.LBB2_2960:                             ;   in Loop: Header=BB2_2676 Depth=2
	v_and_b32_e32 v116, 0xffff, v119
	s_delay_alu instid0(VALU_DEP_1) | instskip(NEXT) | instid1(VALU_DEP_1)
	v_and_b32_e32 v128, 7, v116
	v_clz_i32_u32_e32 v129, v128
	s_delay_alu instid0(VALU_DEP_1) | instskip(NEXT) | instid1(VALU_DEP_1)
	v_min_u32_e32 v129, 32, v129
	v_subrev_nc_u32_e32 v130, 28, v129
	v_sub_nc_u32_e32 v129, 29, v129
	s_delay_alu instid0(VALU_DEP_2) | instskip(SKIP_1) | instid1(VALU_DEP_2)
	v_lshlrev_b32_e32 v130, v130, v116
	v_bfe_u32 v116, v116, 3, 4
	v_and_b32_e32 v130, 7, v130
	s_delay_alu instid0(VALU_DEP_2) | instskip(SKIP_1) | instid1(VALU_DEP_1)
	v_cmp_eq_u32_e32 vcc_lo, 0, v116
	v_dual_cndmask_b32 v116, v116, v129 :: v_dual_lshlrev_b32 v119, 24, v119
	v_dual_cndmask_b32 v128, v128, v130 :: v_dual_and_b32 v119, 0x80000000, v119
	s_delay_alu instid0(VALU_DEP_2) | instskip(NEXT) | instid1(VALU_DEP_2)
	v_lshl_add_u32 v116, v116, 23, 0x3b800000
	v_lshlrev_b32_e32 v128, 20, v128
	s_delay_alu instid0(VALU_DEP_1)
	v_or3_b32 v116, v119, v116, v128
.LBB2_2961:                             ;   in Loop: Header=BB2_2676 Depth=2
	s_or_b32 exec_lo, exec_lo, s24
	v_lshrrev_b16 v119, 8, v11
	s_mov_b32 s7, 0
	s_mov_b32 s25, exec_lo
                                        ; implicit-def: $sgpr24
	s_delay_alu instid0(VALU_DEP_1)
	v_cmpx_lt_i16_e32 0x7f, v119
	s_xor_b32 s25, exec_lo, s25
	s_cbranch_execnz .LBB2_3239
; %bb.2962:                             ;   in Loop: Header=BB2_2676 Depth=2
	s_or_saveexec_b32 s25, s25
	v_mov_b32_e32 v128, s24
	s_xor_b32 exec_lo, exec_lo, s25
	s_cbranch_execnz .LBB2_3242
.LBB2_2963:                             ;   in Loop: Header=BB2_2676 Depth=2
	s_or_b32 exec_lo, exec_lo, s25
	s_and_saveexec_b32 s24, s7
	s_cbranch_execz .LBB2_2965
.LBB2_2964:                             ;   in Loop: Header=BB2_2676 Depth=2
	v_and_b32_e32 v128, 0xffff, v119
	v_lshlrev_b32_e32 v119, 24, v119
	s_delay_alu instid0(VALU_DEP_2) | instskip(NEXT) | instid1(VALU_DEP_2)
	v_and_b32_e32 v129, 7, v128
	v_and_b32_e32 v119, 0x80000000, v119
	s_delay_alu instid0(VALU_DEP_2) | instskip(NEXT) | instid1(VALU_DEP_1)
	v_clz_i32_u32_e32 v130, v129
	v_min_u32_e32 v130, 32, v130
	s_delay_alu instid0(VALU_DEP_1) | instskip(SKIP_1) | instid1(VALU_DEP_2)
	v_subrev_nc_u32_e32 v131, 28, v130
	v_sub_nc_u32_e32 v130, 29, v130
	v_lshlrev_b32_e32 v131, v131, v128
	v_bfe_u32 v128, v128, 3, 4
	s_delay_alu instid0(VALU_DEP_2) | instskip(NEXT) | instid1(VALU_DEP_2)
	v_and_b32_e32 v131, 7, v131
	v_cmp_eq_u32_e32 vcc_lo, 0, v128
	s_delay_alu instid0(VALU_DEP_2) | instskip(NEXT) | instid1(VALU_DEP_1)
	v_dual_cndmask_b32 v128, v128, v130 :: v_dual_cndmask_b32 v129, v129, v131
	v_lshl_add_u32 v128, v128, 23, 0x3b800000
	s_delay_alu instid0(VALU_DEP_2) | instskip(NEXT) | instid1(VALU_DEP_1)
	v_lshlrev_b32_e32 v129, 20, v129
	v_or3_b32 v128, v119, v128, v129
.LBB2_2965:                             ;   in Loop: Header=BB2_2676 Depth=2
	s_or_b32 exec_lo, exec_lo, s24
	s_delay_alu instid0(VALU_DEP_1) | instskip(NEXT) | instid1(VALU_DEP_1)
	v_add_f32_e32 v119, v116, v128
	v_and_b32_e32 v116, 0x7f800000, v119
	s_delay_alu instid0(VALU_DEP_1)
	v_cmp_ne_u32_e32 vcc_lo, 0x7f800000, v116
	v_mov_b32_e32 v116, 0x8000
	s_and_saveexec_b32 s24, vcc_lo
	s_cbranch_execz .LBB2_2973
; %bb.2966:                             ;   in Loop: Header=BB2_2676 Depth=2
	v_mov_b32_e32 v116, 0
	s_mov_b32 s25, exec_lo
	v_cmpx_ne_u32_e32 0, v119
	s_cbranch_execz .LBB2_2972
; %bb.2967:                             ;   in Loop: Header=BB2_2676 Depth=2
	v_bfe_u32 v116, v119, 23, 8
	s_delay_alu instid0(VALU_DEP_1) | instskip(SKIP_1) | instid1(VALU_DEP_2)
	v_sub_nc_u32_e32 v129, 0x78, v116
	v_cmp_gt_u32_e32 vcc_lo, 0x79, v116
	v_dual_cndmask_b32 v129, 0, v129 :: v_dual_and_b32 v128, 0x7fffff, v119
	s_delay_alu instid0(VALU_DEP_1) | instskip(SKIP_2) | instid1(VALU_DEP_4)
	v_or_b32_e32 v130, 0x800000, v128
	v_cmp_eq_u32_e32 vcc_lo, 0, v116
	v_add_nc_u32_e32 v116, 0xffffff89, v116
	v_cndmask_b32_e64 v129, v129, 0x77, vcc_lo
	s_delay_alu instid0(VALU_DEP_4) | instskip(NEXT) | instid1(VALU_DEP_3)
	v_cndmask_b32_e32 v128, v130, v128, vcc_lo
	v_cndmask_b32_e64 v116, v116, 0xffffff8a, vcc_lo
	s_delay_alu instid0(VALU_DEP_3) | instskip(NEXT) | instid1(VALU_DEP_3)
	v_lshl_add_u32 v130, 0x100000, v129, -1
	v_lshrrev_b32_e32 v131, v129, v128
	v_lshlrev_b32_e64 v133, v129, 0x80000
	s_delay_alu instid0(VALU_DEP_4) | instskip(NEXT) | instid1(VALU_DEP_4)
	v_add_nc_u32_e32 v129, v129, v116
	v_and_b32_e32 v128, v130, v128
	s_delay_alu instid0(VALU_DEP_4) | instskip(NEXT) | instid1(VALU_DEP_2)
	v_bfe_u32 v132, v131, 20, 1
	v_cmp_eq_u32_e64 s7, v128, v133
	s_delay_alu instid0(VALU_DEP_2) | instskip(NEXT) | instid1(VALU_DEP_1)
	v_add_nc_u32_e32 v130, -1, v132
	v_cndmask_b32_e64 v128, 0, v130, s7
	v_lshrrev_b32_e32 v130, 23, v131
	s_mov_b32 s7, exec_lo
	s_delay_alu instid0(VALU_DEP_2) | instskip(NEXT) | instid1(VALU_DEP_2)
	v_add_nc_u32_e32 v128, v128, v131
	v_xor_b32_e32 v130, 1, v130
	s_delay_alu instid0(VALU_DEP_2) | instskip(NEXT) | instid1(VALU_DEP_1)
	v_and_b32_e32 v116, 0xfffff, v128
	v_add_nc_u32_e32 v128, v116, v131
                                        ; implicit-def: $vgpr116
	s_delay_alu instid0(VALU_DEP_3)
	v_cmpx_ne_u32_e64 v129, v130
	s_xor_b32 s7, exec_lo, s7
; %bb.2968:                             ;   in Loop: Header=BB2_2676 Depth=2
	s_delay_alu instid0(VALU_DEP_2) | instskip(SKIP_2) | instid1(VALU_DEP_2)
	v_cmp_lt_u32_e32 vcc_lo, 0xffffff, v128
	v_sub_nc_u32_e32 v116, v129, v130
	v_cndmask_b32_e64 v129, 0, 1, vcc_lo
	v_add_co_ci_u32_e32 v116, vcc_lo, 0, v116, vcc_lo
	s_delay_alu instid0(VALU_DEP_2)
	v_lshrrev_b32_e32 v128, v129, v128
; %bb.2969:                             ;   in Loop: Header=BB2_2676 Depth=2
	s_and_not1_saveexec_b32 s7, s7
; %bb.2970:                             ;   in Loop: Header=BB2_2676 Depth=2
	s_delay_alu instid0(VALU_DEP_1)
	v_bfe_u32 v116, v128, 23, 1
; %bb.2971:                             ;   in Loop: Header=BB2_2676 Depth=2
	s_or_b32 exec_lo, exec_lo, s7
	v_lshrrev_b32_e32 v128, 20, v128
	s_delay_alu instid0(VALU_DEP_2) | instskip(SKIP_2) | instid1(VALU_DEP_2)
	v_cmp_gt_i32_e32 vcc_lo, 16, v116
	v_min_i32_e32 v129, 15, v116
	v_lshrrev_b32_e32 v119, 24, v119
	v_dual_cndmask_b32 v128, 7, v128 :: v_dual_lshlrev_b32 v129, 3, v129
	s_delay_alu instid0(VALU_DEP_2) | instskip(NEXT) | instid1(VALU_DEP_2)
	v_and_b32_e32 v119, 0x80, v119
	v_or_b32_e32 v116, v116, v128
	v_and_b32_e32 v130, 7, v128
	s_delay_alu instid0(VALU_DEP_2) | instskip(SKIP_1) | instid1(VALU_DEP_1)
	v_cmp_ne_u32_e32 vcc_lo, 0, v116
	v_and_b32_e32 v129, 0xf8, v129
	v_or3_b32 v119, v119, v129, v130
	s_delay_alu instid0(VALU_DEP_1) | instskip(NEXT) | instid1(VALU_DEP_1)
	v_lshlrev_b32_e32 v119, 8, v119
	v_cndmask_b32_e32 v116, 0, v119, vcc_lo
.LBB2_2972:                             ;   in Loop: Header=BB2_2676 Depth=2
	s_or_b32 exec_lo, exec_lo, s25
.LBB2_2973:                             ;   in Loop: Header=BB2_2676 Depth=2
	s_delay_alu instid0(SALU_CYCLE_1) | instskip(SKIP_3) | instid1(VALU_DEP_1)
	s_or_b32 exec_lo, exec_lo, s24
	v_or_b32_e32 v117, v117, v114
	s_mov_b32 s7, 0
	s_mov_b32 s25, exec_lo
                                        ; implicit-def: $sgpr24
	v_and_b32_e32 v119, 0xff, v117
	s_delay_alu instid0(VALU_DEP_1)
	v_cmpx_lt_i16_e32 0x7f, v119
	s_xor_b32 s25, exec_lo, s25
	s_cbranch_execnz .LBB2_3243
; %bb.2974:                             ;   in Loop: Header=BB2_2676 Depth=2
	s_or_saveexec_b32 s25, s25
	v_mov_b32_e32 v114, s24
	s_xor_b32 exec_lo, exec_lo, s25
	s_cbranch_execnz .LBB2_3246
.LBB2_2975:                             ;   in Loop: Header=BB2_2676 Depth=2
	s_or_b32 exec_lo, exec_lo, s25
	v_lshl_or_b32 v117, v117, 16, v118
	s_and_saveexec_b32 s24, s7
	s_cbranch_execz .LBB2_2977
.LBB2_2976:                             ;   in Loop: Header=BB2_2676 Depth=2
	s_delay_alu instid0(VALU_DEP_1) | instskip(SKIP_1) | instid1(VALU_DEP_2)
	v_bfe_u32 v114, v117, 16, 3
	v_lshrrev_b32_e32 v119, 16, v117
	v_clz_i32_u32_e32 v118, v114
	s_delay_alu instid0(VALU_DEP_1) | instskip(NEXT) | instid1(VALU_DEP_1)
	v_min_u32_e32 v118, 32, v118
	v_subrev_nc_u32_e32 v128, 28, v118
	v_sub_nc_u32_e32 v118, 29, v118
	s_delay_alu instid0(VALU_DEP_2) | instskip(SKIP_1) | instid1(VALU_DEP_1)
	v_lshlrev_b32_e32 v119, v128, v119
	v_bfe_u32 v128, v117, 19, 4
	v_cmp_eq_u32_e32 vcc_lo, 0, v128
	s_delay_alu instid0(VALU_DEP_3) | instskip(NEXT) | instid1(VALU_DEP_1)
	v_dual_cndmask_b32 v118, v128, v118 :: v_dual_and_b32 v119, 7, v119
	v_dual_cndmask_b32 v114, v114, v119 :: v_dual_lshlrev_b32 v129, 8, v117
	s_delay_alu instid0(VALU_DEP_2) | instskip(NEXT) | instid1(VALU_DEP_2)
	v_lshl_add_u32 v118, v118, 23, 0x3b800000
	v_and_b32_e32 v119, 0x80000000, v129
	s_delay_alu instid0(VALU_DEP_3) | instskip(NEXT) | instid1(VALU_DEP_1)
	v_lshlrev_b32_e32 v114, 20, v114
	v_or3_b32 v114, v119, v118, v114
.LBB2_2977:                             ;   in Loop: Header=BB2_2676 Depth=2
	s_or_b32 exec_lo, exec_lo, s24
	v_lshrrev_b32_e32 v118, 16, v11
	s_mov_b32 s7, 0
	s_mov_b32 s25, exec_lo
                                        ; implicit-def: $sgpr24
	s_delay_alu instid0(VALU_DEP_1) | instskip(NEXT) | instid1(VALU_DEP_1)
	v_and_b32_e32 v128, 0xff, v118
	v_cmpx_lt_i16_e64 0x7f, v128
	s_xor_b32 s25, exec_lo, s25
	s_cbranch_execnz .LBB2_3247
; %bb.2978:                             ;   in Loop: Header=BB2_2676 Depth=2
	s_or_saveexec_b32 s25, s25
	v_mov_b32_e32 v119, s24
	s_xor_b32 exec_lo, exec_lo, s25
	s_cbranch_execnz .LBB2_3250
.LBB2_2979:                             ;   in Loop: Header=BB2_2676 Depth=2
	s_or_b32 exec_lo, exec_lo, s25
	s_and_saveexec_b32 s24, s7
	s_cbranch_execz .LBB2_2981
.LBB2_2980:                             ;   in Loop: Header=BB2_2676 Depth=2
	v_bfe_u32 v119, v11, 16, 3
	v_lshlrev_b32_e32 v130, 8, v11
	s_delay_alu instid0(VALU_DEP_2) | instskip(NEXT) | instid1(VALU_DEP_1)
	v_clz_i32_u32_e32 v128, v119
	v_min_u32_e32 v128, 32, v128
	s_delay_alu instid0(VALU_DEP_1) | instskip(SKIP_1) | instid1(VALU_DEP_2)
	v_subrev_nc_u32_e32 v129, 28, v128
	v_sub_nc_u32_e32 v128, 29, v128
	v_lshlrev_b32_e32 v118, v129, v118
	v_bfe_u32 v129, v11, 19, 4
	s_delay_alu instid0(VALU_DEP_2) | instskip(NEXT) | instid1(VALU_DEP_2)
	v_and_b32_e32 v118, 7, v118
	v_cmp_eq_u32_e32 vcc_lo, 0, v129
	v_cndmask_b32_e32 v128, v129, v128, vcc_lo
	s_delay_alu instid0(VALU_DEP_3) | instskip(SKIP_1) | instid1(VALU_DEP_3)
	v_cndmask_b32_e32 v118, v119, v118, vcc_lo
	v_and_b32_e32 v119, 0x80000000, v130
	v_lshl_add_u32 v128, v128, 23, 0x3b800000
	s_delay_alu instid0(VALU_DEP_3) | instskip(NEXT) | instid1(VALU_DEP_1)
	v_lshlrev_b32_e32 v118, 20, v118
	v_or3_b32 v119, v119, v128, v118
.LBB2_2981:                             ;   in Loop: Header=BB2_2676 Depth=2
	s_or_b32 exec_lo, exec_lo, s24
	s_delay_alu instid0(VALU_DEP_1) | instskip(NEXT) | instid1(VALU_DEP_1)
	v_add_f32_e32 v118, v114, v119
	v_and_b32_e32 v114, 0x7f800000, v118
	s_delay_alu instid0(VALU_DEP_1)
	v_cmp_ne_u32_e32 vcc_lo, 0x7f800000, v114
	v_mov_b32_e32 v114, 0x80
	s_and_saveexec_b32 s24, vcc_lo
	s_cbranch_execz .LBB2_2989
; %bb.2982:                             ;   in Loop: Header=BB2_2676 Depth=2
	v_mov_b32_e32 v114, 0
	s_mov_b32 s25, exec_lo
	v_cmpx_ne_u32_e32 0, v118
	s_cbranch_execz .LBB2_2988
; %bb.2983:                             ;   in Loop: Header=BB2_2676 Depth=2
	v_bfe_u32 v114, v118, 23, 8
	s_delay_alu instid0(VALU_DEP_1) | instskip(SKIP_1) | instid1(VALU_DEP_2)
	v_sub_nc_u32_e32 v128, 0x78, v114
	v_cmp_gt_u32_e32 vcc_lo, 0x79, v114
	v_dual_cndmask_b32 v128, 0, v128 :: v_dual_and_b32 v119, 0x7fffff, v118
	s_delay_alu instid0(VALU_DEP_1) | instskip(SKIP_2) | instid1(VALU_DEP_4)
	v_or_b32_e32 v129, 0x800000, v119
	v_cmp_eq_u32_e32 vcc_lo, 0, v114
	v_add_nc_u32_e32 v114, 0xffffff89, v114
	v_cndmask_b32_e64 v128, v128, 0x77, vcc_lo
	s_delay_alu instid0(VALU_DEP_4) | instskip(NEXT) | instid1(VALU_DEP_3)
	v_cndmask_b32_e32 v119, v129, v119, vcc_lo
	v_cndmask_b32_e64 v114, v114, 0xffffff8a, vcc_lo
	s_delay_alu instid0(VALU_DEP_3) | instskip(NEXT) | instid1(VALU_DEP_3)
	v_lshl_add_u32 v129, 0x100000, v128, -1
	v_lshrrev_b32_e32 v130, v128, v119
	v_lshlrev_b32_e64 v132, v128, 0x80000
	s_delay_alu instid0(VALU_DEP_4) | instskip(NEXT) | instid1(VALU_DEP_4)
	v_add_nc_u32_e32 v128, v128, v114
	v_and_b32_e32 v119, v129, v119
	s_delay_alu instid0(VALU_DEP_4) | instskip(NEXT) | instid1(VALU_DEP_2)
	v_bfe_u32 v131, v130, 20, 1
	v_cmp_eq_u32_e64 s7, v119, v132
	s_delay_alu instid0(VALU_DEP_2) | instskip(NEXT) | instid1(VALU_DEP_1)
	v_add_nc_u32_e32 v129, -1, v131
	v_cndmask_b32_e64 v119, 0, v129, s7
	v_lshrrev_b32_e32 v129, 23, v130
	s_mov_b32 s7, exec_lo
	s_delay_alu instid0(VALU_DEP_2) | instskip(NEXT) | instid1(VALU_DEP_2)
	v_add_nc_u32_e32 v119, v119, v130
	v_xor_b32_e32 v129, 1, v129
	s_delay_alu instid0(VALU_DEP_2) | instskip(NEXT) | instid1(VALU_DEP_1)
	v_and_b32_e32 v114, 0xfffff, v119
	v_add_nc_u32_e32 v119, v114, v130
                                        ; implicit-def: $vgpr114
	s_delay_alu instid0(VALU_DEP_3)
	v_cmpx_ne_u32_e64 v128, v129
	s_xor_b32 s7, exec_lo, s7
; %bb.2984:                             ;   in Loop: Header=BB2_2676 Depth=2
	s_delay_alu instid0(VALU_DEP_2) | instskip(SKIP_2) | instid1(VALU_DEP_2)
	v_cmp_lt_u32_e32 vcc_lo, 0xffffff, v119
	v_sub_nc_u32_e32 v114, v128, v129
	v_cndmask_b32_e64 v128, 0, 1, vcc_lo
	v_add_co_ci_u32_e32 v114, vcc_lo, 0, v114, vcc_lo
	s_delay_alu instid0(VALU_DEP_2)
	v_lshrrev_b32_e32 v119, v128, v119
; %bb.2985:                             ;   in Loop: Header=BB2_2676 Depth=2
	s_and_not1_saveexec_b32 s7, s7
; %bb.2986:                             ;   in Loop: Header=BB2_2676 Depth=2
	s_delay_alu instid0(VALU_DEP_1)
	v_bfe_u32 v114, v119, 23, 1
; %bb.2987:                             ;   in Loop: Header=BB2_2676 Depth=2
	s_or_b32 exec_lo, exec_lo, s7
	v_lshrrev_b32_e32 v119, 20, v119
	s_delay_alu instid0(VALU_DEP_2) | instskip(SKIP_2) | instid1(VALU_DEP_2)
	v_cmp_gt_i32_e32 vcc_lo, 16, v114
	v_min_i32_e32 v128, 15, v114
	v_lshrrev_b32_e32 v118, 24, v118
	v_dual_cndmask_b32 v119, 7, v119 :: v_dual_lshlrev_b32 v128, 3, v128
	s_delay_alu instid0(VALU_DEP_2) | instskip(NEXT) | instid1(VALU_DEP_2)
	v_and_b32_e32 v118, 0x80, v118
	v_or_b32_e32 v114, v114, v119
	s_delay_alu instid0(VALU_DEP_3) | instskip(NEXT) | instid1(VALU_DEP_2)
	v_and_b32_e32 v128, 0xf8, v128
	v_cmp_ne_u32_e32 vcc_lo, 0, v114
	v_and_b32_e32 v129, 7, v119
	s_delay_alu instid0(VALU_DEP_1) | instskip(NEXT) | instid1(VALU_DEP_1)
	v_or3_b32 v118, v128, v118, v129
	v_cndmask_b32_e32 v114, 0, v118, vcc_lo
.LBB2_2988:                             ;   in Loop: Header=BB2_2676 Depth=2
	s_or_b32 exec_lo, exec_lo, s25
.LBB2_2989:                             ;   in Loop: Header=BB2_2676 Depth=2
	s_delay_alu instid0(SALU_CYCLE_1) | instskip(SKIP_3) | instid1(VALU_DEP_1)
	s_or_b32 exec_lo, exec_lo, s24
	v_lshrrev_b32_e32 v119, 24, v117
	s_mov_b32 s7, 0
	s_mov_b32 s25, exec_lo
                                        ; implicit-def: $sgpr24
	v_cmpx_lt_i16_e32 0x7f, v119
	s_xor_b32 s25, exec_lo, s25
	s_cbranch_execnz .LBB2_3251
; %bb.2990:                             ;   in Loop: Header=BB2_2676 Depth=2
	s_or_saveexec_b32 s25, s25
	v_mov_b32_e32 v118, s24
	s_xor_b32 exec_lo, exec_lo, s25
	s_cbranch_execnz .LBB2_3254
.LBB2_2991:                             ;   in Loop: Header=BB2_2676 Depth=2
	s_or_b32 exec_lo, exec_lo, s25
	s_and_saveexec_b32 s24, s7
	s_cbranch_execz .LBB2_2993
.LBB2_2992:                             ;   in Loop: Header=BB2_2676 Depth=2
	v_bfe_u32 v118, v117, 24, 3
	s_delay_alu instid0(VALU_DEP_1) | instskip(NEXT) | instid1(VALU_DEP_1)
	v_clz_i32_u32_e32 v128, v118
	v_min_u32_e32 v128, 32, v128
	s_delay_alu instid0(VALU_DEP_1) | instskip(SKIP_1) | instid1(VALU_DEP_2)
	v_subrev_nc_u32_e32 v129, 28, v128
	v_sub_nc_u32_e32 v128, 29, v128
	v_lshlrev_b32_e32 v119, v129, v119
	v_bfe_u32 v129, v117, 27, 4
	v_and_b32_e32 v117, 0x80000000, v117
	s_delay_alu instid0(VALU_DEP_2) | instskip(NEXT) | instid1(VALU_DEP_4)
	v_cmp_eq_u32_e32 vcc_lo, 0, v129
	v_dual_cndmask_b32 v128, v129, v128 :: v_dual_and_b32 v119, 7, v119
	s_delay_alu instid0(VALU_DEP_1) | instskip(NEXT) | instid1(VALU_DEP_2)
	v_cndmask_b32_e32 v118, v118, v119, vcc_lo
	v_lshl_add_u32 v119, v128, 23, 0x3b800000
	s_delay_alu instid0(VALU_DEP_2) | instskip(NEXT) | instid1(VALU_DEP_1)
	v_lshlrev_b32_e32 v118, 20, v118
	v_or3_b32 v118, v117, v119, v118
.LBB2_2993:                             ;   in Loop: Header=BB2_2676 Depth=2
	s_or_b32 exec_lo, exec_lo, s24
	v_lshrrev_b32_e32 v117, 24, v11
	s_mov_b32 s7, 0
	s_mov_b32 s25, exec_lo
                                        ; implicit-def: $sgpr24
	s_delay_alu instid0(VALU_DEP_1)
	v_cmpx_lt_i16_e32 0x7f, v117
	s_xor_b32 s25, exec_lo, s25
	s_cbranch_execnz .LBB2_3255
; %bb.2994:                             ;   in Loop: Header=BB2_2676 Depth=2
	s_or_saveexec_b32 s25, s25
	v_mov_b32_e32 v119, s24
	s_xor_b32 exec_lo, exec_lo, s25
	s_cbranch_execnz .LBB2_3258
.LBB2_2995:                             ;   in Loop: Header=BB2_2676 Depth=2
	s_or_b32 exec_lo, exec_lo, s25
	s_and_saveexec_b32 s24, s7
	s_cbranch_execz .LBB2_2997
.LBB2_2996:                             ;   in Loop: Header=BB2_2676 Depth=2
	v_bfe_u32 v119, v11, 24, 3
	s_delay_alu instid0(VALU_DEP_1) | instskip(NEXT) | instid1(VALU_DEP_1)
	v_clz_i32_u32_e32 v128, v119
	v_min_u32_e32 v128, 32, v128
	s_delay_alu instid0(VALU_DEP_1) | instskip(SKIP_1) | instid1(VALU_DEP_2)
	v_subrev_nc_u32_e32 v129, 28, v128
	v_sub_nc_u32_e32 v128, 29, v128
	v_lshlrev_b32_e32 v117, v129, v117
	v_bfe_u32 v129, v11, 27, 4
	v_and_b32_e32 v11, 0x80000000, v11
	s_delay_alu instid0(VALU_DEP_2) | instskip(NEXT) | instid1(VALU_DEP_4)
	v_cmp_eq_u32_e32 vcc_lo, 0, v129
	v_dual_cndmask_b32 v128, v129, v128 :: v_dual_and_b32 v117, 7, v117
	s_delay_alu instid0(VALU_DEP_1) | instskip(NEXT) | instid1(VALU_DEP_2)
	v_cndmask_b32_e32 v117, v119, v117, vcc_lo
	v_lshl_add_u32 v119, v128, 23, 0x3b800000
	s_delay_alu instid0(VALU_DEP_2) | instskip(NEXT) | instid1(VALU_DEP_1)
	v_lshlrev_b32_e32 v117, 20, v117
	v_or3_b32 v119, v11, v119, v117
.LBB2_2997:                             ;   in Loop: Header=BB2_2676 Depth=2
	s_or_b32 exec_lo, exec_lo, s24
	s_delay_alu instid0(VALU_DEP_1) | instskip(NEXT) | instid1(VALU_DEP_1)
	v_add_f32_e32 v117, v118, v119
	v_and_b32_e32 v11, 0x7f800000, v117
	s_delay_alu instid0(VALU_DEP_1)
	v_cmp_ne_u32_e32 vcc_lo, 0x7f800000, v11
	v_mov_b32_e32 v11, 0x8000
	s_and_saveexec_b32 s24, vcc_lo
	s_cbranch_execz .LBB2_3005
; %bb.2998:                             ;   in Loop: Header=BB2_2676 Depth=2
	v_mov_b32_e32 v11, 0
	s_mov_b32 s25, exec_lo
	v_cmpx_ne_u32_e32 0, v117
	s_cbranch_execz .LBB2_3004
; %bb.2999:                             ;   in Loop: Header=BB2_2676 Depth=2
	v_bfe_u32 v11, v117, 23, 8
	s_delay_alu instid0(VALU_DEP_1) | instskip(SKIP_1) | instid1(VALU_DEP_2)
	v_sub_nc_u32_e32 v119, 0x78, v11
	v_cmp_gt_u32_e32 vcc_lo, 0x79, v11
	v_dual_cndmask_b32 v119, 0, v119 :: v_dual_and_b32 v118, 0x7fffff, v117
	s_delay_alu instid0(VALU_DEP_1) | instskip(SKIP_2) | instid1(VALU_DEP_4)
	v_or_b32_e32 v128, 0x800000, v118
	v_cmp_eq_u32_e32 vcc_lo, 0, v11
	v_add_nc_u32_e32 v11, 0xffffff89, v11
	v_cndmask_b32_e64 v119, v119, 0x77, vcc_lo
	s_delay_alu instid0(VALU_DEP_4) | instskip(NEXT) | instid1(VALU_DEP_3)
	v_cndmask_b32_e32 v118, v128, v118, vcc_lo
	v_cndmask_b32_e64 v11, v11, 0xffffff8a, vcc_lo
	s_delay_alu instid0(VALU_DEP_3) | instskip(NEXT) | instid1(VALU_DEP_3)
	v_lshl_add_u32 v128, 0x100000, v119, -1
	v_lshrrev_b32_e32 v129, v119, v118
	v_lshlrev_b32_e64 v131, v119, 0x80000
	s_delay_alu instid0(VALU_DEP_4) | instskip(NEXT) | instid1(VALU_DEP_4)
	v_add_nc_u32_e32 v119, v119, v11
	v_and_b32_e32 v118, v128, v118
	s_delay_alu instid0(VALU_DEP_4) | instskip(NEXT) | instid1(VALU_DEP_2)
	v_bfe_u32 v130, v129, 20, 1
	v_cmp_eq_u32_e64 s7, v118, v131
	s_delay_alu instid0(VALU_DEP_2) | instskip(NEXT) | instid1(VALU_DEP_1)
	v_add_nc_u32_e32 v128, -1, v130
	v_cndmask_b32_e64 v118, 0, v128, s7
	v_lshrrev_b32_e32 v128, 23, v129
	s_mov_b32 s7, exec_lo
	s_delay_alu instid0(VALU_DEP_2) | instskip(NEXT) | instid1(VALU_DEP_2)
	v_add_nc_u32_e32 v118, v118, v129
	v_xor_b32_e32 v128, 1, v128
	s_delay_alu instid0(VALU_DEP_2) | instskip(NEXT) | instid1(VALU_DEP_1)
	v_and_b32_e32 v11, 0xfffff, v118
	v_add_nc_u32_e32 v118, v11, v129
                                        ; implicit-def: $vgpr11
	s_delay_alu instid0(VALU_DEP_3)
	v_cmpx_ne_u32_e64 v119, v128
	s_xor_b32 s7, exec_lo, s7
; %bb.3000:                             ;   in Loop: Header=BB2_2676 Depth=2
	s_delay_alu instid0(VALU_DEP_2) | instskip(SKIP_2) | instid1(VALU_DEP_2)
	v_cmp_lt_u32_e32 vcc_lo, 0xffffff, v118
	v_sub_nc_u32_e32 v11, v119, v128
	v_cndmask_b32_e64 v119, 0, 1, vcc_lo
	v_add_co_ci_u32_e32 v11, vcc_lo, 0, v11, vcc_lo
	s_delay_alu instid0(VALU_DEP_2)
	v_lshrrev_b32_e32 v118, v119, v118
; %bb.3001:                             ;   in Loop: Header=BB2_2676 Depth=2
	s_and_not1_saveexec_b32 s7, s7
; %bb.3002:                             ;   in Loop: Header=BB2_2676 Depth=2
	s_delay_alu instid0(VALU_DEP_1)
	v_bfe_u32 v11, v118, 23, 1
; %bb.3003:                             ;   in Loop: Header=BB2_2676 Depth=2
	s_or_b32 exec_lo, exec_lo, s7
	v_lshrrev_b32_e32 v118, 20, v118
	s_delay_alu instid0(VALU_DEP_2) | instskip(SKIP_2) | instid1(VALU_DEP_2)
	v_cmp_gt_i32_e32 vcc_lo, 16, v11
	v_min_i32_e32 v119, 15, v11
	v_lshrrev_b32_e32 v117, 24, v117
	v_dual_cndmask_b32 v118, 7, v118 :: v_dual_lshlrev_b32 v119, 3, v119
	s_delay_alu instid0(VALU_DEP_2) | instskip(NEXT) | instid1(VALU_DEP_2)
	v_and_b32_e32 v117, 0x80, v117
	v_or_b32_e32 v11, v11, v118
	s_delay_alu instid0(VALU_DEP_3) | instskip(NEXT) | instid1(VALU_DEP_2)
	v_and_b32_e32 v119, 0xf8, v119
	v_cmp_ne_u32_e32 vcc_lo, 0, v11
	v_and_b32_e32 v128, 7, v118
	s_delay_alu instid0(VALU_DEP_1) | instskip(NEXT) | instid1(VALU_DEP_1)
	v_or3_b32 v117, v117, v119, v128
	v_lshlrev_b32_e32 v117, 8, v117
	s_delay_alu instid0(VALU_DEP_1)
	v_cndmask_b32_e32 v11, 0, v117, vcc_lo
.LBB2_3004:                             ;   in Loop: Header=BB2_2676 Depth=2
	s_or_b32 exec_lo, exec_lo, s25
.LBB2_3005:                             ;   in Loop: Header=BB2_2676 Depth=2
	s_delay_alu instid0(SALU_CYCLE_1) | instskip(SKIP_3) | instid1(VALU_DEP_1)
	s_or_b32 exec_lo, exec_lo, s24
	v_and_b32_e32 v118, 0xff, v112
	s_mov_b32 s7, 0
	s_mov_b32 s25, exec_lo
                                        ; implicit-def: $sgpr24
	v_cmpx_lt_i16_e32 0x7f, v118
	s_xor_b32 s25, exec_lo, s25
	s_cbranch_execnz .LBB2_3259
; %bb.3006:                             ;   in Loop: Header=BB2_2676 Depth=2
	s_or_saveexec_b32 s25, s25
	v_mov_b32_e32 v117, s24
	s_xor_b32 exec_lo, exec_lo, s25
	s_cbranch_execnz .LBB2_3262
.LBB2_3007:                             ;   in Loop: Header=BB2_2676 Depth=2
	s_or_b32 exec_lo, exec_lo, s25
	s_and_saveexec_b32 s24, s7
	s_cbranch_execz .LBB2_3009
.LBB2_3008:                             ;   in Loop: Header=BB2_2676 Depth=2
	v_bfe_u32 v128, v112, 3, 4
	s_delay_alu instid0(VALU_DEP_1) | instskip(SKIP_1) | instid1(VALU_DEP_1)
	v_cmp_eq_u32_e32 vcc_lo, 0, v128
	v_and_b32_e32 v117, 7, v112
	v_clz_i32_u32_e32 v118, v117
	s_delay_alu instid0(VALU_DEP_1) | instskip(NEXT) | instid1(VALU_DEP_1)
	v_min_u32_e32 v118, 32, v118
	v_subrev_nc_u32_e32 v119, 28, v118
	v_sub_nc_u32_e32 v118, 29, v118
	s_delay_alu instid0(VALU_DEP_1) | instskip(NEXT) | instid1(VALU_DEP_1)
	v_dual_cndmask_b32 v118, v128, v118 :: v_dual_lshlrev_b32 v119, v119, v112
	v_and_b32_e32 v119, 7, v119
	v_lshlrev_b32_e32 v112, 24, v112
	s_delay_alu instid0(VALU_DEP_3) | instskip(NEXT) | instid1(VALU_DEP_2)
	v_lshl_add_u32 v118, v118, 23, 0x3b800000
	v_dual_cndmask_b32 v117, v117, v119 :: v_dual_and_b32 v112, 0x80000000, v112
	s_delay_alu instid0(VALU_DEP_1) | instskip(NEXT) | instid1(VALU_DEP_1)
	v_lshlrev_b32_e32 v117, 20, v117
	v_or3_b32 v117, v112, v118, v117
.LBB2_3009:                             ;   in Loop: Header=BB2_2676 Depth=2
	s_or_b32 exec_lo, exec_lo, s24
	v_and_b32_e32 v118, 0xff, v12
	s_mov_b32 s7, 0
	s_mov_b32 s25, exec_lo
                                        ; implicit-def: $sgpr24
	s_delay_alu instid0(VALU_DEP_1)
	v_cmpx_lt_i16_e32 0x7f, v118
	s_xor_b32 s25, exec_lo, s25
	s_cbranch_execnz .LBB2_3263
; %bb.3010:                             ;   in Loop: Header=BB2_2676 Depth=2
	s_or_saveexec_b32 s25, s25
	v_mov_b32_e32 v112, s24
	s_xor_b32 exec_lo, exec_lo, s25
	s_cbranch_execnz .LBB2_3266
.LBB2_3011:                             ;   in Loop: Header=BB2_2676 Depth=2
	s_or_b32 exec_lo, exec_lo, s25
	s_and_saveexec_b32 s24, s7
	s_cbranch_execz .LBB2_3013
.LBB2_3012:                             ;   in Loop: Header=BB2_2676 Depth=2
	v_and_b32_e32 v112, 7, v12
	v_bfe_u32 v128, v12, 3, 4
	s_delay_alu instid0(VALU_DEP_2) | instskip(NEXT) | instid1(VALU_DEP_2)
	v_clz_i32_u32_e32 v118, v112
	v_cmp_eq_u32_e32 vcc_lo, 0, v128
	s_delay_alu instid0(VALU_DEP_2) | instskip(NEXT) | instid1(VALU_DEP_1)
	v_min_u32_e32 v118, 32, v118
	v_subrev_nc_u32_e32 v119, 28, v118
	v_sub_nc_u32_e32 v118, 29, v118
	s_delay_alu instid0(VALU_DEP_1) | instskip(NEXT) | instid1(VALU_DEP_1)
	v_dual_cndmask_b32 v118, v128, v118 :: v_dual_lshlrev_b32 v119, v119, v12
	v_and_b32_e32 v119, 7, v119
	v_lshlrev_b32_e32 v129, 24, v12
	s_delay_alu instid0(VALU_DEP_3) | instskip(NEXT) | instid1(VALU_DEP_2)
	v_lshl_add_u32 v118, v118, 23, 0x3b800000
	v_dual_cndmask_b32 v112, v112, v119 :: v_dual_and_b32 v119, 0x80000000, v129
	s_delay_alu instid0(VALU_DEP_1) | instskip(NEXT) | instid1(VALU_DEP_1)
	v_lshlrev_b32_e32 v112, 20, v112
	v_or3_b32 v112, v119, v118, v112
.LBB2_3013:                             ;   in Loop: Header=BB2_2676 Depth=2
	s_or_b32 exec_lo, exec_lo, s24
	s_delay_alu instid0(VALU_DEP_1) | instskip(NEXT) | instid1(VALU_DEP_1)
	v_add_f32_e32 v117, v117, v112
	v_and_b32_e32 v112, 0x7f800000, v117
	s_delay_alu instid0(VALU_DEP_1)
	v_cmp_ne_u32_e32 vcc_lo, 0x7f800000, v112
	v_mov_b32_e32 v112, 0x80
	s_and_saveexec_b32 s24, vcc_lo
	s_cbranch_execz .LBB2_3021
; %bb.3014:                             ;   in Loop: Header=BB2_2676 Depth=2
	v_mov_b32_e32 v112, 0
	s_mov_b32 s25, exec_lo
	v_cmpx_ne_u32_e32 0, v117
	s_cbranch_execz .LBB2_3020
; %bb.3015:                             ;   in Loop: Header=BB2_2676 Depth=2
	v_bfe_u32 v112, v117, 23, 8
	s_delay_alu instid0(VALU_DEP_1) | instskip(SKIP_1) | instid1(VALU_DEP_2)
	v_sub_nc_u32_e32 v119, 0x78, v112
	v_cmp_gt_u32_e32 vcc_lo, 0x79, v112
	v_dual_cndmask_b32 v119, 0, v119 :: v_dual_and_b32 v118, 0x7fffff, v117
	s_delay_alu instid0(VALU_DEP_1) | instskip(SKIP_2) | instid1(VALU_DEP_4)
	v_or_b32_e32 v128, 0x800000, v118
	v_cmp_eq_u32_e32 vcc_lo, 0, v112
	v_add_nc_u32_e32 v112, 0xffffff89, v112
	v_cndmask_b32_e64 v119, v119, 0x77, vcc_lo
	s_delay_alu instid0(VALU_DEP_2) | instskip(SKIP_1) | instid1(VALU_DEP_3)
	v_cndmask_b32_e64 v112, v112, 0xffffff8a, vcc_lo
	v_cndmask_b32_e32 v118, v128, v118, vcc_lo
	v_lshl_add_u32 v128, 0x100000, v119, -1
	v_lshlrev_b32_e64 v131, v119, 0x80000
	s_delay_alu instid0(VALU_DEP_3) | instskip(SKIP_1) | instid1(VALU_DEP_4)
	v_lshrrev_b32_e32 v129, v119, v118
	v_add_nc_u32_e32 v119, v119, v112
	v_and_b32_e32 v118, v128, v118
	s_delay_alu instid0(VALU_DEP_3) | instskip(NEXT) | instid1(VALU_DEP_2)
	v_bfe_u32 v130, v129, 20, 1
	v_cmp_eq_u32_e64 s7, v118, v131
	s_delay_alu instid0(VALU_DEP_2) | instskip(NEXT) | instid1(VALU_DEP_1)
	v_add_nc_u32_e32 v128, -1, v130
	v_cndmask_b32_e64 v118, 0, v128, s7
	v_lshrrev_b32_e32 v128, 23, v129
	s_mov_b32 s7, exec_lo
	s_delay_alu instid0(VALU_DEP_2) | instskip(NEXT) | instid1(VALU_DEP_2)
	v_add_nc_u32_e32 v118, v118, v129
	v_xor_b32_e32 v128, 1, v128
	s_delay_alu instid0(VALU_DEP_2) | instskip(NEXT) | instid1(VALU_DEP_1)
	v_and_b32_e32 v112, 0xfffff, v118
	v_add_nc_u32_e32 v118, v112, v129
                                        ; implicit-def: $vgpr112
	s_delay_alu instid0(VALU_DEP_3)
	v_cmpx_ne_u32_e64 v119, v128
	s_xor_b32 s7, exec_lo, s7
; %bb.3016:                             ;   in Loop: Header=BB2_2676 Depth=2
	s_delay_alu instid0(VALU_DEP_2) | instskip(SKIP_2) | instid1(VALU_DEP_2)
	v_cmp_lt_u32_e32 vcc_lo, 0xffffff, v118
	v_sub_nc_u32_e32 v112, v119, v128
	v_cndmask_b32_e64 v119, 0, 1, vcc_lo
	v_add_co_ci_u32_e32 v112, vcc_lo, 0, v112, vcc_lo
	s_delay_alu instid0(VALU_DEP_2)
	v_lshrrev_b32_e32 v118, v119, v118
; %bb.3017:                             ;   in Loop: Header=BB2_2676 Depth=2
	s_and_not1_saveexec_b32 s7, s7
; %bb.3018:                             ;   in Loop: Header=BB2_2676 Depth=2
	s_delay_alu instid0(VALU_DEP_1)
	v_bfe_u32 v112, v118, 23, 1
; %bb.3019:                             ;   in Loop: Header=BB2_2676 Depth=2
	s_or_b32 exec_lo, exec_lo, s7
	v_lshrrev_b32_e32 v118, 20, v118
	s_delay_alu instid0(VALU_DEP_2) | instskip(SKIP_2) | instid1(VALU_DEP_2)
	v_cmp_gt_i32_e32 vcc_lo, 16, v112
	v_lshrrev_b32_e32 v117, 24, v117
	v_min_i32_e32 v119, 15, v112
	v_dual_cndmask_b32 v118, 7, v118 :: v_dual_and_b32 v117, 0x80, v117
	s_delay_alu instid0(VALU_DEP_1) | instskip(SKIP_1) | instid1(VALU_DEP_2)
	v_or_b32_e32 v112, v112, v118
	v_and_b32_e32 v128, 7, v118
	v_cmp_ne_u32_e32 vcc_lo, 0, v112
	v_lshlrev_b32_e32 v119, 3, v119
	s_delay_alu instid0(VALU_DEP_1) | instskip(NEXT) | instid1(VALU_DEP_1)
	v_or3_b32 v117, v119, v117, v128
	v_cndmask_b32_e32 v112, 0, v117, vcc_lo
.LBB2_3020:                             ;   in Loop: Header=BB2_2676 Depth=2
	s_or_b32 exec_lo, exec_lo, s25
.LBB2_3021:                             ;   in Loop: Header=BB2_2676 Depth=2
	s_delay_alu instid0(SALU_CYCLE_1) | instskip(SKIP_3) | instid1(VALU_DEP_1)
	s_or_b32 exec_lo, exec_lo, s24
	v_and_b32_e32 v118, 0xff, v102
	s_mov_b32 s7, 0
	s_mov_b32 s25, exec_lo
                                        ; implicit-def: $sgpr24
	v_cmpx_lt_i16_e32 0x7f, v118
	s_xor_b32 s25, exec_lo, s25
	s_cbranch_execnz .LBB2_3267
; %bb.3022:                             ;   in Loop: Header=BB2_2676 Depth=2
	s_or_saveexec_b32 s25, s25
	v_mov_b32_e32 v117, s24
	s_xor_b32 exec_lo, exec_lo, s25
	s_cbranch_execnz .LBB2_3270
.LBB2_3023:                             ;   in Loop: Header=BB2_2676 Depth=2
	s_or_b32 exec_lo, exec_lo, s25
	s_and_saveexec_b32 s24, s7
	s_cbranch_execz .LBB2_3025
.LBB2_3024:                             ;   in Loop: Header=BB2_2676 Depth=2
	v_and_b32_e32 v117, 7, v102
	v_bfe_u32 v128, v102, 3, 4
	s_delay_alu instid0(VALU_DEP_2) | instskip(NEXT) | instid1(VALU_DEP_2)
	v_clz_i32_u32_e32 v118, v117
	v_cmp_eq_u32_e32 vcc_lo, 0, v128
	s_delay_alu instid0(VALU_DEP_2) | instskip(NEXT) | instid1(VALU_DEP_1)
	v_min_u32_e32 v118, 32, v118
	v_subrev_nc_u32_e32 v119, 28, v118
	v_sub_nc_u32_e32 v118, 29, v118
	s_delay_alu instid0(VALU_DEP_2) | instskip(NEXT) | instid1(VALU_DEP_1)
	v_lshlrev_b32_e32 v119, v119, v102
	v_dual_cndmask_b32 v118, v128, v118 :: v_dual_and_b32 v119, 7, v119
	v_lshlrev_b32_e32 v102, 24, v102
	s_delay_alu instid0(VALU_DEP_2) | instskip(NEXT) | instid1(VALU_DEP_2)
	v_lshl_add_u32 v118, v118, 23, 0x3b800000
	v_dual_cndmask_b32 v117, v117, v119 :: v_dual_and_b32 v102, 0x80000000, v102
	s_delay_alu instid0(VALU_DEP_1) | instskip(NEXT) | instid1(VALU_DEP_1)
	v_lshlrev_b32_e32 v117, 20, v117
	v_or3_b32 v117, v102, v118, v117
.LBB2_3025:                             ;   in Loop: Header=BB2_2676 Depth=2
	s_or_b32 exec_lo, exec_lo, s24
	v_lshrrev_b16 v102, 8, v12
	s_mov_b32 s7, 0
	s_mov_b32 s25, exec_lo
                                        ; implicit-def: $sgpr24
	s_delay_alu instid0(VALU_DEP_1)
	v_cmpx_lt_i16_e32 0x7f, v102
	s_xor_b32 s25, exec_lo, s25
	s_cbranch_execnz .LBB2_3271
; %bb.3026:                             ;   in Loop: Header=BB2_2676 Depth=2
	s_or_saveexec_b32 s25, s25
	v_mov_b32_e32 v118, s24
	s_xor_b32 exec_lo, exec_lo, s25
	s_cbranch_execnz .LBB2_3274
.LBB2_3027:                             ;   in Loop: Header=BB2_2676 Depth=2
	s_or_b32 exec_lo, exec_lo, s25
	s_and_saveexec_b32 s24, s7
	s_cbranch_execz .LBB2_3029
.LBB2_3028:                             ;   in Loop: Header=BB2_2676 Depth=2
	v_and_b32_e32 v118, 0xffff, v102
	v_lshlrev_b32_e32 v102, 24, v102
	s_delay_alu instid0(VALU_DEP_2) | instskip(NEXT) | instid1(VALU_DEP_2)
	v_and_b32_e32 v119, 7, v118
	v_and_b32_e32 v102, 0x80000000, v102
	s_delay_alu instid0(VALU_DEP_2) | instskip(NEXT) | instid1(VALU_DEP_1)
	v_clz_i32_u32_e32 v128, v119
	v_min_u32_e32 v128, 32, v128
	s_delay_alu instid0(VALU_DEP_1) | instskip(SKIP_1) | instid1(VALU_DEP_2)
	v_subrev_nc_u32_e32 v129, 28, v128
	v_sub_nc_u32_e32 v128, 29, v128
	v_lshlrev_b32_e32 v129, v129, v118
	v_bfe_u32 v118, v118, 3, 4
	s_delay_alu instid0(VALU_DEP_2) | instskip(NEXT) | instid1(VALU_DEP_2)
	v_and_b32_e32 v129, 7, v129
	v_cmp_eq_u32_e32 vcc_lo, 0, v118
	s_delay_alu instid0(VALU_DEP_2) | instskip(NEXT) | instid1(VALU_DEP_1)
	v_dual_cndmask_b32 v118, v118, v128 :: v_dual_cndmask_b32 v119, v119, v129
	v_lshl_add_u32 v118, v118, 23, 0x3b800000
	s_delay_alu instid0(VALU_DEP_2) | instskip(NEXT) | instid1(VALU_DEP_1)
	v_lshlrev_b32_e32 v119, 20, v119
	v_or3_b32 v118, v102, v118, v119
.LBB2_3029:                             ;   in Loop: Header=BB2_2676 Depth=2
	s_or_b32 exec_lo, exec_lo, s24
	s_delay_alu instid0(VALU_DEP_1) | instskip(NEXT) | instid1(VALU_DEP_1)
	v_add_f32_e32 v117, v117, v118
	v_and_b32_e32 v102, 0x7f800000, v117
	s_delay_alu instid0(VALU_DEP_1)
	v_cmp_ne_u32_e32 vcc_lo, 0x7f800000, v102
	v_mov_b32_e32 v102, 0x80
	s_and_saveexec_b32 s24, vcc_lo
	s_cbranch_execz .LBB2_3037
; %bb.3030:                             ;   in Loop: Header=BB2_2676 Depth=2
	v_mov_b32_e32 v102, 0
	s_mov_b32 s25, exec_lo
	v_cmpx_ne_u32_e32 0, v117
	s_cbranch_execz .LBB2_3036
; %bb.3031:                             ;   in Loop: Header=BB2_2676 Depth=2
	v_bfe_u32 v102, v117, 23, 8
	s_delay_alu instid0(VALU_DEP_1) | instskip(SKIP_1) | instid1(VALU_DEP_2)
	v_sub_nc_u32_e32 v119, 0x78, v102
	v_cmp_gt_u32_e32 vcc_lo, 0x79, v102
	v_dual_cndmask_b32 v119, 0, v119 :: v_dual_and_b32 v118, 0x7fffff, v117
	s_delay_alu instid0(VALU_DEP_1) | instskip(SKIP_2) | instid1(VALU_DEP_4)
	v_or_b32_e32 v128, 0x800000, v118
	v_cmp_eq_u32_e32 vcc_lo, 0, v102
	v_add_nc_u32_e32 v102, 0xffffff89, v102
	v_cndmask_b32_e64 v119, v119, 0x77, vcc_lo
	s_delay_alu instid0(VALU_DEP_4) | instskip(NEXT) | instid1(VALU_DEP_3)
	v_cndmask_b32_e32 v118, v128, v118, vcc_lo
	v_cndmask_b32_e64 v102, v102, 0xffffff8a, vcc_lo
	s_delay_alu instid0(VALU_DEP_3) | instskip(NEXT) | instid1(VALU_DEP_3)
	v_lshl_add_u32 v128, 0x100000, v119, -1
	v_lshrrev_b32_e32 v129, v119, v118
	v_lshlrev_b32_e64 v131, v119, 0x80000
	s_delay_alu instid0(VALU_DEP_4) | instskip(NEXT) | instid1(VALU_DEP_4)
	v_add_nc_u32_e32 v119, v119, v102
	v_and_b32_e32 v118, v128, v118
	s_delay_alu instid0(VALU_DEP_4) | instskip(NEXT) | instid1(VALU_DEP_2)
	v_bfe_u32 v130, v129, 20, 1
	v_cmp_eq_u32_e64 s7, v118, v131
	s_delay_alu instid0(VALU_DEP_2) | instskip(NEXT) | instid1(VALU_DEP_1)
	v_add_nc_u32_e32 v128, -1, v130
	v_cndmask_b32_e64 v118, 0, v128, s7
	v_lshrrev_b32_e32 v128, 23, v129
	s_mov_b32 s7, exec_lo
	s_delay_alu instid0(VALU_DEP_2) | instskip(NEXT) | instid1(VALU_DEP_2)
	v_add_nc_u32_e32 v118, v118, v129
	v_xor_b32_e32 v128, 1, v128
	s_delay_alu instid0(VALU_DEP_2) | instskip(NEXT) | instid1(VALU_DEP_1)
	v_and_b32_e32 v102, 0xfffff, v118
	v_add_nc_u32_e32 v118, v102, v129
                                        ; implicit-def: $vgpr102
	s_delay_alu instid0(VALU_DEP_3)
	v_cmpx_ne_u32_e64 v119, v128
	s_xor_b32 s7, exec_lo, s7
; %bb.3032:                             ;   in Loop: Header=BB2_2676 Depth=2
	s_delay_alu instid0(VALU_DEP_2) | instskip(SKIP_2) | instid1(VALU_DEP_2)
	v_cmp_lt_u32_e32 vcc_lo, 0xffffff, v118
	v_sub_nc_u32_e32 v102, v119, v128
	v_cndmask_b32_e64 v119, 0, 1, vcc_lo
	v_add_co_ci_u32_e32 v102, vcc_lo, 0, v102, vcc_lo
	s_delay_alu instid0(VALU_DEP_2)
	v_lshrrev_b32_e32 v118, v119, v118
; %bb.3033:                             ;   in Loop: Header=BB2_2676 Depth=2
	s_and_not1_saveexec_b32 s7, s7
; %bb.3034:                             ;   in Loop: Header=BB2_2676 Depth=2
	s_delay_alu instid0(VALU_DEP_1)
	v_bfe_u32 v102, v118, 23, 1
; %bb.3035:                             ;   in Loop: Header=BB2_2676 Depth=2
	s_or_b32 exec_lo, exec_lo, s7
	v_lshrrev_b32_e32 v118, 20, v118
	s_delay_alu instid0(VALU_DEP_2) | instskip(SKIP_2) | instid1(VALU_DEP_2)
	v_cmp_gt_i32_e32 vcc_lo, 16, v102
	v_lshrrev_b32_e32 v117, 24, v117
	v_min_i32_e32 v119, 15, v102
	v_dual_cndmask_b32 v118, 7, v118 :: v_dual_and_b32 v117, 0x80, v117
	s_delay_alu instid0(VALU_DEP_1) | instskip(SKIP_1) | instid1(VALU_DEP_2)
	v_or_b32_e32 v102, v102, v118
	v_and_b32_e32 v128, 7, v118
	v_cmp_ne_u32_e32 vcc_lo, 0, v102
	v_lshlrev_b32_e32 v119, 3, v119
	s_delay_alu instid0(VALU_DEP_1) | instskip(NEXT) | instid1(VALU_DEP_1)
	v_or3_b32 v117, v119, v117, v128
	v_cndmask_b32_e32 v102, 0, v117, vcc_lo
.LBB2_3036:                             ;   in Loop: Header=BB2_2676 Depth=2
	s_or_b32 exec_lo, exec_lo, s25
.LBB2_3037:                             ;   in Loop: Header=BB2_2676 Depth=2
	s_delay_alu instid0(SALU_CYCLE_1) | instskip(SKIP_3) | instid1(VALU_DEP_1)
	s_or_b32 exec_lo, exec_lo, s24
	v_and_b32_e32 v118, 0xff, v101
	s_mov_b32 s7, 0
	s_mov_b32 s25, exec_lo
                                        ; implicit-def: $sgpr24
	v_cmpx_lt_i16_e32 0x7f, v118
	s_xor_b32 s25, exec_lo, s25
	s_cbranch_execnz .LBB2_3275
; %bb.3038:                             ;   in Loop: Header=BB2_2676 Depth=2
	s_or_saveexec_b32 s25, s25
	v_mov_b32_e32 v117, s24
	s_xor_b32 exec_lo, exec_lo, s25
	s_cbranch_execnz .LBB2_3278
.LBB2_3039:                             ;   in Loop: Header=BB2_2676 Depth=2
	s_or_b32 exec_lo, exec_lo, s25
	s_and_saveexec_b32 s24, s7
	s_cbranch_execz .LBB2_3041
.LBB2_3040:                             ;   in Loop: Header=BB2_2676 Depth=2
	v_bfe_u32 v128, v101, 3, 4
	s_delay_alu instid0(VALU_DEP_1) | instskip(SKIP_1) | instid1(VALU_DEP_1)
	v_cmp_eq_u32_e32 vcc_lo, 0, v128
	v_and_b32_e32 v117, 7, v101
	v_clz_i32_u32_e32 v118, v117
	s_delay_alu instid0(VALU_DEP_1) | instskip(NEXT) | instid1(VALU_DEP_1)
	v_min_u32_e32 v118, 32, v118
	v_subrev_nc_u32_e32 v119, 28, v118
	v_sub_nc_u32_e32 v118, 29, v118
	s_delay_alu instid0(VALU_DEP_1) | instskip(SKIP_1) | instid1(VALU_DEP_2)
	v_dual_cndmask_b32 v118, v128, v118 :: v_dual_lshlrev_b32 v119, v119, v101
	v_lshlrev_b32_e32 v101, 24, v101
	v_and_b32_e32 v119, 7, v119
	s_delay_alu instid0(VALU_DEP_3) | instskip(NEXT) | instid1(VALU_DEP_3)
	v_lshl_add_u32 v118, v118, 23, 0x3b800000
	v_and_b32_e32 v101, 0x80000000, v101
	s_delay_alu instid0(VALU_DEP_3) | instskip(NEXT) | instid1(VALU_DEP_1)
	v_cndmask_b32_e32 v117, v117, v119, vcc_lo
	v_lshlrev_b32_e32 v117, 20, v117
	s_delay_alu instid0(VALU_DEP_1)
	v_or3_b32 v117, v101, v118, v117
.LBB2_3041:                             ;   in Loop: Header=BB2_2676 Depth=2
	s_or_b32 exec_lo, exec_lo, s24
	v_lshrrev_b32_e32 v101, 16, v12
	s_mov_b32 s7, 0
	s_mov_b32 s25, exec_lo
                                        ; implicit-def: $sgpr24
	s_delay_alu instid0(VALU_DEP_1) | instskip(NEXT) | instid1(VALU_DEP_1)
	v_and_b32_e32 v119, 0xff, v101
	v_cmpx_lt_i16_e32 0x7f, v119
	s_xor_b32 s25, exec_lo, s25
	s_cbranch_execnz .LBB2_3279
; %bb.3042:                             ;   in Loop: Header=BB2_2676 Depth=2
	s_or_saveexec_b32 s25, s25
	v_mov_b32_e32 v118, s24
	s_xor_b32 exec_lo, exec_lo, s25
	s_cbranch_execnz .LBB2_3282
.LBB2_3043:                             ;   in Loop: Header=BB2_2676 Depth=2
	s_or_b32 exec_lo, exec_lo, s25
	s_and_saveexec_b32 s24, s7
	s_cbranch_execz .LBB2_3045
.LBB2_3044:                             ;   in Loop: Header=BB2_2676 Depth=2
	v_bfe_u32 v118, v12, 16, 3
	v_lshlrev_b32_e32 v129, 8, v12
	s_delay_alu instid0(VALU_DEP_2) | instskip(NEXT) | instid1(VALU_DEP_1)
	v_clz_i32_u32_e32 v119, v118
	v_min_u32_e32 v119, 32, v119
	s_delay_alu instid0(VALU_DEP_1) | instskip(SKIP_1) | instid1(VALU_DEP_2)
	v_subrev_nc_u32_e32 v128, 28, v119
	v_sub_nc_u32_e32 v119, 29, v119
	v_lshlrev_b32_e32 v101, v128, v101
	v_bfe_u32 v128, v12, 19, 4
	s_delay_alu instid0(VALU_DEP_2) | instskip(NEXT) | instid1(VALU_DEP_2)
	v_and_b32_e32 v101, 7, v101
	v_cmp_eq_u32_e32 vcc_lo, 0, v128
	v_cndmask_b32_e32 v119, v128, v119, vcc_lo
	s_delay_alu instid0(VALU_DEP_3) | instskip(SKIP_1) | instid1(VALU_DEP_3)
	v_cndmask_b32_e32 v101, v118, v101, vcc_lo
	v_and_b32_e32 v118, 0x80000000, v129
	v_lshl_add_u32 v119, v119, 23, 0x3b800000
	s_delay_alu instid0(VALU_DEP_3) | instskip(NEXT) | instid1(VALU_DEP_1)
	v_lshlrev_b32_e32 v101, 20, v101
	v_or3_b32 v118, v118, v119, v101
.LBB2_3045:                             ;   in Loop: Header=BB2_2676 Depth=2
	s_or_b32 exec_lo, exec_lo, s24
	s_delay_alu instid0(VALU_DEP_1) | instskip(NEXT) | instid1(VALU_DEP_1)
	v_add_f32_e32 v117, v117, v118
	v_and_b32_e32 v101, 0x7f800000, v117
	s_delay_alu instid0(VALU_DEP_1)
	v_cmp_ne_u32_e32 vcc_lo, 0x7f800000, v101
	v_mov_b32_e32 v101, 0x80
	s_and_saveexec_b32 s24, vcc_lo
	s_cbranch_execz .LBB2_3053
; %bb.3046:                             ;   in Loop: Header=BB2_2676 Depth=2
	v_mov_b32_e32 v101, 0
	s_mov_b32 s25, exec_lo
	v_cmpx_ne_u32_e32 0, v117
	s_cbranch_execz .LBB2_3052
; %bb.3047:                             ;   in Loop: Header=BB2_2676 Depth=2
	v_bfe_u32 v101, v117, 23, 8
	s_delay_alu instid0(VALU_DEP_1) | instskip(SKIP_1) | instid1(VALU_DEP_2)
	v_sub_nc_u32_e32 v119, 0x78, v101
	v_cmp_gt_u32_e32 vcc_lo, 0x79, v101
	v_dual_cndmask_b32 v119, 0, v119 :: v_dual_and_b32 v118, 0x7fffff, v117
	s_delay_alu instid0(VALU_DEP_1) | instskip(SKIP_2) | instid1(VALU_DEP_4)
	v_or_b32_e32 v128, 0x800000, v118
	v_cmp_eq_u32_e32 vcc_lo, 0, v101
	v_add_nc_u32_e32 v101, 0xffffff89, v101
	v_cndmask_b32_e64 v119, v119, 0x77, vcc_lo
	s_delay_alu instid0(VALU_DEP_4) | instskip(NEXT) | instid1(VALU_DEP_3)
	v_cndmask_b32_e32 v118, v128, v118, vcc_lo
	v_cndmask_b32_e64 v101, v101, 0xffffff8a, vcc_lo
	s_delay_alu instid0(VALU_DEP_3) | instskip(NEXT) | instid1(VALU_DEP_3)
	v_lshl_add_u32 v128, 0x100000, v119, -1
	v_lshrrev_b32_e32 v129, v119, v118
	v_lshlrev_b32_e64 v131, v119, 0x80000
	s_delay_alu instid0(VALU_DEP_4) | instskip(NEXT) | instid1(VALU_DEP_4)
	v_add_nc_u32_e32 v119, v119, v101
	v_and_b32_e32 v118, v128, v118
	s_delay_alu instid0(VALU_DEP_4) | instskip(NEXT) | instid1(VALU_DEP_2)
	v_bfe_u32 v130, v129, 20, 1
	v_cmp_eq_u32_e64 s7, v118, v131
	s_delay_alu instid0(VALU_DEP_2) | instskip(NEXT) | instid1(VALU_DEP_1)
	v_add_nc_u32_e32 v128, -1, v130
	v_cndmask_b32_e64 v118, 0, v128, s7
	v_lshrrev_b32_e32 v128, 23, v129
	s_mov_b32 s7, exec_lo
	s_delay_alu instid0(VALU_DEP_2) | instskip(NEXT) | instid1(VALU_DEP_2)
	v_add_nc_u32_e32 v118, v118, v129
	v_xor_b32_e32 v128, 1, v128
	s_delay_alu instid0(VALU_DEP_2) | instskip(NEXT) | instid1(VALU_DEP_1)
	v_and_b32_e32 v101, 0xfffff, v118
	v_add_nc_u32_e32 v118, v101, v129
                                        ; implicit-def: $vgpr101
	s_delay_alu instid0(VALU_DEP_3)
	v_cmpx_ne_u32_e64 v119, v128
	s_xor_b32 s7, exec_lo, s7
; %bb.3048:                             ;   in Loop: Header=BB2_2676 Depth=2
	s_delay_alu instid0(VALU_DEP_2) | instskip(SKIP_2) | instid1(VALU_DEP_2)
	v_cmp_lt_u32_e32 vcc_lo, 0xffffff, v118
	v_sub_nc_u32_e32 v101, v119, v128
	v_cndmask_b32_e64 v119, 0, 1, vcc_lo
	v_add_co_ci_u32_e32 v101, vcc_lo, 0, v101, vcc_lo
	s_delay_alu instid0(VALU_DEP_2)
	v_lshrrev_b32_e32 v118, v119, v118
; %bb.3049:                             ;   in Loop: Header=BB2_2676 Depth=2
	s_and_not1_saveexec_b32 s7, s7
; %bb.3050:                             ;   in Loop: Header=BB2_2676 Depth=2
	s_delay_alu instid0(VALU_DEP_1)
	v_bfe_u32 v101, v118, 23, 1
; %bb.3051:                             ;   in Loop: Header=BB2_2676 Depth=2
	s_or_b32 exec_lo, exec_lo, s7
	v_lshrrev_b32_e32 v118, 20, v118
	s_delay_alu instid0(VALU_DEP_2) | instskip(SKIP_2) | instid1(VALU_DEP_2)
	v_cmp_gt_i32_e32 vcc_lo, 16, v101
	v_lshrrev_b32_e32 v117, 24, v117
	v_min_i32_e32 v119, 15, v101
	v_dual_cndmask_b32 v118, 7, v118 :: v_dual_and_b32 v117, 0x80, v117
	s_delay_alu instid0(VALU_DEP_2) | instskip(NEXT) | instid1(VALU_DEP_2)
	v_lshlrev_b32_e32 v119, 3, v119
	v_or_b32_e32 v101, v101, v118
	s_delay_alu instid0(VALU_DEP_1) | instskip(SKIP_1) | instid1(VALU_DEP_1)
	v_cmp_ne_u32_e32 vcc_lo, 0, v101
	v_and_b32_e32 v128, 7, v118
	v_or3_b32 v117, v119, v117, v128
	s_delay_alu instid0(VALU_DEP_1)
	v_cndmask_b32_e32 v101, 0, v117, vcc_lo
.LBB2_3052:                             ;   in Loop: Header=BB2_2676 Depth=2
	s_or_b32 exec_lo, exec_lo, s25
.LBB2_3053:                             ;   in Loop: Header=BB2_2676 Depth=2
	s_delay_alu instid0(SALU_CYCLE_1) | instskip(SKIP_3) | instid1(VALU_DEP_1)
	s_or_b32 exec_lo, exec_lo, s24
	v_and_b32_e32 v118, 0xff, v98
	s_mov_b32 s7, 0
	s_mov_b32 s25, exec_lo
                                        ; implicit-def: $sgpr24
	v_cmpx_lt_i16_e32 0x7f, v118
	s_xor_b32 s25, exec_lo, s25
	s_cbranch_execnz .LBB2_3283
; %bb.3054:                             ;   in Loop: Header=BB2_2676 Depth=2
	s_or_saveexec_b32 s25, s25
	v_mov_b32_e32 v117, s24
	s_xor_b32 exec_lo, exec_lo, s25
	s_cbranch_execnz .LBB2_3286
.LBB2_3055:                             ;   in Loop: Header=BB2_2676 Depth=2
	s_or_b32 exec_lo, exec_lo, s25
	s_and_saveexec_b32 s24, s7
	s_cbranch_execz .LBB2_3057
.LBB2_3056:                             ;   in Loop: Header=BB2_2676 Depth=2
	v_lshlrev_b32_e32 v98, 8, v98
	s_delay_alu instid0(VALU_DEP_1) | instskip(SKIP_1) | instid1(VALU_DEP_2)
	v_and_b32_e32 v117, 0xff00, v98
	v_bfe_u32 v98, v98, 11, 4
	v_bfe_u32 v119, v117, 8, 3
	s_delay_alu instid0(VALU_DEP_2) | instskip(NEXT) | instid1(VALU_DEP_2)
	v_cmp_eq_u32_e32 vcc_lo, 0, v98
	v_clz_i32_u32_e32 v128, v119
	s_delay_alu instid0(VALU_DEP_1) | instskip(NEXT) | instid1(VALU_DEP_1)
	v_min_u32_e32 v128, 32, v128
	v_subrev_nc_u32_e32 v129, 28, v128
	v_sub_nc_u32_e32 v128, 29, v128
	s_delay_alu instid0(VALU_DEP_2) | instskip(NEXT) | instid1(VALU_DEP_2)
	v_lshlrev_b32_e32 v118, v129, v118
	v_cndmask_b32_e32 v98, v98, v128, vcc_lo
	s_delay_alu instid0(VALU_DEP_2) | instskip(SKIP_1) | instid1(VALU_DEP_3)
	v_and_b32_e32 v118, 7, v118
	v_lshlrev_b32_e32 v117, 16, v117
	v_lshl_add_u32 v98, v98, 23, 0x3b800000
	s_delay_alu instid0(VALU_DEP_2) | instskip(NEXT) | instid1(VALU_DEP_1)
	v_dual_cndmask_b32 v118, v119, v118 :: v_dual_and_b32 v117, 0x80000000, v117
	v_lshlrev_b32_e32 v118, 20, v118
	s_delay_alu instid0(VALU_DEP_1)
	v_or3_b32 v117, v117, v98, v118
.LBB2_3057:                             ;   in Loop: Header=BB2_2676 Depth=2
	s_or_b32 exec_lo, exec_lo, s24
	v_lshrrev_b32_e32 v98, 24, v12
	s_mov_b32 s7, 0
	s_mov_b32 s25, exec_lo
                                        ; implicit-def: $sgpr24
	s_delay_alu instid0(VALU_DEP_1)
	v_cmpx_lt_i16_e32 0x7f, v98
	s_xor_b32 s25, exec_lo, s25
	s_cbranch_execnz .LBB2_3287
; %bb.3058:                             ;   in Loop: Header=BB2_2676 Depth=2
	s_or_saveexec_b32 s25, s25
	v_mov_b32_e32 v118, s24
	s_xor_b32 exec_lo, exec_lo, s25
	s_cbranch_execnz .LBB2_3290
.LBB2_3059:                             ;   in Loop: Header=BB2_2676 Depth=2
	s_or_b32 exec_lo, exec_lo, s25
	s_and_saveexec_b32 s24, s7
	s_cbranch_execz .LBB2_3061
.LBB2_3060:                             ;   in Loop: Header=BB2_2676 Depth=2
	v_bfe_u32 v118, v12, 24, 3
	s_delay_alu instid0(VALU_DEP_1) | instskip(NEXT) | instid1(VALU_DEP_1)
	v_clz_i32_u32_e32 v119, v118
	v_min_u32_e32 v119, 32, v119
	s_delay_alu instid0(VALU_DEP_1) | instskip(SKIP_1) | instid1(VALU_DEP_2)
	v_subrev_nc_u32_e32 v128, 28, v119
	v_sub_nc_u32_e32 v119, 29, v119
	v_lshlrev_b32_e32 v98, v128, v98
	v_bfe_u32 v128, v12, 27, 4
	v_and_b32_e32 v12, 0x80000000, v12
	s_delay_alu instid0(VALU_DEP_2) | instskip(NEXT) | instid1(VALU_DEP_4)
	v_cmp_eq_u32_e32 vcc_lo, 0, v128
	v_dual_cndmask_b32 v119, v128, v119 :: v_dual_and_b32 v98, 7, v98
	s_delay_alu instid0(VALU_DEP_1) | instskip(NEXT) | instid1(VALU_DEP_2)
	v_cndmask_b32_e32 v98, v118, v98, vcc_lo
	v_lshl_add_u32 v118, v119, 23, 0x3b800000
	s_delay_alu instid0(VALU_DEP_2) | instskip(NEXT) | instid1(VALU_DEP_1)
	v_lshlrev_b32_e32 v98, 20, v98
	v_or3_b32 v118, v12, v118, v98
.LBB2_3061:                             ;   in Loop: Header=BB2_2676 Depth=2
	s_or_b32 exec_lo, exec_lo, s24
	s_delay_alu instid0(VALU_DEP_1) | instskip(NEXT) | instid1(VALU_DEP_1)
	v_add_f32_e32 v98, v117, v118
	v_and_b32_e32 v12, 0x7f800000, v98
	s_delay_alu instid0(VALU_DEP_1)
	v_cmp_ne_u32_e32 vcc_lo, 0x7f800000, v12
	v_mov_b32_e32 v12, 0x80
	s_and_saveexec_b32 s24, vcc_lo
	s_cbranch_execz .LBB2_3069
; %bb.3062:                             ;   in Loop: Header=BB2_2676 Depth=2
	v_mov_b32_e32 v12, 0
	s_mov_b32 s25, exec_lo
	v_cmpx_ne_u32_e32 0, v98
	s_cbranch_execz .LBB2_3068
; %bb.3063:                             ;   in Loop: Header=BB2_2676 Depth=2
	v_bfe_u32 v12, v98, 23, 8
	v_and_b32_e32 v117, 0x7fffff, v98
	s_delay_alu instid0(VALU_DEP_2) | instskip(SKIP_1) | instid1(VALU_DEP_3)
	v_sub_nc_u32_e32 v118, 0x78, v12
	v_cmp_gt_u32_e32 vcc_lo, 0x79, v12
	v_or_b32_e32 v119, 0x800000, v117
	s_delay_alu instid0(VALU_DEP_3) | instskip(SKIP_1) | instid1(VALU_DEP_3)
	v_cndmask_b32_e32 v118, 0, v118, vcc_lo
	v_cmp_eq_u32_e32 vcc_lo, 0, v12
	v_dual_cndmask_b32 v117, v119, v117 :: v_dual_add_nc_u32 v12, 0xffffff89, v12
	s_delay_alu instid0(VALU_DEP_3) | instskip(NEXT) | instid1(VALU_DEP_2)
	v_cndmask_b32_e64 v118, v118, 0x77, vcc_lo
	v_cndmask_b32_e64 v12, v12, 0xffffff8a, vcc_lo
	s_delay_alu instid0(VALU_DEP_2) | instskip(SKIP_2) | instid1(VALU_DEP_4)
	v_lshrrev_b32_e32 v128, v118, v117
	v_lshl_add_u32 v119, 0x100000, v118, -1
	v_lshlrev_b32_e64 v130, v118, 0x80000
	v_add_nc_u32_e32 v118, v118, v12
	s_delay_alu instid0(VALU_DEP_4) | instskip(NEXT) | instid1(VALU_DEP_4)
	v_bfe_u32 v129, v128, 20, 1
	v_and_b32_e32 v117, v119, v117
	s_delay_alu instid0(VALU_DEP_2) | instskip(NEXT) | instid1(VALU_DEP_2)
	v_add_nc_u32_e32 v119, -1, v129
	v_cmp_eq_u32_e64 s7, v117, v130
	s_delay_alu instid0(VALU_DEP_1) | instskip(SKIP_2) | instid1(VALU_DEP_2)
	v_cndmask_b32_e64 v117, 0, v119, s7
	v_lshrrev_b32_e32 v119, 23, v128
	s_mov_b32 s7, exec_lo
	v_add_nc_u32_e32 v117, v117, v128
	s_delay_alu instid0(VALU_DEP_2) | instskip(NEXT) | instid1(VALU_DEP_2)
	v_xor_b32_e32 v119, 1, v119
	v_and_b32_e32 v12, 0xfffff, v117
	s_delay_alu instid0(VALU_DEP_1) | instskip(NEXT) | instid1(VALU_DEP_3)
	v_add_nc_u32_e32 v117, v12, v128
                                        ; implicit-def: $vgpr12
	v_cmpx_ne_u32_e64 v118, v119
	s_xor_b32 s7, exec_lo, s7
; %bb.3064:                             ;   in Loop: Header=BB2_2676 Depth=2
	s_delay_alu instid0(VALU_DEP_2) | instskip(SKIP_2) | instid1(VALU_DEP_2)
	v_cmp_lt_u32_e32 vcc_lo, 0xffffff, v117
	v_sub_nc_u32_e32 v12, v118, v119
	v_cndmask_b32_e64 v118, 0, 1, vcc_lo
	v_add_co_ci_u32_e32 v12, vcc_lo, 0, v12, vcc_lo
	s_delay_alu instid0(VALU_DEP_2)
	v_lshrrev_b32_e32 v117, v118, v117
; %bb.3065:                             ;   in Loop: Header=BB2_2676 Depth=2
	s_and_not1_saveexec_b32 s7, s7
; %bb.3066:                             ;   in Loop: Header=BB2_2676 Depth=2
	s_delay_alu instid0(VALU_DEP_1)
	v_bfe_u32 v12, v117, 23, 1
; %bb.3067:                             ;   in Loop: Header=BB2_2676 Depth=2
	s_or_b32 exec_lo, exec_lo, s7
	v_lshrrev_b32_e32 v117, 20, v117
	s_delay_alu instid0(VALU_DEP_2) | instskip(SKIP_2) | instid1(VALU_DEP_2)
	v_cmp_gt_i32_e32 vcc_lo, 16, v12
	v_lshrrev_b32_e32 v98, 24, v98
	v_min_i32_e32 v118, 15, v12
	v_dual_cndmask_b32 v117, 7, v117 :: v_dual_and_b32 v98, 0x80, v98
	s_delay_alu instid0(VALU_DEP_2) | instskip(NEXT) | instid1(VALU_DEP_2)
	v_lshlrev_b32_e32 v118, 3, v118
	v_or_b32_e32 v12, v12, v117
	s_delay_alu instid0(VALU_DEP_1) | instskip(SKIP_1) | instid1(VALU_DEP_1)
	v_cmp_ne_u32_e32 vcc_lo, 0, v12
	v_and_b32_e32 v119, 7, v117
	v_or3_b32 v98, v118, v98, v119
	s_delay_alu instid0(VALU_DEP_1)
	v_cndmask_b32_e32 v12, 0, v98, vcc_lo
.LBB2_3068:                             ;   in Loop: Header=BB2_2676 Depth=2
	s_or_b32 exec_lo, exec_lo, s25
.LBB2_3069:                             ;   in Loop: Header=BB2_2676 Depth=2
	s_delay_alu instid0(SALU_CYCLE_1) | instskip(SKIP_3) | instid1(VALU_DEP_1)
	s_or_b32 exec_lo, exec_lo, s24
	v_or_b32_e32 v98, v103, v97
	s_mov_b32 s7, 0
	s_mov_b32 s25, exec_lo
                                        ; implicit-def: $sgpr24
	v_and_b32_e32 v103, 0xff, v98
	s_delay_alu instid0(VALU_DEP_1)
	v_cmpx_lt_i16_e32 0x7f, v103
	s_xor_b32 s25, exec_lo, s25
	s_cbranch_execnz .LBB2_3291
; %bb.3070:                             ;   in Loop: Header=BB2_2676 Depth=2
	s_or_saveexec_b32 s25, s25
	v_mov_b32_e32 v97, s24
	s_xor_b32 exec_lo, exec_lo, s25
	s_cbranch_execnz .LBB2_3294
.LBB2_3071:                             ;   in Loop: Header=BB2_2676 Depth=2
	s_or_b32 exec_lo, exec_lo, s25
	s_and_saveexec_b32 s24, s7
	s_cbranch_execz .LBB2_3073
.LBB2_3072:                             ;   in Loop: Header=BB2_2676 Depth=2
	v_and_b32_e32 v97, 7, v98
	v_bfe_u32 v118, v98, 3, 4
	v_lshlrev_b32_e32 v119, 24, v98
	s_delay_alu instid0(VALU_DEP_3) | instskip(NEXT) | instid1(VALU_DEP_3)
	v_clz_i32_u32_e32 v103, v97
	v_cmp_eq_u32_e32 vcc_lo, 0, v118
	s_delay_alu instid0(VALU_DEP_2) | instskip(NEXT) | instid1(VALU_DEP_1)
	v_min_u32_e32 v103, 32, v103
	v_subrev_nc_u32_e32 v117, 28, v103
	v_sub_nc_u32_e32 v103, 29, v103
	s_delay_alu instid0(VALU_DEP_2) | instskip(NEXT) | instid1(VALU_DEP_2)
	v_lshlrev_b32_e32 v117, v117, v98
	v_cndmask_b32_e32 v103, v118, v103, vcc_lo
	s_delay_alu instid0(VALU_DEP_2) | instskip(NEXT) | instid1(VALU_DEP_2)
	v_and_b32_e32 v117, 7, v117
	v_lshl_add_u32 v103, v103, 23, 0x3b800000
	s_delay_alu instid0(VALU_DEP_2) | instskip(SKIP_1) | instid1(VALU_DEP_2)
	v_cndmask_b32_e32 v97, v97, v117, vcc_lo
	v_and_b32_e32 v117, 0x80000000, v119
	v_lshlrev_b32_e32 v97, 20, v97
	s_delay_alu instid0(VALU_DEP_1)
	v_or3_b32 v97, v117, v103, v97
.LBB2_3073:                             ;   in Loop: Header=BB2_2676 Depth=2
	s_or_b32 exec_lo, exec_lo, s24
	v_and_b32_e32 v117, 0xff, v13
	s_mov_b32 s7, 0
	s_mov_b32 s25, exec_lo
                                        ; implicit-def: $sgpr24
	s_delay_alu instid0(VALU_DEP_1)
	v_cmpx_lt_i16_e32 0x7f, v117
	s_xor_b32 s25, exec_lo, s25
	s_cbranch_execnz .LBB2_3295
; %bb.3074:                             ;   in Loop: Header=BB2_2676 Depth=2
	s_or_saveexec_b32 s25, s25
	v_mov_b32_e32 v103, s24
	s_xor_b32 exec_lo, exec_lo, s25
	s_cbranch_execnz .LBB2_3298
.LBB2_3075:                             ;   in Loop: Header=BB2_2676 Depth=2
	s_or_b32 exec_lo, exec_lo, s25
	s_and_saveexec_b32 s24, s7
	s_cbranch_execz .LBB2_3077
.LBB2_3076:                             ;   in Loop: Header=BB2_2676 Depth=2
	v_and_b32_e32 v103, 7, v13
	v_bfe_u32 v119, v13, 3, 4
	s_delay_alu instid0(VALU_DEP_2) | instskip(NEXT) | instid1(VALU_DEP_2)
	v_clz_i32_u32_e32 v117, v103
	v_cmp_eq_u32_e32 vcc_lo, 0, v119
	s_delay_alu instid0(VALU_DEP_2) | instskip(NEXT) | instid1(VALU_DEP_1)
	v_min_u32_e32 v117, 32, v117
	v_subrev_nc_u32_e32 v118, 28, v117
	v_sub_nc_u32_e32 v117, 29, v117
	s_delay_alu instid0(VALU_DEP_2) | instskip(NEXT) | instid1(VALU_DEP_1)
	v_lshlrev_b32_e32 v118, v118, v13
	v_dual_cndmask_b32 v117, v119, v117 :: v_dual_and_b32 v118, 7, v118
	v_lshlrev_b32_e32 v128, 24, v13
	s_delay_alu instid0(VALU_DEP_2) | instskip(NEXT) | instid1(VALU_DEP_2)
	v_lshl_add_u32 v117, v117, 23, 0x3b800000
	v_dual_cndmask_b32 v103, v103, v118 :: v_dual_and_b32 v118, 0x80000000, v128
	s_delay_alu instid0(VALU_DEP_1) | instskip(NEXT) | instid1(VALU_DEP_1)
	v_lshlrev_b32_e32 v103, 20, v103
	v_or3_b32 v103, v118, v117, v103
.LBB2_3077:                             ;   in Loop: Header=BB2_2676 Depth=2
	s_or_b32 exec_lo, exec_lo, s24
	s_delay_alu instid0(VALU_DEP_1) | instskip(NEXT) | instid1(VALU_DEP_1)
	v_add_f32_e32 v103, v97, v103
	v_and_b32_e32 v97, 0x7f800000, v103
	s_delay_alu instid0(VALU_DEP_1)
	v_cmp_ne_u32_e32 vcc_lo, 0x7f800000, v97
	v_mov_b32_e32 v97, 0x80
	s_and_saveexec_b32 s24, vcc_lo
	s_cbranch_execz .LBB2_3085
; %bb.3078:                             ;   in Loop: Header=BB2_2676 Depth=2
	v_mov_b32_e32 v97, 0
	s_mov_b32 s25, exec_lo
	v_cmpx_ne_u32_e32 0, v103
	s_cbranch_execz .LBB2_3084
; %bb.3079:                             ;   in Loop: Header=BB2_2676 Depth=2
	v_bfe_u32 v97, v103, 23, 8
	s_delay_alu instid0(VALU_DEP_1) | instskip(SKIP_1) | instid1(VALU_DEP_2)
	v_sub_nc_u32_e32 v118, 0x78, v97
	v_cmp_gt_u32_e32 vcc_lo, 0x79, v97
	v_dual_cndmask_b32 v118, 0, v118 :: v_dual_and_b32 v117, 0x7fffff, v103
	s_delay_alu instid0(VALU_DEP_1) | instskip(SKIP_2) | instid1(VALU_DEP_4)
	v_or_b32_e32 v119, 0x800000, v117
	v_cmp_eq_u32_e32 vcc_lo, 0, v97
	v_add_nc_u32_e32 v97, 0xffffff89, v97
	v_cndmask_b32_e64 v118, v118, 0x77, vcc_lo
	s_delay_alu instid0(VALU_DEP_4) | instskip(NEXT) | instid1(VALU_DEP_3)
	v_cndmask_b32_e32 v117, v119, v117, vcc_lo
	v_cndmask_b32_e64 v97, v97, 0xffffff8a, vcc_lo
	s_delay_alu instid0(VALU_DEP_3) | instskip(NEXT) | instid1(VALU_DEP_3)
	v_lshl_add_u32 v119, 0x100000, v118, -1
	v_lshrrev_b32_e32 v128, v118, v117
	v_lshlrev_b32_e64 v130, v118, 0x80000
	s_delay_alu instid0(VALU_DEP_4) | instskip(NEXT) | instid1(VALU_DEP_4)
	v_add_nc_u32_e32 v118, v118, v97
	v_and_b32_e32 v117, v119, v117
	s_delay_alu instid0(VALU_DEP_4) | instskip(NEXT) | instid1(VALU_DEP_2)
	v_bfe_u32 v129, v128, 20, 1
	v_cmp_eq_u32_e64 s7, v117, v130
	s_delay_alu instid0(VALU_DEP_2) | instskip(NEXT) | instid1(VALU_DEP_1)
	v_add_nc_u32_e32 v119, -1, v129
	v_cndmask_b32_e64 v117, 0, v119, s7
	v_lshrrev_b32_e32 v119, 23, v128
	s_mov_b32 s7, exec_lo
	s_delay_alu instid0(VALU_DEP_2) | instskip(NEXT) | instid1(VALU_DEP_2)
	v_add_nc_u32_e32 v117, v117, v128
	v_xor_b32_e32 v119, 1, v119
	s_delay_alu instid0(VALU_DEP_2) | instskip(NEXT) | instid1(VALU_DEP_1)
	v_and_b32_e32 v97, 0xfffff, v117
	v_add_nc_u32_e32 v117, v97, v128
                                        ; implicit-def: $vgpr97
	s_delay_alu instid0(VALU_DEP_3)
	v_cmpx_ne_u32_e64 v118, v119
	s_xor_b32 s7, exec_lo, s7
; %bb.3080:                             ;   in Loop: Header=BB2_2676 Depth=2
	s_delay_alu instid0(VALU_DEP_2) | instskip(SKIP_2) | instid1(VALU_DEP_2)
	v_cmp_lt_u32_e32 vcc_lo, 0xffffff, v117
	v_sub_nc_u32_e32 v97, v118, v119
	v_cndmask_b32_e64 v118, 0, 1, vcc_lo
	v_add_co_ci_u32_e32 v97, vcc_lo, 0, v97, vcc_lo
	s_delay_alu instid0(VALU_DEP_2)
	v_lshrrev_b32_e32 v117, v118, v117
; %bb.3081:                             ;   in Loop: Header=BB2_2676 Depth=2
	s_and_not1_saveexec_b32 s7, s7
; %bb.3082:                             ;   in Loop: Header=BB2_2676 Depth=2
	s_delay_alu instid0(VALU_DEP_1)
	v_bfe_u32 v97, v117, 23, 1
; %bb.3083:                             ;   in Loop: Header=BB2_2676 Depth=2
	s_or_b32 exec_lo, exec_lo, s7
	v_lshrrev_b32_e32 v117, 20, v117
	s_delay_alu instid0(VALU_DEP_2) | instskip(SKIP_2) | instid1(VALU_DEP_4)
	v_cmp_gt_i32_e32 vcc_lo, 16, v97
	v_lshrrev_b32_e32 v103, 24, v103
	v_min_i32_e32 v118, 15, v97
	v_cndmask_b32_e32 v117, 7, v117, vcc_lo
	s_delay_alu instid0(VALU_DEP_3) | instskip(NEXT) | instid1(VALU_DEP_3)
	v_and_b32_e32 v103, 0x80, v103
	v_lshlrev_b32_e32 v118, 3, v118
	s_delay_alu instid0(VALU_DEP_3) | instskip(SKIP_1) | instid1(VALU_DEP_2)
	v_and_b32_e32 v119, 7, v117
	v_or_b32_e32 v97, v97, v117
	v_or3_b32 v103, v118, v103, v119
	s_delay_alu instid0(VALU_DEP_2) | instskip(NEXT) | instid1(VALU_DEP_2)
	v_cmp_ne_u32_e32 vcc_lo, 0, v97
	v_cndmask_b32_e32 v97, 0, v103, vcc_lo
.LBB2_3084:                             ;   in Loop: Header=BB2_2676 Depth=2
	s_or_b32 exec_lo, exec_lo, s25
.LBB2_3085:                             ;   in Loop: Header=BB2_2676 Depth=2
	s_delay_alu instid0(SALU_CYCLE_1) | instskip(SKIP_3) | instid1(VALU_DEP_1)
	s_or_b32 exec_lo, exec_lo, s24
	v_lshrrev_b16 v117, 8, v98
	s_mov_b32 s7, 0
	s_mov_b32 s25, exec_lo
                                        ; implicit-def: $sgpr24
	v_cmpx_lt_i16_e32 0x7f, v117
	s_xor_b32 s25, exec_lo, s25
	s_cbranch_execnz .LBB2_3299
; %bb.3086:                             ;   in Loop: Header=BB2_2676 Depth=2
	s_or_saveexec_b32 s25, s25
	v_mov_b32_e32 v103, s24
	s_xor_b32 exec_lo, exec_lo, s25
	s_cbranch_execnz .LBB2_3302
.LBB2_3087:                             ;   in Loop: Header=BB2_2676 Depth=2
	s_or_b32 exec_lo, exec_lo, s25
	s_and_saveexec_b32 s24, s7
	s_cbranch_execz .LBB2_3089
.LBB2_3088:                             ;   in Loop: Header=BB2_2676 Depth=2
	v_and_b32_e32 v103, 0xffff, v117
	v_lshlrev_b32_e32 v117, 24, v117
	s_delay_alu instid0(VALU_DEP_2) | instskip(NEXT) | instid1(VALU_DEP_2)
	v_and_b32_e32 v118, 7, v103
	v_and_b32_e32 v117, 0x80000000, v117
	s_delay_alu instid0(VALU_DEP_2) | instskip(NEXT) | instid1(VALU_DEP_1)
	v_clz_i32_u32_e32 v119, v118
	v_min_u32_e32 v119, 32, v119
	s_delay_alu instid0(VALU_DEP_1) | instskip(SKIP_1) | instid1(VALU_DEP_2)
	v_subrev_nc_u32_e32 v128, 28, v119
	v_sub_nc_u32_e32 v119, 29, v119
	v_lshlrev_b32_e32 v128, v128, v103
	v_bfe_u32 v103, v103, 3, 4
	s_delay_alu instid0(VALU_DEP_1) | instskip(NEXT) | instid1(VALU_DEP_3)
	v_cmp_eq_u32_e32 vcc_lo, 0, v103
	v_dual_cndmask_b32 v103, v103, v119 :: v_dual_and_b32 v128, 7, v128
	s_delay_alu instid0(VALU_DEP_1) | instskip(NEXT) | instid1(VALU_DEP_2)
	v_cndmask_b32_e32 v118, v118, v128, vcc_lo
	v_lshl_add_u32 v103, v103, 23, 0x3b800000
	s_delay_alu instid0(VALU_DEP_2) | instskip(NEXT) | instid1(VALU_DEP_1)
	v_lshlrev_b32_e32 v118, 20, v118
	v_or3_b32 v103, v117, v103, v118
.LBB2_3089:                             ;   in Loop: Header=BB2_2676 Depth=2
	s_or_b32 exec_lo, exec_lo, s24
	v_lshrrev_b16 v117, 8, v13
	s_mov_b32 s7, 0
	s_mov_b32 s25, exec_lo
                                        ; implicit-def: $sgpr24
	s_delay_alu instid0(VALU_DEP_1)
	v_cmpx_lt_i16_e32 0x7f, v117
	s_xor_b32 s25, exec_lo, s25
	s_cbranch_execnz .LBB2_3303
; %bb.3090:                             ;   in Loop: Header=BB2_2676 Depth=2
	s_or_saveexec_b32 s25, s25
	v_mov_b32_e32 v118, s24
	s_xor_b32 exec_lo, exec_lo, s25
	s_cbranch_execnz .LBB2_3306
.LBB2_3091:                             ;   in Loop: Header=BB2_2676 Depth=2
	s_or_b32 exec_lo, exec_lo, s25
	s_and_saveexec_b32 s24, s7
	s_cbranch_execz .LBB2_3093
.LBB2_3092:                             ;   in Loop: Header=BB2_2676 Depth=2
	v_and_b32_e32 v118, 0xffff, v117
	v_lshlrev_b32_e32 v117, 24, v117
	s_delay_alu instid0(VALU_DEP_2) | instskip(NEXT) | instid1(VALU_DEP_2)
	v_and_b32_e32 v119, 7, v118
	v_and_b32_e32 v117, 0x80000000, v117
	s_delay_alu instid0(VALU_DEP_2) | instskip(NEXT) | instid1(VALU_DEP_1)
	v_clz_i32_u32_e32 v128, v119
	v_min_u32_e32 v128, 32, v128
	s_delay_alu instid0(VALU_DEP_1) | instskip(SKIP_1) | instid1(VALU_DEP_2)
	v_subrev_nc_u32_e32 v129, 28, v128
	v_sub_nc_u32_e32 v128, 29, v128
	v_lshlrev_b32_e32 v129, v129, v118
	v_bfe_u32 v118, v118, 3, 4
	s_delay_alu instid0(VALU_DEP_2) | instskip(NEXT) | instid1(VALU_DEP_2)
	v_and_b32_e32 v129, 7, v129
	v_cmp_eq_u32_e32 vcc_lo, 0, v118
	s_delay_alu instid0(VALU_DEP_2) | instskip(NEXT) | instid1(VALU_DEP_1)
	v_dual_cndmask_b32 v118, v118, v128 :: v_dual_cndmask_b32 v119, v119, v129
	v_lshl_add_u32 v118, v118, 23, 0x3b800000
	s_delay_alu instid0(VALU_DEP_2) | instskip(NEXT) | instid1(VALU_DEP_1)
	v_lshlrev_b32_e32 v119, 20, v119
	v_or3_b32 v118, v117, v118, v119
.LBB2_3093:                             ;   in Loop: Header=BB2_2676 Depth=2
	s_or_b32 exec_lo, exec_lo, s24
	s_delay_alu instid0(VALU_DEP_1) | instskip(NEXT) | instid1(VALU_DEP_1)
	v_add_f32_e32 v117, v103, v118
	v_and_b32_e32 v103, 0x7f800000, v117
	s_delay_alu instid0(VALU_DEP_1)
	v_cmp_ne_u32_e32 vcc_lo, 0x7f800000, v103
	v_mov_b32_e32 v103, 0x8000
	s_and_saveexec_b32 s24, vcc_lo
	s_cbranch_execz .LBB2_3101
; %bb.3094:                             ;   in Loop: Header=BB2_2676 Depth=2
	v_mov_b32_e32 v103, 0
	s_mov_b32 s25, exec_lo
	v_cmpx_ne_u32_e32 0, v117
	s_cbranch_execz .LBB2_3100
; %bb.3095:                             ;   in Loop: Header=BB2_2676 Depth=2
	v_bfe_u32 v103, v117, 23, 8
	s_delay_alu instid0(VALU_DEP_1) | instskip(SKIP_1) | instid1(VALU_DEP_2)
	v_sub_nc_u32_e32 v119, 0x78, v103
	v_cmp_gt_u32_e32 vcc_lo, 0x79, v103
	v_dual_cndmask_b32 v119, 0, v119 :: v_dual_and_b32 v118, 0x7fffff, v117
	s_delay_alu instid0(VALU_DEP_1) | instskip(SKIP_2) | instid1(VALU_DEP_4)
	v_or_b32_e32 v128, 0x800000, v118
	v_cmp_eq_u32_e32 vcc_lo, 0, v103
	v_add_nc_u32_e32 v103, 0xffffff89, v103
	v_cndmask_b32_e64 v119, v119, 0x77, vcc_lo
	s_delay_alu instid0(VALU_DEP_4) | instskip(NEXT) | instid1(VALU_DEP_3)
	v_cndmask_b32_e32 v118, v128, v118, vcc_lo
	v_cndmask_b32_e64 v103, v103, 0xffffff8a, vcc_lo
	s_delay_alu instid0(VALU_DEP_3) | instskip(NEXT) | instid1(VALU_DEP_3)
	v_lshl_add_u32 v128, 0x100000, v119, -1
	v_lshrrev_b32_e32 v129, v119, v118
	v_lshlrev_b32_e64 v131, v119, 0x80000
	s_delay_alu instid0(VALU_DEP_4) | instskip(NEXT) | instid1(VALU_DEP_4)
	v_add_nc_u32_e32 v119, v119, v103
	v_and_b32_e32 v118, v128, v118
	s_delay_alu instid0(VALU_DEP_4) | instskip(NEXT) | instid1(VALU_DEP_2)
	v_bfe_u32 v130, v129, 20, 1
	v_cmp_eq_u32_e64 s7, v118, v131
	s_delay_alu instid0(VALU_DEP_2) | instskip(NEXT) | instid1(VALU_DEP_1)
	v_add_nc_u32_e32 v128, -1, v130
	v_cndmask_b32_e64 v118, 0, v128, s7
	v_lshrrev_b32_e32 v128, 23, v129
	s_mov_b32 s7, exec_lo
	s_delay_alu instid0(VALU_DEP_2) | instskip(NEXT) | instid1(VALU_DEP_2)
	v_add_nc_u32_e32 v118, v118, v129
	v_xor_b32_e32 v128, 1, v128
	s_delay_alu instid0(VALU_DEP_2) | instskip(NEXT) | instid1(VALU_DEP_1)
	v_and_b32_e32 v103, 0xfffff, v118
	v_add_nc_u32_e32 v118, v103, v129
                                        ; implicit-def: $vgpr103
	s_delay_alu instid0(VALU_DEP_3)
	v_cmpx_ne_u32_e64 v119, v128
	s_xor_b32 s7, exec_lo, s7
; %bb.3096:                             ;   in Loop: Header=BB2_2676 Depth=2
	s_delay_alu instid0(VALU_DEP_2) | instskip(SKIP_2) | instid1(VALU_DEP_2)
	v_cmp_lt_u32_e32 vcc_lo, 0xffffff, v118
	v_sub_nc_u32_e32 v103, v119, v128
	v_cndmask_b32_e64 v119, 0, 1, vcc_lo
	v_add_co_ci_u32_e32 v103, vcc_lo, 0, v103, vcc_lo
	s_delay_alu instid0(VALU_DEP_2)
	v_lshrrev_b32_e32 v118, v119, v118
; %bb.3097:                             ;   in Loop: Header=BB2_2676 Depth=2
	s_and_not1_saveexec_b32 s7, s7
; %bb.3098:                             ;   in Loop: Header=BB2_2676 Depth=2
	s_delay_alu instid0(VALU_DEP_1)
	v_bfe_u32 v103, v118, 23, 1
; %bb.3099:                             ;   in Loop: Header=BB2_2676 Depth=2
	s_or_b32 exec_lo, exec_lo, s7
	v_lshrrev_b32_e32 v118, 20, v118
	s_delay_alu instid0(VALU_DEP_2) | instskip(SKIP_2) | instid1(VALU_DEP_2)
	v_cmp_gt_i32_e32 vcc_lo, 16, v103
	v_min_i32_e32 v119, 15, v103
	v_lshrrev_b32_e32 v117, 24, v117
	v_dual_cndmask_b32 v118, 7, v118 :: v_dual_lshlrev_b32 v119, 3, v119
	s_delay_alu instid0(VALU_DEP_2) | instskip(NEXT) | instid1(VALU_DEP_2)
	v_and_b32_e32 v117, 0x80, v117
	v_or_b32_e32 v103, v103, v118
	s_delay_alu instid0(VALU_DEP_3) | instskip(NEXT) | instid1(VALU_DEP_2)
	v_and_b32_e32 v119, 0xf8, v119
	v_cmp_ne_u32_e32 vcc_lo, 0, v103
	v_and_b32_e32 v128, 7, v118
	s_delay_alu instid0(VALU_DEP_1) | instskip(NEXT) | instid1(VALU_DEP_1)
	v_or3_b32 v117, v117, v119, v128
	v_lshlrev_b32_e32 v117, 8, v117
	s_delay_alu instid0(VALU_DEP_1)
	v_cndmask_b32_e32 v103, 0, v117, vcc_lo
.LBB2_3100:                             ;   in Loop: Header=BB2_2676 Depth=2
	s_or_b32 exec_lo, exec_lo, s25
.LBB2_3101:                             ;   in Loop: Header=BB2_2676 Depth=2
	s_delay_alu instid0(SALU_CYCLE_1) | instskip(SKIP_3) | instid1(VALU_DEP_1)
	s_or_b32 exec_lo, exec_lo, s24
	v_or_b32_e32 v100, v100, v96
	s_mov_b32 s7, 0
	s_mov_b32 s25, exec_lo
                                        ; implicit-def: $sgpr24
	v_and_b32_e32 v117, 0xff, v100
	s_delay_alu instid0(VALU_DEP_1)
	v_cmpx_lt_i16_e32 0x7f, v117
	s_xor_b32 s25, exec_lo, s25
	s_cbranch_execnz .LBB2_3307
; %bb.3102:                             ;   in Loop: Header=BB2_2676 Depth=2
	s_or_saveexec_b32 s25, s25
	v_mov_b32_e32 v96, s24
	s_xor_b32 exec_lo, exec_lo, s25
	s_cbranch_execnz .LBB2_3310
.LBB2_3103:                             ;   in Loop: Header=BB2_2676 Depth=2
	s_or_b32 exec_lo, exec_lo, s25
	v_lshl_or_b32 v98, v100, 16, v98
	s_and_saveexec_b32 s24, s7
	s_cbranch_execz .LBB2_3105
.LBB2_3104:                             ;   in Loop: Header=BB2_2676 Depth=2
	s_delay_alu instid0(VALU_DEP_1) | instskip(SKIP_1) | instid1(VALU_DEP_2)
	v_bfe_u32 v96, v98, 16, 3
	v_lshrrev_b32_e32 v117, 16, v98
	v_clz_i32_u32_e32 v100, v96
	s_delay_alu instid0(VALU_DEP_1) | instskip(NEXT) | instid1(VALU_DEP_1)
	v_min_u32_e32 v100, 32, v100
	v_subrev_nc_u32_e32 v118, 28, v100
	v_sub_nc_u32_e32 v100, 29, v100
	s_delay_alu instid0(VALU_DEP_2) | instskip(SKIP_1) | instid1(VALU_DEP_1)
	v_lshlrev_b32_e32 v117, v118, v117
	v_bfe_u32 v118, v98, 19, 4
	v_cmp_eq_u32_e32 vcc_lo, 0, v118
	s_delay_alu instid0(VALU_DEP_3) | instskip(NEXT) | instid1(VALU_DEP_1)
	v_dual_cndmask_b32 v100, v118, v100 :: v_dual_and_b32 v117, 7, v117
	v_dual_cndmask_b32 v96, v96, v117 :: v_dual_lshlrev_b32 v119, 8, v98
	s_delay_alu instid0(VALU_DEP_2) | instskip(NEXT) | instid1(VALU_DEP_2)
	v_lshl_add_u32 v100, v100, 23, 0x3b800000
	v_and_b32_e32 v117, 0x80000000, v119
	s_delay_alu instid0(VALU_DEP_3) | instskip(NEXT) | instid1(VALU_DEP_1)
	v_lshlrev_b32_e32 v96, 20, v96
	v_or3_b32 v96, v117, v100, v96
.LBB2_3105:                             ;   in Loop: Header=BB2_2676 Depth=2
	s_or_b32 exec_lo, exec_lo, s24
	v_lshrrev_b32_e32 v100, 16, v13
	s_mov_b32 s7, 0
	s_mov_b32 s25, exec_lo
                                        ; implicit-def: $sgpr24
	s_delay_alu instid0(VALU_DEP_1) | instskip(NEXT) | instid1(VALU_DEP_1)
	v_and_b32_e32 v118, 0xff, v100
	v_cmpx_lt_i16_e32 0x7f, v118
	s_xor_b32 s25, exec_lo, s25
	s_cbranch_execnz .LBB2_3311
; %bb.3106:                             ;   in Loop: Header=BB2_2676 Depth=2
	s_or_saveexec_b32 s25, s25
	v_mov_b32_e32 v117, s24
	s_xor_b32 exec_lo, exec_lo, s25
	s_cbranch_execnz .LBB2_3314
.LBB2_3107:                             ;   in Loop: Header=BB2_2676 Depth=2
	s_or_b32 exec_lo, exec_lo, s25
	s_and_saveexec_b32 s24, s7
	s_cbranch_execz .LBB2_3109
.LBB2_3108:                             ;   in Loop: Header=BB2_2676 Depth=2
	v_bfe_u32 v117, v13, 16, 3
	v_lshlrev_b32_e32 v128, 8, v13
	s_delay_alu instid0(VALU_DEP_2) | instskip(NEXT) | instid1(VALU_DEP_1)
	v_clz_i32_u32_e32 v118, v117
	v_min_u32_e32 v118, 32, v118
	s_delay_alu instid0(VALU_DEP_1) | instskip(SKIP_1) | instid1(VALU_DEP_2)
	v_subrev_nc_u32_e32 v119, 28, v118
	v_sub_nc_u32_e32 v118, 29, v118
	v_lshlrev_b32_e32 v100, v119, v100
	v_bfe_u32 v119, v13, 19, 4
	s_delay_alu instid0(VALU_DEP_2) | instskip(NEXT) | instid1(VALU_DEP_2)
	v_and_b32_e32 v100, 7, v100
	v_cmp_eq_u32_e32 vcc_lo, 0, v119
	v_cndmask_b32_e32 v118, v119, v118, vcc_lo
	s_delay_alu instid0(VALU_DEP_3) | instskip(SKIP_1) | instid1(VALU_DEP_3)
	v_cndmask_b32_e32 v100, v117, v100, vcc_lo
	v_and_b32_e32 v117, 0x80000000, v128
	v_lshl_add_u32 v118, v118, 23, 0x3b800000
	s_delay_alu instid0(VALU_DEP_3) | instskip(NEXT) | instid1(VALU_DEP_1)
	v_lshlrev_b32_e32 v100, 20, v100
	v_or3_b32 v117, v117, v118, v100
.LBB2_3109:                             ;   in Loop: Header=BB2_2676 Depth=2
	s_or_b32 exec_lo, exec_lo, s24
	s_delay_alu instid0(VALU_DEP_1) | instskip(NEXT) | instid1(VALU_DEP_1)
	v_add_f32_e32 v100, v96, v117
	v_and_b32_e32 v96, 0x7f800000, v100
	s_delay_alu instid0(VALU_DEP_1)
	v_cmp_ne_u32_e32 vcc_lo, 0x7f800000, v96
	v_mov_b32_e32 v96, 0x80
	s_and_saveexec_b32 s24, vcc_lo
	s_cbranch_execz .LBB2_3117
; %bb.3110:                             ;   in Loop: Header=BB2_2676 Depth=2
	v_mov_b32_e32 v96, 0
	s_mov_b32 s25, exec_lo
	v_cmpx_ne_u32_e32 0, v100
	s_cbranch_execz .LBB2_3116
; %bb.3111:                             ;   in Loop: Header=BB2_2676 Depth=2
	v_bfe_u32 v96, v100, 23, 8
	s_delay_alu instid0(VALU_DEP_1) | instskip(SKIP_1) | instid1(VALU_DEP_2)
	v_sub_nc_u32_e32 v118, 0x78, v96
	v_cmp_gt_u32_e32 vcc_lo, 0x79, v96
	v_dual_cndmask_b32 v118, 0, v118 :: v_dual_and_b32 v117, 0x7fffff, v100
	s_delay_alu instid0(VALU_DEP_1) | instskip(SKIP_2) | instid1(VALU_DEP_4)
	v_or_b32_e32 v119, 0x800000, v117
	v_cmp_eq_u32_e32 vcc_lo, 0, v96
	v_add_nc_u32_e32 v96, 0xffffff89, v96
	v_cndmask_b32_e64 v118, v118, 0x77, vcc_lo
	s_delay_alu instid0(VALU_DEP_4) | instskip(NEXT) | instid1(VALU_DEP_3)
	v_cndmask_b32_e32 v117, v119, v117, vcc_lo
	v_cndmask_b32_e64 v96, v96, 0xffffff8a, vcc_lo
	s_delay_alu instid0(VALU_DEP_3) | instskip(NEXT) | instid1(VALU_DEP_3)
	v_lshl_add_u32 v119, 0x100000, v118, -1
	v_lshrrev_b32_e32 v128, v118, v117
	v_lshlrev_b32_e64 v130, v118, 0x80000
	s_delay_alu instid0(VALU_DEP_4) | instskip(NEXT) | instid1(VALU_DEP_4)
	v_add_nc_u32_e32 v118, v118, v96
	v_and_b32_e32 v117, v119, v117
	s_delay_alu instid0(VALU_DEP_4) | instskip(NEXT) | instid1(VALU_DEP_2)
	v_bfe_u32 v129, v128, 20, 1
	v_cmp_eq_u32_e64 s7, v117, v130
	s_delay_alu instid0(VALU_DEP_2) | instskip(NEXT) | instid1(VALU_DEP_1)
	v_add_nc_u32_e32 v119, -1, v129
	v_cndmask_b32_e64 v117, 0, v119, s7
	v_lshrrev_b32_e32 v119, 23, v128
	s_mov_b32 s7, exec_lo
	s_delay_alu instid0(VALU_DEP_2) | instskip(NEXT) | instid1(VALU_DEP_2)
	v_add_nc_u32_e32 v117, v117, v128
	v_xor_b32_e32 v119, 1, v119
	s_delay_alu instid0(VALU_DEP_2) | instskip(NEXT) | instid1(VALU_DEP_1)
	v_and_b32_e32 v96, 0xfffff, v117
	v_add_nc_u32_e32 v117, v96, v128
                                        ; implicit-def: $vgpr96
	s_delay_alu instid0(VALU_DEP_3)
	v_cmpx_ne_u32_e64 v118, v119
	s_xor_b32 s7, exec_lo, s7
; %bb.3112:                             ;   in Loop: Header=BB2_2676 Depth=2
	s_delay_alu instid0(VALU_DEP_2) | instskip(SKIP_2) | instid1(VALU_DEP_2)
	v_cmp_lt_u32_e32 vcc_lo, 0xffffff, v117
	v_sub_nc_u32_e32 v96, v118, v119
	v_cndmask_b32_e64 v118, 0, 1, vcc_lo
	v_add_co_ci_u32_e32 v96, vcc_lo, 0, v96, vcc_lo
	s_delay_alu instid0(VALU_DEP_2)
	v_lshrrev_b32_e32 v117, v118, v117
; %bb.3113:                             ;   in Loop: Header=BB2_2676 Depth=2
	s_and_not1_saveexec_b32 s7, s7
; %bb.3114:                             ;   in Loop: Header=BB2_2676 Depth=2
	s_delay_alu instid0(VALU_DEP_1)
	v_bfe_u32 v96, v117, 23, 1
; %bb.3115:                             ;   in Loop: Header=BB2_2676 Depth=2
	s_or_b32 exec_lo, exec_lo, s7
	v_lshrrev_b32_e32 v117, 20, v117
	s_delay_alu instid0(VALU_DEP_2) | instskip(SKIP_2) | instid1(VALU_DEP_2)
	v_cmp_gt_i32_e32 vcc_lo, 16, v96
	v_min_i32_e32 v118, 15, v96
	v_lshrrev_b32_e32 v100, 24, v100
	v_dual_cndmask_b32 v117, 7, v117 :: v_dual_lshlrev_b32 v118, 3, v118
	s_delay_alu instid0(VALU_DEP_2) | instskip(NEXT) | instid1(VALU_DEP_2)
	v_and_b32_e32 v100, 0x80, v100
	v_or_b32_e32 v96, v96, v117
	s_delay_alu instid0(VALU_DEP_3) | instskip(NEXT) | instid1(VALU_DEP_2)
	v_and_b32_e32 v118, 0xf8, v118
	v_cmp_ne_u32_e32 vcc_lo, 0, v96
	v_and_b32_e32 v119, 7, v117
	s_delay_alu instid0(VALU_DEP_1) | instskip(NEXT) | instid1(VALU_DEP_1)
	v_or3_b32 v100, v118, v100, v119
	v_cndmask_b32_e32 v96, 0, v100, vcc_lo
.LBB2_3116:                             ;   in Loop: Header=BB2_2676 Depth=2
	s_or_b32 exec_lo, exec_lo, s25
.LBB2_3117:                             ;   in Loop: Header=BB2_2676 Depth=2
	s_delay_alu instid0(SALU_CYCLE_1) | instskip(SKIP_3) | instid1(VALU_DEP_1)
	s_or_b32 exec_lo, exec_lo, s24
	v_lshrrev_b32_e32 v117, 24, v98
	s_mov_b32 s7, 0
	s_mov_b32 s25, exec_lo
                                        ; implicit-def: $sgpr24
	v_cmpx_lt_i16_e32 0x7f, v117
	s_xor_b32 s25, exec_lo, s25
	s_cbranch_execnz .LBB2_3315
; %bb.3118:                             ;   in Loop: Header=BB2_2676 Depth=2
	s_or_saveexec_b32 s25, s25
	v_mov_b32_e32 v100, s24
	s_xor_b32 exec_lo, exec_lo, s25
	s_cbranch_execnz .LBB2_3318
.LBB2_3119:                             ;   in Loop: Header=BB2_2676 Depth=2
	s_or_b32 exec_lo, exec_lo, s25
	s_and_saveexec_b32 s24, s7
	s_cbranch_execz .LBB2_3121
.LBB2_3120:                             ;   in Loop: Header=BB2_2676 Depth=2
	v_bfe_u32 v100, v98, 24, 3
	s_delay_alu instid0(VALU_DEP_1) | instskip(NEXT) | instid1(VALU_DEP_1)
	v_clz_i32_u32_e32 v118, v100
	v_min_u32_e32 v118, 32, v118
	s_delay_alu instid0(VALU_DEP_1) | instskip(SKIP_1) | instid1(VALU_DEP_2)
	v_subrev_nc_u32_e32 v119, 28, v118
	v_sub_nc_u32_e32 v118, 29, v118
	v_lshlrev_b32_e32 v117, v119, v117
	v_bfe_u32 v119, v98, 27, 4
	v_and_b32_e32 v98, 0x80000000, v98
	s_delay_alu instid0(VALU_DEP_2) | instskip(NEXT) | instid1(VALU_DEP_4)
	v_cmp_eq_u32_e32 vcc_lo, 0, v119
	v_dual_cndmask_b32 v118, v119, v118 :: v_dual_and_b32 v117, 7, v117
	s_delay_alu instid0(VALU_DEP_1) | instskip(NEXT) | instid1(VALU_DEP_2)
	v_cndmask_b32_e32 v100, v100, v117, vcc_lo
	v_lshl_add_u32 v117, v118, 23, 0x3b800000
	s_delay_alu instid0(VALU_DEP_2) | instskip(NEXT) | instid1(VALU_DEP_1)
	v_lshlrev_b32_e32 v100, 20, v100
	v_or3_b32 v100, v98, v117, v100
.LBB2_3121:                             ;   in Loop: Header=BB2_2676 Depth=2
	s_or_b32 exec_lo, exec_lo, s24
	v_lshrrev_b32_e32 v98, 24, v13
	s_mov_b32 s7, 0
	s_mov_b32 s25, exec_lo
                                        ; implicit-def: $sgpr24
	s_delay_alu instid0(VALU_DEP_1)
	v_cmpx_lt_i16_e32 0x7f, v98
	s_xor_b32 s25, exec_lo, s25
	s_cbranch_execnz .LBB2_3319
; %bb.3122:                             ;   in Loop: Header=BB2_2676 Depth=2
	s_or_saveexec_b32 s25, s25
	v_mov_b32_e32 v117, s24
	s_xor_b32 exec_lo, exec_lo, s25
	s_cbranch_execnz .LBB2_3322
.LBB2_3123:                             ;   in Loop: Header=BB2_2676 Depth=2
	s_or_b32 exec_lo, exec_lo, s25
	s_and_saveexec_b32 s24, s7
	s_cbranch_execz .LBB2_3125
.LBB2_3124:                             ;   in Loop: Header=BB2_2676 Depth=2
	v_bfe_u32 v117, v13, 24, 3
	s_delay_alu instid0(VALU_DEP_1) | instskip(NEXT) | instid1(VALU_DEP_1)
	v_clz_i32_u32_e32 v118, v117
	v_min_u32_e32 v118, 32, v118
	s_delay_alu instid0(VALU_DEP_1) | instskip(SKIP_1) | instid1(VALU_DEP_2)
	v_subrev_nc_u32_e32 v119, 28, v118
	v_sub_nc_u32_e32 v118, 29, v118
	v_lshlrev_b32_e32 v98, v119, v98
	v_bfe_u32 v119, v13, 27, 4
	v_and_b32_e32 v13, 0x80000000, v13
	s_delay_alu instid0(VALU_DEP_3) | instskip(NEXT) | instid1(VALU_DEP_3)
	v_and_b32_e32 v98, 7, v98
	v_cmp_eq_u32_e32 vcc_lo, 0, v119
	v_cndmask_b32_e32 v118, v119, v118, vcc_lo
	s_delay_alu instid0(VALU_DEP_3) | instskip(NEXT) | instid1(VALU_DEP_2)
	v_cndmask_b32_e32 v98, v117, v98, vcc_lo
	v_lshl_add_u32 v117, v118, 23, 0x3b800000
	s_delay_alu instid0(VALU_DEP_2) | instskip(NEXT) | instid1(VALU_DEP_1)
	v_lshlrev_b32_e32 v98, 20, v98
	v_or3_b32 v117, v13, v117, v98
.LBB2_3125:                             ;   in Loop: Header=BB2_2676 Depth=2
	s_or_b32 exec_lo, exec_lo, s24
	s_delay_alu instid0(VALU_DEP_1) | instskip(NEXT) | instid1(VALU_DEP_1)
	v_add_f32_e32 v13, v100, v117
	v_and_b32_e32 v98, 0x7f800000, v13
	s_delay_alu instid0(VALU_DEP_1)
	v_cmp_ne_u32_e32 vcc_lo, 0x7f800000, v98
	v_mov_b32_e32 v98, 0x8000
	s_and_saveexec_b32 s24, vcc_lo
	s_cbranch_execz .LBB2_2675
; %bb.3126:                             ;   in Loop: Header=BB2_2676 Depth=2
	v_mov_b32_e32 v98, 0
	s_mov_b32 s25, exec_lo
	v_cmpx_ne_u32_e32 0, v13
	s_cbranch_execz .LBB2_2674
; %bb.3127:                             ;   in Loop: Header=BB2_2676 Depth=2
	v_bfe_u32 v98, v13, 23, 8
	v_and_b32_e32 v100, 0x7fffff, v13
	s_delay_alu instid0(VALU_DEP_2) | instskip(SKIP_1) | instid1(VALU_DEP_3)
	v_sub_nc_u32_e32 v117, 0x78, v98
	v_cmp_gt_u32_e32 vcc_lo, 0x79, v98
	v_or_b32_e32 v118, 0x800000, v100
	s_delay_alu instid0(VALU_DEP_3) | instskip(SKIP_2) | instid1(VALU_DEP_4)
	v_cndmask_b32_e32 v117, 0, v117, vcc_lo
	v_cmp_eq_u32_e32 vcc_lo, 0, v98
	v_add_nc_u32_e32 v98, 0xffffff89, v98
	v_cndmask_b32_e32 v100, v118, v100, vcc_lo
	s_delay_alu instid0(VALU_DEP_4) | instskip(NEXT) | instid1(VALU_DEP_3)
	v_cndmask_b32_e64 v117, v117, 0x77, vcc_lo
	v_cndmask_b32_e64 v98, v98, 0xffffff8a, vcc_lo
	s_delay_alu instid0(VALU_DEP_2) | instskip(SKIP_2) | instid1(VALU_DEP_4)
	v_lshrrev_b32_e32 v119, v117, v100
	v_lshl_add_u32 v118, 0x100000, v117, -1
	v_lshlrev_b32_e64 v129, v117, 0x80000
	v_add_nc_u32_e32 v117, v117, v98
	s_delay_alu instid0(VALU_DEP_4) | instskip(NEXT) | instid1(VALU_DEP_4)
	v_bfe_u32 v128, v119, 20, 1
	v_and_b32_e32 v100, v118, v100
	s_delay_alu instid0(VALU_DEP_2) | instskip(NEXT) | instid1(VALU_DEP_2)
	v_add_nc_u32_e32 v118, -1, v128
	v_cmp_eq_u32_e64 s7, v100, v129
	s_delay_alu instid0(VALU_DEP_1) | instskip(SKIP_2) | instid1(VALU_DEP_2)
	v_cndmask_b32_e64 v100, 0, v118, s7
	v_lshrrev_b32_e32 v118, 23, v119
	s_mov_b32 s7, exec_lo
	v_add_nc_u32_e32 v100, v100, v119
	s_delay_alu instid0(VALU_DEP_2) | instskip(NEXT) | instid1(VALU_DEP_2)
	v_xor_b32_e32 v118, 1, v118
	v_and_b32_e32 v98, 0xfffff, v100
	s_delay_alu instid0(VALU_DEP_1) | instskip(NEXT) | instid1(VALU_DEP_3)
	v_add_nc_u32_e32 v100, v98, v119
                                        ; implicit-def: $vgpr98
	v_cmpx_ne_u32_e64 v117, v118
	s_xor_b32 s7, exec_lo, s7
; %bb.3128:                             ;   in Loop: Header=BB2_2676 Depth=2
	s_delay_alu instid0(VALU_DEP_2) | instskip(SKIP_2) | instid1(VALU_DEP_2)
	v_cmp_lt_u32_e32 vcc_lo, 0xffffff, v100
	v_sub_nc_u32_e32 v98, v117, v118
	v_cndmask_b32_e64 v117, 0, 1, vcc_lo
	v_add_co_ci_u32_e32 v98, vcc_lo, 0, v98, vcc_lo
	s_delay_alu instid0(VALU_DEP_2)
	v_lshrrev_b32_e32 v100, v117, v100
; %bb.3129:                             ;   in Loop: Header=BB2_2676 Depth=2
	s_and_not1_saveexec_b32 s7, s7
	s_cbranch_execz .LBB2_2673
; %bb.3130:                             ;   in Loop: Header=BB2_2676 Depth=2
	s_delay_alu instid0(VALU_DEP_1)
	v_bfe_u32 v98, v100, 23, 1
	s_branch .LBB2_2673
.LBB2_3131:                             ;   in Loop: Header=BB2_2676 Depth=2
	s_mov_b32 s7, -1
	s_mov_b32 s27, exec_lo
                                        ; implicit-def: $sgpr25
	v_cmpx_eq_u16_e32 0x80, v96
; %bb.3132:                             ;   in Loop: Header=BB2_2676 Depth=2
	s_mov_b32 s25, 0x7f800001
	s_xor_b32 s7, exec_lo, -1
; %bb.3133:                             ;   in Loop: Header=BB2_2676 Depth=2
	s_or_b32 exec_lo, exec_lo, s27
	s_delay_alu instid0(SALU_CYCLE_1)
	s_and_b32 s7, s7, exec_lo
                                        ; implicit-def: $vgpr96
	s_or_saveexec_b32 s26, s26
	v_mov_b32_e32 v87, s25
	s_xor_b32 exec_lo, exec_lo, s26
	s_cbranch_execz .LBB2_2687
.LBB2_3134:                             ;   in Loop: Header=BB2_2676 Depth=2
	v_cmp_ne_u16_e32 vcc_lo, 0, v96
	v_mov_b32_e32 v87, 0
	s_and_not1_b32 s7, s7, exec_lo
	s_and_b32 s25, vcc_lo, exec_lo
	s_delay_alu instid0(SALU_CYCLE_1)
	s_or_b32 s7, s7, s25
	s_or_b32 exec_lo, exec_lo, s26
	s_and_saveexec_b32 s25, s7
	s_cbranch_execnz .LBB2_2688
	s_branch .LBB2_2689
.LBB2_3135:                             ;   in Loop: Header=BB2_2676 Depth=2
	s_mov_b32 s7, -1
	s_mov_b32 s27, exec_lo
                                        ; implicit-def: $sgpr25
	v_cmpx_eq_u16_e32 0x80, v96
; %bb.3136:                             ;   in Loop: Header=BB2_2676 Depth=2
	s_mov_b32 s25, 0x7f800001
	s_xor_b32 s7, exec_lo, -1
; %bb.3137:                             ;   in Loop: Header=BB2_2676 Depth=2
	s_or_b32 exec_lo, exec_lo, s27
	s_delay_alu instid0(SALU_CYCLE_1)
	s_and_b32 s7, s7, exec_lo
	s_or_saveexec_b32 s26, s26
	v_mov_b32_e32 v97, s25
	s_xor_b32 exec_lo, exec_lo, s26
	s_cbranch_execz .LBB2_2699
.LBB2_3138:                             ;   in Loop: Header=BB2_2676 Depth=2
	v_cmp_ne_u16_e32 vcc_lo, 0, v96
	v_mov_b32_e32 v97, 0
	s_and_not1_b32 s7, s7, exec_lo
	s_and_b32 s25, vcc_lo, exec_lo
	s_delay_alu instid0(SALU_CYCLE_1)
	s_or_b32 s7, s7, s25
	s_or_b32 exec_lo, exec_lo, s26
	s_and_saveexec_b32 s25, s7
	s_cbranch_execnz .LBB2_2700
	s_branch .LBB2_2701
.LBB2_3139:                             ;   in Loop: Header=BB2_2676 Depth=2
	s_mov_b32 s7, -1
	s_mov_b32 s27, exec_lo
                                        ; implicit-def: $sgpr25
	v_cmpx_eq_u16_e32 0x80, v98
; %bb.3140:                             ;   in Loop: Header=BB2_2676 Depth=2
	s_mov_b32 s25, 0x7f800001
	s_xor_b32 s7, exec_lo, -1
; %bb.3141:                             ;   in Loop: Header=BB2_2676 Depth=2
	s_or_b32 exec_lo, exec_lo, s27
	s_delay_alu instid0(SALU_CYCLE_1)
	s_and_b32 s7, s7, exec_lo
                                        ; implicit-def: $vgpr98
	s_or_saveexec_b32 s26, s26
	v_mov_b32_e32 v97, s25
	s_xor_b32 exec_lo, exec_lo, s26
	s_cbranch_execz .LBB2_2711
.LBB2_3142:                             ;   in Loop: Header=BB2_2676 Depth=2
	v_cmp_ne_u16_e32 vcc_lo, 0, v98
	v_mov_b32_e32 v97, 0
	s_and_not1_b32 s7, s7, exec_lo
	s_and_b32 s25, vcc_lo, exec_lo
	s_delay_alu instid0(SALU_CYCLE_1)
	s_or_b32 s7, s7, s25
	s_or_b32 exec_lo, exec_lo, s26
	s_and_saveexec_b32 s25, s7
	s_cbranch_execnz .LBB2_2712
	s_branch .LBB2_2713
.LBB2_3143:                             ;   in Loop: Header=BB2_2676 Depth=2
	s_mov_b32 s7, -1
	s_mov_b32 s27, exec_lo
                                        ; implicit-def: $sgpr25
	v_cmpx_eq_u16_e32 0x80, v96
; %bb.3144:                             ;   in Loop: Header=BB2_2676 Depth=2
	s_mov_b32 s25, 0x7f800001
	s_xor_b32 s7, exec_lo, -1
; %bb.3145:                             ;   in Loop: Header=BB2_2676 Depth=2
	s_or_b32 exec_lo, exec_lo, s27
	s_delay_alu instid0(SALU_CYCLE_1)
	s_and_b32 s7, s7, exec_lo
	s_or_saveexec_b32 s26, s26
	v_mov_b32_e32 v97, s25
	s_xor_b32 exec_lo, exec_lo, s26
	s_cbranch_execz .LBB2_2723
.LBB2_3146:                             ;   in Loop: Header=BB2_2676 Depth=2
	v_cmp_ne_u16_e32 vcc_lo, 0, v96
	v_mov_b32_e32 v97, 0
	s_and_not1_b32 s7, s7, exec_lo
	s_and_b32 s25, vcc_lo, exec_lo
	s_delay_alu instid0(SALU_CYCLE_1)
	s_or_b32 s7, s7, s25
	s_or_b32 exec_lo, exec_lo, s26
	s_and_saveexec_b32 s25, s7
	s_cbranch_execnz .LBB2_2724
	s_branch .LBB2_2725
.LBB2_3147:                             ;   in Loop: Header=BB2_2676 Depth=2
	s_mov_b32 s7, -1
	s_mov_b32 s27, exec_lo
                                        ; implicit-def: $sgpr25
	v_cmpx_eq_u16_e32 0x80, v96
; %bb.3148:                             ;   in Loop: Header=BB2_2676 Depth=2
	s_mov_b32 s25, 0x7f800001
	s_xor_b32 s7, exec_lo, -1
; %bb.3149:                             ;   in Loop: Header=BB2_2676 Depth=2
	s_or_b32 exec_lo, exec_lo, s27
	s_delay_alu instid0(SALU_CYCLE_1)
	s_and_b32 s7, s7, exec_lo
                                        ; implicit-def: $vgpr96
	s_or_saveexec_b32 s26, s26
	v_mov_b32_e32 v10, s25
	s_xor_b32 exec_lo, exec_lo, s26
	s_cbranch_execz .LBB2_2735
.LBB2_3150:                             ;   in Loop: Header=BB2_2676 Depth=2
	v_cmp_ne_u16_e32 vcc_lo, 0, v96
	v_mov_b32_e32 v10, 0
	s_and_not1_b32 s7, s7, exec_lo
	s_and_b32 s25, vcc_lo, exec_lo
	s_delay_alu instid0(SALU_CYCLE_1)
	s_or_b32 s7, s7, s25
	s_or_b32 exec_lo, exec_lo, s26
	s_and_saveexec_b32 s25, s7
	s_cbranch_execnz .LBB2_2736
	s_branch .LBB2_2737
.LBB2_3151:                             ;   in Loop: Header=BB2_2676 Depth=2
	s_mov_b32 s7, -1
	s_mov_b32 s27, exec_lo
                                        ; implicit-def: $sgpr25
	v_cmpx_eq_u16_e32 0x80, v10
; %bb.3152:                             ;   in Loop: Header=BB2_2676 Depth=2
	s_mov_b32 s25, 0x7f800001
	s_xor_b32 s7, exec_lo, -1
; %bb.3153:                             ;   in Loop: Header=BB2_2676 Depth=2
	s_or_b32 exec_lo, exec_lo, s27
	s_delay_alu instid0(SALU_CYCLE_1)
	s_and_b32 s7, s7, exec_lo
	s_or_saveexec_b32 s26, s26
	v_mov_b32_e32 v96, s25
	s_xor_b32 exec_lo, exec_lo, s26
	s_cbranch_execz .LBB2_2747
.LBB2_3154:                             ;   in Loop: Header=BB2_2676 Depth=2
	v_cmp_ne_u16_e32 vcc_lo, 0, v10
	v_mov_b32_e32 v96, 0
	s_and_not1_b32 s7, s7, exec_lo
	s_and_b32 s25, vcc_lo, exec_lo
	s_delay_alu instid0(SALU_CYCLE_1)
	s_or_b32 s7, s7, s25
	s_or_b32 exec_lo, exec_lo, s26
	s_and_saveexec_b32 s25, s7
	s_cbranch_execnz .LBB2_2748
	s_branch .LBB2_2749
.LBB2_3155:                             ;   in Loop: Header=BB2_2676 Depth=2
	s_mov_b32 s7, -1
	s_mov_b32 s27, exec_lo
                                        ; implicit-def: $sgpr25
	v_cmpx_eq_u16_e32 0x80, v97
; %bb.3156:                             ;   in Loop: Header=BB2_2676 Depth=2
	s_mov_b32 s25, 0x7f800001
	s_xor_b32 s7, exec_lo, -1
; %bb.3157:                             ;   in Loop: Header=BB2_2676 Depth=2
	s_or_b32 exec_lo, exec_lo, s27
	s_delay_alu instid0(SALU_CYCLE_1)
	s_and_b32 s7, s7, exec_lo
                                        ; implicit-def: $vgpr97
	s_or_saveexec_b32 s26, s26
	v_mov_b32_e32 v96, s25
	s_xor_b32 exec_lo, exec_lo, s26
	s_cbranch_execz .LBB2_2759
.LBB2_3158:                             ;   in Loop: Header=BB2_2676 Depth=2
	v_cmp_ne_u16_e32 vcc_lo, 0, v97
	v_mov_b32_e32 v96, 0
	s_and_not1_b32 s7, s7, exec_lo
	s_and_b32 s25, vcc_lo, exec_lo
	s_delay_alu instid0(SALU_CYCLE_1)
	s_or_b32 s7, s7, s25
	s_or_b32 exec_lo, exec_lo, s26
	s_and_saveexec_b32 s25, s7
	s_cbranch_execnz .LBB2_2760
	s_branch .LBB2_2761
.LBB2_3159:                             ;   in Loop: Header=BB2_2676 Depth=2
	s_mov_b32 s7, -1
	s_mov_b32 s27, exec_lo
                                        ; implicit-def: $sgpr25
	v_cmpx_eq_u16_e32 0x80, v10
; %bb.3160:                             ;   in Loop: Header=BB2_2676 Depth=2
	s_mov_b32 s25, 0x7f800001
	s_xor_b32 s7, exec_lo, -1
; %bb.3161:                             ;   in Loop: Header=BB2_2676 Depth=2
	s_or_b32 exec_lo, exec_lo, s27
	s_delay_alu instid0(SALU_CYCLE_1)
	s_and_b32 s7, s7, exec_lo
	s_or_saveexec_b32 s26, s26
	v_mov_b32_e32 v96, s25
	s_xor_b32 exec_lo, exec_lo, s26
	s_cbranch_execz .LBB2_2771
.LBB2_3162:                             ;   in Loop: Header=BB2_2676 Depth=2
	v_cmp_ne_u16_e32 vcc_lo, 0, v10
	v_mov_b32_e32 v96, 0
	s_and_not1_b32 s7, s7, exec_lo
	s_and_b32 s25, vcc_lo, exec_lo
	s_delay_alu instid0(SALU_CYCLE_1)
	s_or_b32 s7, s7, s25
	s_or_b32 exec_lo, exec_lo, s26
	s_and_saveexec_b32 s25, s7
	s_cbranch_execnz .LBB2_2772
	s_branch .LBB2_2773
.LBB2_3163:                             ;   in Loop: Header=BB2_2676 Depth=2
	s_mov_b32 s7, -1
	s_mov_b32 s27, exec_lo
                                        ; implicit-def: $sgpr25
	v_cmpx_eq_u16_e32 0x80, v11
; %bb.3164:                             ;   in Loop: Header=BB2_2676 Depth=2
	s_mov_b32 s25, 0x7f800001
	s_xor_b32 s7, exec_lo, -1
; %bb.3165:                             ;   in Loop: Header=BB2_2676 Depth=2
	s_or_b32 exec_lo, exec_lo, s27
	s_delay_alu instid0(SALU_CYCLE_1)
	s_and_b32 s7, s7, exec_lo
                                        ; implicit-def: $vgpr11
	s_or_saveexec_b32 s26, s26
	v_mov_b32_e32 v10, s25
	s_xor_b32 exec_lo, exec_lo, s26
	s_cbranch_execz .LBB2_2783
.LBB2_3166:                             ;   in Loop: Header=BB2_2676 Depth=2
	v_cmp_ne_u16_e32 vcc_lo, 0, v11
	v_mov_b32_e32 v10, 0
	s_and_not1_b32 s7, s7, exec_lo
	s_and_b32 s25, vcc_lo, exec_lo
	s_delay_alu instid0(SALU_CYCLE_1)
	s_or_b32 s7, s7, s25
	s_or_b32 exec_lo, exec_lo, s26
	s_and_saveexec_b32 s25, s7
	s_cbranch_execnz .LBB2_2784
	s_branch .LBB2_2785
.LBB2_3167:                             ;   in Loop: Header=BB2_2676 Depth=2
	s_mov_b32 s7, -1
	s_mov_b32 s27, exec_lo
                                        ; implicit-def: $sgpr25
	v_cmpx_eq_u16_e32 0x80, v10
; %bb.3168:                             ;   in Loop: Header=BB2_2676 Depth=2
	s_mov_b32 s25, 0x7f800001
	s_xor_b32 s7, exec_lo, -1
; %bb.3169:                             ;   in Loop: Header=BB2_2676 Depth=2
	s_or_b32 exec_lo, exec_lo, s27
	s_delay_alu instid0(SALU_CYCLE_1)
	s_and_b32 s7, s7, exec_lo
	s_or_saveexec_b32 s26, s26
	v_mov_b32_e32 v11, s25
	s_xor_b32 exec_lo, exec_lo, s26
	s_cbranch_execz .LBB2_2795
.LBB2_3170:                             ;   in Loop: Header=BB2_2676 Depth=2
	v_cmp_ne_u16_e32 vcc_lo, 0, v10
	v_mov_b32_e32 v11, 0
	s_and_not1_b32 s7, s7, exec_lo
	s_and_b32 s25, vcc_lo, exec_lo
	s_delay_alu instid0(SALU_CYCLE_1)
	s_or_b32 s7, s7, s25
	s_or_b32 exec_lo, exec_lo, s26
	s_and_saveexec_b32 s25, s7
	s_cbranch_execnz .LBB2_2796
	s_branch .LBB2_2797
.LBB2_3171:                             ;   in Loop: Header=BB2_2676 Depth=2
	s_mov_b32 s7, -1
	s_mov_b32 s27, exec_lo
                                        ; implicit-def: $sgpr25
	v_cmpx_eq_u16_e32 0x80, v96
; %bb.3172:                             ;   in Loop: Header=BB2_2676 Depth=2
	s_mov_b32 s25, 0x7f800001
	s_xor_b32 s7, exec_lo, -1
; %bb.3173:                             ;   in Loop: Header=BB2_2676 Depth=2
	s_or_b32 exec_lo, exec_lo, s27
	s_delay_alu instid0(SALU_CYCLE_1)
	s_and_b32 s7, s7, exec_lo
                                        ; implicit-def: $vgpr96
	s_or_saveexec_b32 s26, s26
	v_mov_b32_e32 v11, s25
	s_xor_b32 exec_lo, exec_lo, s26
	s_cbranch_execz .LBB2_2807
.LBB2_3174:                             ;   in Loop: Header=BB2_2676 Depth=2
	v_cmp_ne_u16_e32 vcc_lo, 0, v96
	v_mov_b32_e32 v11, 0
	s_and_not1_b32 s7, s7, exec_lo
	s_and_b32 s25, vcc_lo, exec_lo
	s_delay_alu instid0(SALU_CYCLE_1)
	s_or_b32 s7, s7, s25
	s_or_b32 exec_lo, exec_lo, s26
	s_and_saveexec_b32 s25, s7
	s_cbranch_execnz .LBB2_2808
	s_branch .LBB2_2809
.LBB2_3175:                             ;   in Loop: Header=BB2_2676 Depth=2
	s_mov_b32 s7, -1
	s_mov_b32 s27, exec_lo
                                        ; implicit-def: $sgpr25
	v_cmpx_eq_u16_e32 0x80, v10
; %bb.3176:                             ;   in Loop: Header=BB2_2676 Depth=2
	s_mov_b32 s25, 0x7f800001
	s_xor_b32 s7, exec_lo, -1
; %bb.3177:                             ;   in Loop: Header=BB2_2676 Depth=2
	s_or_b32 exec_lo, exec_lo, s27
	s_delay_alu instid0(SALU_CYCLE_1)
	s_and_b32 s7, s7, exec_lo
	s_or_saveexec_b32 s26, s26
	v_mov_b32_e32 v11, s25
	s_xor_b32 exec_lo, exec_lo, s26
	s_cbranch_execz .LBB2_2819
.LBB2_3178:                             ;   in Loop: Header=BB2_2676 Depth=2
	v_cmp_ne_u16_e32 vcc_lo, 0, v10
	v_mov_b32_e32 v11, 0
	s_and_not1_b32 s7, s7, exec_lo
	s_and_b32 s25, vcc_lo, exec_lo
	s_delay_alu instid0(SALU_CYCLE_1)
	s_or_b32 s7, s7, s25
	s_or_b32 exec_lo, exec_lo, s26
	s_and_saveexec_b32 s25, s7
	s_cbranch_execnz .LBB2_2820
	s_branch .LBB2_2821
.LBB2_3179:                             ;   in Loop: Header=BB2_2676 Depth=2
	s_mov_b32 s7, -1
	s_mov_b32 s27, exec_lo
                                        ; implicit-def: $sgpr25
	v_cmpx_eq_u16_e32 0x80, v11
; %bb.3180:                             ;   in Loop: Header=BB2_2676 Depth=2
	s_mov_b32 s25, 0x7f800001
	s_xor_b32 s7, exec_lo, -1
; %bb.3181:                             ;   in Loop: Header=BB2_2676 Depth=2
	s_or_b32 exec_lo, exec_lo, s27
	s_delay_alu instid0(SALU_CYCLE_1)
	s_and_b32 s7, s7, exec_lo
                                        ; implicit-def: $vgpr11
	s_or_saveexec_b32 s26, s26
	v_mov_b32_e32 v10, s25
	s_xor_b32 exec_lo, exec_lo, s26
	s_cbranch_execz .LBB2_2831
.LBB2_3182:                             ;   in Loop: Header=BB2_2676 Depth=2
	v_cmp_ne_u16_e32 vcc_lo, 0, v11
	v_mov_b32_e32 v10, 0
	s_and_not1_b32 s7, s7, exec_lo
	s_and_b32 s25, vcc_lo, exec_lo
	s_delay_alu instid0(SALU_CYCLE_1)
	s_or_b32 s7, s7, s25
	s_or_b32 exec_lo, exec_lo, s26
	s_and_saveexec_b32 s25, s7
	s_cbranch_execnz .LBB2_2832
	s_branch .LBB2_2833
.LBB2_3183:                             ;   in Loop: Header=BB2_2676 Depth=2
	s_mov_b32 s7, -1
	s_mov_b32 s27, exec_lo
                                        ; implicit-def: $sgpr25
	v_cmpx_eq_u16_e32 0x80, v10
; %bb.3184:                             ;   in Loop: Header=BB2_2676 Depth=2
	s_mov_b32 s25, 0x7f800001
	s_xor_b32 s7, exec_lo, -1
; %bb.3185:                             ;   in Loop: Header=BB2_2676 Depth=2
	s_or_b32 exec_lo, exec_lo, s27
	s_delay_alu instid0(SALU_CYCLE_1)
	s_and_b32 s7, s7, exec_lo
	s_or_saveexec_b32 s26, s26
	v_mov_b32_e32 v11, s25
	s_xor_b32 exec_lo, exec_lo, s26
	s_cbranch_execz .LBB2_2843
.LBB2_3186:                             ;   in Loop: Header=BB2_2676 Depth=2
	v_cmp_ne_u16_e32 vcc_lo, 0, v10
	v_mov_b32_e32 v11, 0
	s_and_not1_b32 s7, s7, exec_lo
	s_and_b32 s25, vcc_lo, exec_lo
	s_delay_alu instid0(SALU_CYCLE_1)
	s_or_b32 s7, s7, s25
	s_or_b32 exec_lo, exec_lo, s26
	s_and_saveexec_b32 s25, s7
	s_cbranch_execnz .LBB2_2844
	s_branch .LBB2_2845
.LBB2_3187:                             ;   in Loop: Header=BB2_2676 Depth=2
	s_mov_b32 s7, -1
	s_mov_b32 s27, exec_lo
                                        ; implicit-def: $sgpr25
	v_cmpx_eq_u16_e32 0x80, v12
; %bb.3188:                             ;   in Loop: Header=BB2_2676 Depth=2
	s_mov_b32 s25, 0x7f800001
	s_xor_b32 s7, exec_lo, -1
; %bb.3189:                             ;   in Loop: Header=BB2_2676 Depth=2
	s_or_b32 exec_lo, exec_lo, s27
	s_delay_alu instid0(SALU_CYCLE_1)
	s_and_b32 s7, s7, exec_lo
                                        ; implicit-def: $vgpr12
	s_or_saveexec_b32 s26, s26
	v_mov_b32_e32 v11, s25
	s_xor_b32 exec_lo, exec_lo, s26
	s_cbranch_execz .LBB2_2855
.LBB2_3190:                             ;   in Loop: Header=BB2_2676 Depth=2
	v_cmp_ne_u16_e32 vcc_lo, 0, v12
	v_mov_b32_e32 v11, 0
	s_and_not1_b32 s7, s7, exec_lo
	s_and_b32 s25, vcc_lo, exec_lo
	s_delay_alu instid0(SALU_CYCLE_1)
	s_or_b32 s7, s7, s25
	s_or_b32 exec_lo, exec_lo, s26
	s_and_saveexec_b32 s25, s7
	s_cbranch_execnz .LBB2_2856
	s_branch .LBB2_2857
.LBB2_3191:                             ;   in Loop: Header=BB2_2676 Depth=2
	s_mov_b32 s7, -1
	s_mov_b32 s27, exec_lo
                                        ; implicit-def: $sgpr25
	v_cmpx_eq_u16_e32 0x80, v10
; %bb.3192:                             ;   in Loop: Header=BB2_2676 Depth=2
	s_mov_b32 s25, 0x7f800001
	s_xor_b32 s7, exec_lo, -1
; %bb.3193:                             ;   in Loop: Header=BB2_2676 Depth=2
	s_or_b32 exec_lo, exec_lo, s27
	s_delay_alu instid0(SALU_CYCLE_1)
	s_and_b32 s7, s7, exec_lo
	s_or_saveexec_b32 s26, s26
	v_mov_b32_e32 v11, s25
	s_xor_b32 exec_lo, exec_lo, s26
	s_cbranch_execz .LBB2_2867
.LBB2_3194:                             ;   in Loop: Header=BB2_2676 Depth=2
	v_cmp_ne_u16_e32 vcc_lo, 0, v10
	v_mov_b32_e32 v11, 0
	s_and_not1_b32 s7, s7, exec_lo
	s_and_b32 s25, vcc_lo, exec_lo
	s_delay_alu instid0(SALU_CYCLE_1)
	s_or_b32 s7, s7, s25
	s_or_b32 exec_lo, exec_lo, s26
	s_and_saveexec_b32 s25, s7
	s_cbranch_execnz .LBB2_2868
	s_branch .LBB2_2869
.LBB2_3195:                             ;   in Loop: Header=BB2_2676 Depth=2
	s_mov_b32 s7, -1
	s_mov_b32 s26, exec_lo
                                        ; implicit-def: $sgpr24
	v_cmpx_eq_u16_e64 0x80, v128
; %bb.3196:                             ;   in Loop: Header=BB2_2676 Depth=2
	s_mov_b32 s24, 0x7f800001
	s_xor_b32 s7, exec_lo, -1
; %bb.3197:                             ;   in Loop: Header=BB2_2676 Depth=2
	s_or_b32 exec_lo, exec_lo, s26
	s_delay_alu instid0(SALU_CYCLE_1)
	s_and_b32 s7, s7, exec_lo
                                        ; implicit-def: $vgpr128
	s_or_saveexec_b32 s25, s25
	v_mov_b32_e32 v119, s24
	s_xor_b32 exec_lo, exec_lo, s25
	s_cbranch_execz .LBB2_2879
.LBB2_3198:                             ;   in Loop: Header=BB2_2676 Depth=2
	v_cmp_ne_u16_e64 vcc_lo, 0, v128
	v_mov_b32_e32 v119, 0
	s_and_not1_b32 s7, s7, exec_lo
	s_delay_alu instid0(VALU_DEP_2) | instskip(NEXT) | instid1(SALU_CYCLE_1)
	s_and_b32 s24, vcc_lo, exec_lo
	s_or_b32 s7, s7, s24
	s_or_b32 exec_lo, exec_lo, s25
	s_and_saveexec_b32 s24, s7
	s_cbranch_execnz .LBB2_2880
	s_branch .LBB2_2881
.LBB2_3199:                             ;   in Loop: Header=BB2_2676 Depth=2
	s_mov_b32 s7, -1
	s_mov_b32 s26, exec_lo
                                        ; implicit-def: $sgpr24
	v_cmpx_eq_u16_e64 0x80, v128
; %bb.3200:                             ;   in Loop: Header=BB2_2676 Depth=2
	s_mov_b32 s24, 0x7f800001
	s_xor_b32 s7, exec_lo, -1
; %bb.3201:                             ;   in Loop: Header=BB2_2676 Depth=2
	s_or_b32 exec_lo, exec_lo, s26
	s_delay_alu instid0(SALU_CYCLE_1)
	s_and_b32 s7, s7, exec_lo
                                        ; implicit-def: $vgpr128
	s_or_saveexec_b32 s25, s25
	v_mov_b32_e32 v87, s24
	s_xor_b32 exec_lo, exec_lo, s25
	s_cbranch_execz .LBB2_2883
.LBB2_3202:                             ;   in Loop: Header=BB2_2676 Depth=2
	v_cmp_ne_u16_e64 vcc_lo, 0, v128
	v_mov_b32_e32 v87, 0
	s_and_not1_b32 s7, s7, exec_lo
	s_delay_alu instid0(VALU_DEP_2) | instskip(NEXT) | instid1(SALU_CYCLE_1)
	s_and_b32 s24, vcc_lo, exec_lo
	s_or_b32 s7, s7, s24
	s_or_b32 exec_lo, exec_lo, s25
	s_and_saveexec_b32 s24, s7
	s_cbranch_execnz .LBB2_2884
	s_branch .LBB2_2885
.LBB2_3203:                             ;   in Loop: Header=BB2_2676 Depth=2
	s_mov_b32 s7, -1
	s_mov_b32 s26, exec_lo
                                        ; implicit-def: $sgpr24
	v_cmpx_eq_u16_e64 0x80, v128
; %bb.3204:                             ;   in Loop: Header=BB2_2676 Depth=2
	s_mov_b32 s24, 0x7f800001
	s_xor_b32 s7, exec_lo, -1
; %bb.3205:                             ;   in Loop: Header=BB2_2676 Depth=2
	s_or_b32 exec_lo, exec_lo, s26
	s_delay_alu instid0(SALU_CYCLE_1)
	s_and_b32 s7, s7, exec_lo
                                        ; implicit-def: $vgpr128
	s_or_saveexec_b32 s25, s25
	v_mov_b32_e32 v119, s24
	s_xor_b32 exec_lo, exec_lo, s25
	s_cbranch_execz .LBB2_2895
.LBB2_3206:                             ;   in Loop: Header=BB2_2676 Depth=2
	v_cmp_ne_u16_e64 vcc_lo, 0, v128
	v_mov_b32_e32 v119, 0
	s_and_not1_b32 s7, s7, exec_lo
	s_delay_alu instid0(VALU_DEP_2) | instskip(NEXT) | instid1(SALU_CYCLE_1)
	s_and_b32 s24, vcc_lo, exec_lo
	s_or_b32 s7, s7, s24
	s_or_b32 exec_lo, exec_lo, s25
	s_and_saveexec_b32 s24, s7
	s_cbranch_execnz .LBB2_2896
	s_branch .LBB2_2897
.LBB2_3207:                             ;   in Loop: Header=BB2_2676 Depth=2
	s_mov_b32 s7, -1
	s_mov_b32 s26, exec_lo
                                        ; implicit-def: $sgpr24
	v_cmpx_eq_u16_e32 0x80, v99
; %bb.3208:                             ;   in Loop: Header=BB2_2676 Depth=2
	s_mov_b32 s24, 0x7f800001
	s_xor_b32 s7, exec_lo, -1
; %bb.3209:                             ;   in Loop: Header=BB2_2676 Depth=2
	s_or_b32 exec_lo, exec_lo, s26
	s_delay_alu instid0(SALU_CYCLE_1)
	s_and_b32 s7, s7, exec_lo
	s_or_saveexec_b32 s25, s25
	v_mov_b32_e32 v128, s24
	s_xor_b32 exec_lo, exec_lo, s25
	s_cbranch_execz .LBB2_2899
.LBB2_3210:                             ;   in Loop: Header=BB2_2676 Depth=2
	v_cmp_ne_u16_e32 vcc_lo, 0, v99
	v_mov_b32_e32 v128, 0
	s_and_not1_b32 s7, s7, exec_lo
	s_and_b32 s24, vcc_lo, exec_lo
	s_delay_alu instid0(SALU_CYCLE_1)
	s_or_b32 s7, s7, s24
	s_or_b32 exec_lo, exec_lo, s25
	s_and_saveexec_b32 s24, s7
	s_cbranch_execnz .LBB2_2900
	s_branch .LBB2_2901
.LBB2_3211:                             ;   in Loop: Header=BB2_2676 Depth=2
	s_mov_b32 s7, -1
	s_mov_b32 s26, exec_lo
                                        ; implicit-def: $sgpr24
	v_cmpx_eq_u16_e64 0x80, v128
; %bb.3212:                             ;   in Loop: Header=BB2_2676 Depth=2
	s_mov_b32 s24, 0x7f800001
	s_xor_b32 s7, exec_lo, -1
; %bb.3213:                             ;   in Loop: Header=BB2_2676 Depth=2
	s_or_b32 exec_lo, exec_lo, s26
	s_delay_alu instid0(SALU_CYCLE_1)
	s_and_b32 s7, s7, exec_lo
                                        ; implicit-def: $vgpr128
	s_or_saveexec_b32 s25, s25
	v_mov_b32_e32 v119, s24
	s_xor_b32 exec_lo, exec_lo, s25
	s_cbranch_execz .LBB2_2911
.LBB2_3214:                             ;   in Loop: Header=BB2_2676 Depth=2
	v_cmp_ne_u16_e64 vcc_lo, 0, v128
	v_mov_b32_e32 v119, 0
	s_and_not1_b32 s7, s7, exec_lo
	s_delay_alu instid0(VALU_DEP_2) | instskip(NEXT) | instid1(SALU_CYCLE_1)
	s_and_b32 s24, vcc_lo, exec_lo
	s_or_b32 s7, s7, s24
	s_or_b32 exec_lo, exec_lo, s25
	s_and_saveexec_b32 s24, s7
	s_cbranch_execnz .LBB2_2912
	s_branch .LBB2_2913
.LBB2_3215:                             ;   in Loop: Header=BB2_2676 Depth=2
	s_mov_b32 s7, -1
	s_mov_b32 s26, exec_lo
                                        ; implicit-def: $sgpr24
	v_cmpx_eq_u16_e64 0x80, v129
; %bb.3216:                             ;   in Loop: Header=BB2_2676 Depth=2
	s_mov_b32 s24, 0x7f800001
	s_xor_b32 s7, exec_lo, -1
; %bb.3217:                             ;   in Loop: Header=BB2_2676 Depth=2
	s_or_b32 exec_lo, exec_lo, s26
	s_delay_alu instid0(SALU_CYCLE_1)
	s_and_b32 s7, s7, exec_lo
                                        ; implicit-def: $vgpr129
	s_or_saveexec_b32 s25, s25
	v_mov_b32_e32 v128, s24
	s_xor_b32 exec_lo, exec_lo, s25
	s_cbranch_execz .LBB2_2915
.LBB2_3218:                             ;   in Loop: Header=BB2_2676 Depth=2
	v_cmp_ne_u16_e64 vcc_lo, 0, v129
	v_mov_b32_e32 v128, 0
	s_and_not1_b32 s7, s7, exec_lo
	s_delay_alu instid0(VALU_DEP_2) | instskip(NEXT) | instid1(SALU_CYCLE_1)
	s_and_b32 s24, vcc_lo, exec_lo
	s_or_b32 s7, s7, s24
	s_or_b32 exec_lo, exec_lo, s25
	s_and_saveexec_b32 s24, s7
	s_cbranch_execnz .LBB2_2916
	s_branch .LBB2_2917
.LBB2_3219:                             ;   in Loop: Header=BB2_2676 Depth=2
	s_mov_b32 s7, -1
	s_mov_b32 s26, exec_lo
                                        ; implicit-def: $sgpr24
	v_cmpx_eq_u16_e64 0x80, v128
; %bb.3220:                             ;   in Loop: Header=BB2_2676 Depth=2
	s_mov_b32 s24, 0x7f800001
	s_xor_b32 s7, exec_lo, -1
; %bb.3221:                             ;   in Loop: Header=BB2_2676 Depth=2
	s_or_b32 exec_lo, exec_lo, s26
	s_delay_alu instid0(SALU_CYCLE_1)
	s_and_b32 s7, s7, exec_lo
	s_or_saveexec_b32 s25, s25
	v_mov_b32_e32 v119, s24
	s_xor_b32 exec_lo, exec_lo, s25
	s_cbranch_execz .LBB2_2927
.LBB2_3222:                             ;   in Loop: Header=BB2_2676 Depth=2
	v_cmp_ne_u16_e64 vcc_lo, 0, v128
	v_mov_b32_e32 v119, 0
	s_and_not1_b32 s7, s7, exec_lo
	s_delay_alu instid0(VALU_DEP_2) | instskip(NEXT) | instid1(SALU_CYCLE_1)
	s_and_b32 s24, vcc_lo, exec_lo
	s_or_b32 s7, s7, s24
	s_or_b32 exec_lo, exec_lo, s25
	s_and_saveexec_b32 s24, s7
	s_cbranch_execnz .LBB2_2928
	s_branch .LBB2_2929
.LBB2_3223:                             ;   in Loop: Header=BB2_2676 Depth=2
	s_mov_b32 s7, -1
	s_mov_b32 s26, exec_lo
                                        ; implicit-def: $sgpr24
	v_cmpx_eq_u16_e32 0x80, v116
; %bb.3224:                             ;   in Loop: Header=BB2_2676 Depth=2
	s_mov_b32 s24, 0x7f800001
	s_xor_b32 s7, exec_lo, -1
; %bb.3225:                             ;   in Loop: Header=BB2_2676 Depth=2
	s_or_b32 exec_lo, exec_lo, s26
	s_delay_alu instid0(SALU_CYCLE_1)
	s_and_b32 s7, s7, exec_lo
	s_or_saveexec_b32 s25, s25
	v_mov_b32_e32 v128, s24
	s_xor_b32 exec_lo, exec_lo, s25
	s_cbranch_execz .LBB2_2931
.LBB2_3226:                             ;   in Loop: Header=BB2_2676 Depth=2
	v_cmp_ne_u16_e32 vcc_lo, 0, v116
	v_mov_b32_e32 v128, 0
	s_and_not1_b32 s7, s7, exec_lo
	s_and_b32 s24, vcc_lo, exec_lo
	s_delay_alu instid0(SALU_CYCLE_1)
	s_or_b32 s7, s7, s24
	s_or_b32 exec_lo, exec_lo, s25
	s_and_saveexec_b32 s24, s7
	s_cbranch_execnz .LBB2_2932
	s_branch .LBB2_2933
.LBB2_3227:                             ;   in Loop: Header=BB2_2676 Depth=2
	s_mov_b32 s7, -1
	s_mov_b32 s26, exec_lo
                                        ; implicit-def: $sgpr24
	v_cmpx_eq_u16_e32 0x80, v116
; %bb.3228:                             ;   in Loop: Header=BB2_2676 Depth=2
	s_mov_b32 s24, 0x7f800001
	s_xor_b32 s7, exec_lo, -1
; %bb.3229:                             ;   in Loop: Header=BB2_2676 Depth=2
	s_or_b32 exec_lo, exec_lo, s26
	s_delay_alu instid0(SALU_CYCLE_1)
	s_and_b32 s7, s7, exec_lo
                                        ; implicit-def: $vgpr116
	s_or_saveexec_b32 s25, s25
	v_mov_b32_e32 v115, s24
	s_xor_b32 exec_lo, exec_lo, s25
	s_cbranch_execz .LBB2_2943
.LBB2_3230:                             ;   in Loop: Header=BB2_2676 Depth=2
	v_cmp_ne_u16_e32 vcc_lo, 0, v116
	v_mov_b32_e32 v115, 0
	s_and_not1_b32 s7, s7, exec_lo
	s_and_b32 s24, vcc_lo, exec_lo
	s_delay_alu instid0(SALU_CYCLE_1)
	s_or_b32 s7, s7, s24
	s_or_b32 exec_lo, exec_lo, s25
	s_and_saveexec_b32 s24, s7
	s_cbranch_execnz .LBB2_2944
	s_branch .LBB2_2945
.LBB2_3231:                             ;   in Loop: Header=BB2_2676 Depth=2
	s_mov_b32 s7, -1
	s_mov_b32 s26, exec_lo
                                        ; implicit-def: $sgpr24
	v_cmpx_eq_u16_e32 0x80, v119
; %bb.3232:                             ;   in Loop: Header=BB2_2676 Depth=2
	s_mov_b32 s24, 0x7f800001
	s_xor_b32 s7, exec_lo, -1
; %bb.3233:                             ;   in Loop: Header=BB2_2676 Depth=2
	s_or_b32 exec_lo, exec_lo, s26
	s_delay_alu instid0(SALU_CYCLE_1)
	s_and_b32 s7, s7, exec_lo
                                        ; implicit-def: $vgpr119
	s_or_saveexec_b32 s25, s25
	v_mov_b32_e32 v116, s24
	s_xor_b32 exec_lo, exec_lo, s25
	s_cbranch_execz .LBB2_2947
.LBB2_3234:                             ;   in Loop: Header=BB2_2676 Depth=2
	v_cmp_ne_u16_e32 vcc_lo, 0, v119
	v_mov_b32_e32 v116, 0
	s_and_not1_b32 s7, s7, exec_lo
	s_and_b32 s24, vcc_lo, exec_lo
	s_delay_alu instid0(SALU_CYCLE_1)
	s_or_b32 s7, s7, s24
	s_or_b32 exec_lo, exec_lo, s25
	s_and_saveexec_b32 s24, s7
	s_cbranch_execnz .LBB2_2948
	s_branch .LBB2_2949
.LBB2_3235:                             ;   in Loop: Header=BB2_2676 Depth=2
	s_mov_b32 s7, -1
	s_mov_b32 s26, exec_lo
                                        ; implicit-def: $sgpr24
	v_cmpx_eq_u16_e32 0x80, v119
; %bb.3236:                             ;   in Loop: Header=BB2_2676 Depth=2
	s_mov_b32 s24, 0x7f800001
	s_xor_b32 s7, exec_lo, -1
; %bb.3237:                             ;   in Loop: Header=BB2_2676 Depth=2
	s_or_b32 exec_lo, exec_lo, s26
	s_delay_alu instid0(SALU_CYCLE_1)
	s_and_b32 s7, s7, exec_lo
	s_or_saveexec_b32 s25, s25
	v_mov_b32_e32 v116, s24
	s_xor_b32 exec_lo, exec_lo, s25
	s_cbranch_execz .LBB2_2959
.LBB2_3238:                             ;   in Loop: Header=BB2_2676 Depth=2
	v_cmp_ne_u16_e32 vcc_lo, 0, v119
	v_mov_b32_e32 v116, 0
	s_and_not1_b32 s7, s7, exec_lo
	s_and_b32 s24, vcc_lo, exec_lo
	s_delay_alu instid0(SALU_CYCLE_1)
	s_or_b32 s7, s7, s24
	s_or_b32 exec_lo, exec_lo, s25
	s_and_saveexec_b32 s24, s7
	s_cbranch_execnz .LBB2_2960
	s_branch .LBB2_2961
.LBB2_3239:                             ;   in Loop: Header=BB2_2676 Depth=2
	s_mov_b32 s7, -1
	s_mov_b32 s26, exec_lo
                                        ; implicit-def: $sgpr24
	v_cmpx_eq_u16_e32 0x80, v119
; %bb.3240:                             ;   in Loop: Header=BB2_2676 Depth=2
	s_mov_b32 s24, 0x7f800001
	s_xor_b32 s7, exec_lo, -1
; %bb.3241:                             ;   in Loop: Header=BB2_2676 Depth=2
	s_or_b32 exec_lo, exec_lo, s26
	s_delay_alu instid0(SALU_CYCLE_1)
	s_and_b32 s7, s7, exec_lo
	s_or_saveexec_b32 s25, s25
	v_mov_b32_e32 v128, s24
	s_xor_b32 exec_lo, exec_lo, s25
	s_cbranch_execz .LBB2_2963
.LBB2_3242:                             ;   in Loop: Header=BB2_2676 Depth=2
	v_cmp_ne_u16_e32 vcc_lo, 0, v119
	v_mov_b32_e32 v128, 0
	s_and_not1_b32 s7, s7, exec_lo
	s_and_b32 s24, vcc_lo, exec_lo
	s_delay_alu instid0(SALU_CYCLE_1)
	s_or_b32 s7, s7, s24
	s_or_b32 exec_lo, exec_lo, s25
	s_and_saveexec_b32 s24, s7
	s_cbranch_execnz .LBB2_2964
	s_branch .LBB2_2965
.LBB2_3243:                             ;   in Loop: Header=BB2_2676 Depth=2
	s_mov_b32 s7, -1
	s_mov_b32 s26, exec_lo
                                        ; implicit-def: $sgpr24
	v_cmpx_eq_u16_e32 0x80, v119
; %bb.3244:                             ;   in Loop: Header=BB2_2676 Depth=2
	s_mov_b32 s24, 0x7f800001
	s_xor_b32 s7, exec_lo, -1
; %bb.3245:                             ;   in Loop: Header=BB2_2676 Depth=2
	s_or_b32 exec_lo, exec_lo, s26
	s_delay_alu instid0(SALU_CYCLE_1)
	s_and_b32 s7, s7, exec_lo
                                        ; implicit-def: $vgpr119
	s_or_saveexec_b32 s25, s25
	v_mov_b32_e32 v114, s24
	s_xor_b32 exec_lo, exec_lo, s25
	s_cbranch_execz .LBB2_2975
.LBB2_3246:                             ;   in Loop: Header=BB2_2676 Depth=2
	v_cmp_ne_u16_e32 vcc_lo, 0, v119
	v_mov_b32_e32 v114, 0
	s_and_not1_b32 s7, s7, exec_lo
	s_and_b32 s24, vcc_lo, exec_lo
	s_delay_alu instid0(SALU_CYCLE_1)
	s_or_b32 s7, s7, s24
	s_or_b32 exec_lo, exec_lo, s25
	v_lshl_or_b32 v117, v117, 16, v118
	s_and_saveexec_b32 s24, s7
	s_cbranch_execnz .LBB2_2976
	s_branch .LBB2_2977
.LBB2_3247:                             ;   in Loop: Header=BB2_2676 Depth=2
	s_mov_b32 s7, -1
	s_mov_b32 s26, exec_lo
                                        ; implicit-def: $sgpr24
	v_cmpx_eq_u16_e64 0x80, v128
; %bb.3248:                             ;   in Loop: Header=BB2_2676 Depth=2
	s_mov_b32 s24, 0x7f800001
	s_xor_b32 s7, exec_lo, -1
; %bb.3249:                             ;   in Loop: Header=BB2_2676 Depth=2
	s_or_b32 exec_lo, exec_lo, s26
	s_delay_alu instid0(SALU_CYCLE_1)
	s_and_b32 s7, s7, exec_lo
                                        ; implicit-def: $vgpr128
	s_or_saveexec_b32 s25, s25
	v_mov_b32_e32 v119, s24
	s_xor_b32 exec_lo, exec_lo, s25
	s_cbranch_execz .LBB2_2979
.LBB2_3250:                             ;   in Loop: Header=BB2_2676 Depth=2
	v_cmp_ne_u16_e64 vcc_lo, 0, v128
	v_mov_b32_e32 v119, 0
	s_and_not1_b32 s7, s7, exec_lo
	s_delay_alu instid0(VALU_DEP_2) | instskip(NEXT) | instid1(SALU_CYCLE_1)
	s_and_b32 s24, vcc_lo, exec_lo
	s_or_b32 s7, s7, s24
	s_or_b32 exec_lo, exec_lo, s25
	s_and_saveexec_b32 s24, s7
	s_cbranch_execnz .LBB2_2980
	s_branch .LBB2_2981
.LBB2_3251:                             ;   in Loop: Header=BB2_2676 Depth=2
	s_mov_b32 s7, -1
	s_mov_b32 s26, exec_lo
                                        ; implicit-def: $sgpr24
	v_cmpx_eq_u16_e32 0x80, v119
; %bb.3252:                             ;   in Loop: Header=BB2_2676 Depth=2
	s_mov_b32 s24, 0x7f800001
	s_xor_b32 s7, exec_lo, -1
; %bb.3253:                             ;   in Loop: Header=BB2_2676 Depth=2
	s_or_b32 exec_lo, exec_lo, s26
	s_delay_alu instid0(SALU_CYCLE_1)
	s_and_b32 s7, s7, exec_lo
	s_or_saveexec_b32 s25, s25
	v_mov_b32_e32 v118, s24
	s_xor_b32 exec_lo, exec_lo, s25
	s_cbranch_execz .LBB2_2991
.LBB2_3254:                             ;   in Loop: Header=BB2_2676 Depth=2
	v_cmp_ne_u16_e32 vcc_lo, 0, v119
	v_mov_b32_e32 v118, 0
	s_and_not1_b32 s7, s7, exec_lo
	s_and_b32 s24, vcc_lo, exec_lo
	s_delay_alu instid0(SALU_CYCLE_1)
	s_or_b32 s7, s7, s24
	s_or_b32 exec_lo, exec_lo, s25
	s_and_saveexec_b32 s24, s7
	s_cbranch_execnz .LBB2_2992
	s_branch .LBB2_2993
.LBB2_3255:                             ;   in Loop: Header=BB2_2676 Depth=2
	s_mov_b32 s7, -1
	s_mov_b32 s26, exec_lo
                                        ; implicit-def: $sgpr24
	v_cmpx_eq_u16_e32 0x80, v117
; %bb.3256:                             ;   in Loop: Header=BB2_2676 Depth=2
	s_mov_b32 s24, 0x7f800001
	s_xor_b32 s7, exec_lo, -1
; %bb.3257:                             ;   in Loop: Header=BB2_2676 Depth=2
	s_or_b32 exec_lo, exec_lo, s26
	s_delay_alu instid0(SALU_CYCLE_1)
	s_and_b32 s7, s7, exec_lo
	s_or_saveexec_b32 s25, s25
	v_mov_b32_e32 v119, s24
	s_xor_b32 exec_lo, exec_lo, s25
	s_cbranch_execz .LBB2_2995
.LBB2_3258:                             ;   in Loop: Header=BB2_2676 Depth=2
	v_cmp_ne_u16_e32 vcc_lo, 0, v117
	v_mov_b32_e32 v119, 0
	s_and_not1_b32 s7, s7, exec_lo
	s_and_b32 s24, vcc_lo, exec_lo
	s_delay_alu instid0(SALU_CYCLE_1)
	s_or_b32 s7, s7, s24
	s_or_b32 exec_lo, exec_lo, s25
	s_and_saveexec_b32 s24, s7
	s_cbranch_execnz .LBB2_2996
	s_branch .LBB2_2997
.LBB2_3259:                             ;   in Loop: Header=BB2_2676 Depth=2
	s_mov_b32 s7, -1
	s_mov_b32 s26, exec_lo
                                        ; implicit-def: $sgpr24
	v_cmpx_eq_u16_e32 0x80, v118
; %bb.3260:                             ;   in Loop: Header=BB2_2676 Depth=2
	s_mov_b32 s24, 0x7f800001
	s_xor_b32 s7, exec_lo, -1
; %bb.3261:                             ;   in Loop: Header=BB2_2676 Depth=2
	s_or_b32 exec_lo, exec_lo, s26
	s_delay_alu instid0(SALU_CYCLE_1)
	s_and_b32 s7, s7, exec_lo
                                        ; implicit-def: $vgpr118
	s_or_saveexec_b32 s25, s25
	v_mov_b32_e32 v117, s24
	s_xor_b32 exec_lo, exec_lo, s25
	s_cbranch_execz .LBB2_3007
.LBB2_3262:                             ;   in Loop: Header=BB2_2676 Depth=2
	v_cmp_ne_u16_e32 vcc_lo, 0, v118
	v_mov_b32_e32 v117, 0
	s_and_not1_b32 s7, s7, exec_lo
	s_and_b32 s24, vcc_lo, exec_lo
	s_delay_alu instid0(SALU_CYCLE_1)
	s_or_b32 s7, s7, s24
	s_or_b32 exec_lo, exec_lo, s25
	s_and_saveexec_b32 s24, s7
	s_cbranch_execnz .LBB2_3008
	s_branch .LBB2_3009
.LBB2_3263:                             ;   in Loop: Header=BB2_2676 Depth=2
	s_mov_b32 s7, -1
	s_mov_b32 s26, exec_lo
                                        ; implicit-def: $sgpr24
	v_cmpx_eq_u16_e32 0x80, v118
; %bb.3264:                             ;   in Loop: Header=BB2_2676 Depth=2
	s_mov_b32 s24, 0x7f800001
	s_xor_b32 s7, exec_lo, -1
; %bb.3265:                             ;   in Loop: Header=BB2_2676 Depth=2
	s_or_b32 exec_lo, exec_lo, s26
	s_delay_alu instid0(SALU_CYCLE_1)
	s_and_b32 s7, s7, exec_lo
                                        ; implicit-def: $vgpr118
	s_or_saveexec_b32 s25, s25
	v_mov_b32_e32 v112, s24
	s_xor_b32 exec_lo, exec_lo, s25
	s_cbranch_execz .LBB2_3011
.LBB2_3266:                             ;   in Loop: Header=BB2_2676 Depth=2
	v_cmp_ne_u16_e32 vcc_lo, 0, v118
	v_mov_b32_e32 v112, 0
	s_and_not1_b32 s7, s7, exec_lo
	s_and_b32 s24, vcc_lo, exec_lo
	s_delay_alu instid0(SALU_CYCLE_1)
	s_or_b32 s7, s7, s24
	s_or_b32 exec_lo, exec_lo, s25
	s_and_saveexec_b32 s24, s7
	s_cbranch_execnz .LBB2_3012
	s_branch .LBB2_3013
.LBB2_3267:                             ;   in Loop: Header=BB2_2676 Depth=2
	s_mov_b32 s7, -1
	s_mov_b32 s26, exec_lo
                                        ; implicit-def: $sgpr24
	v_cmpx_eq_u16_e32 0x80, v118
; %bb.3268:                             ;   in Loop: Header=BB2_2676 Depth=2
	s_mov_b32 s24, 0x7f800001
	s_xor_b32 s7, exec_lo, -1
; %bb.3269:                             ;   in Loop: Header=BB2_2676 Depth=2
	s_or_b32 exec_lo, exec_lo, s26
	s_delay_alu instid0(SALU_CYCLE_1)
	s_and_b32 s7, s7, exec_lo
                                        ; implicit-def: $vgpr118
	s_or_saveexec_b32 s25, s25
	v_mov_b32_e32 v117, s24
	s_xor_b32 exec_lo, exec_lo, s25
	s_cbranch_execz .LBB2_3023
.LBB2_3270:                             ;   in Loop: Header=BB2_2676 Depth=2
	v_cmp_ne_u16_e32 vcc_lo, 0, v118
	v_mov_b32_e32 v117, 0
	s_and_not1_b32 s7, s7, exec_lo
	s_and_b32 s24, vcc_lo, exec_lo
	s_delay_alu instid0(SALU_CYCLE_1)
	s_or_b32 s7, s7, s24
	s_or_b32 exec_lo, exec_lo, s25
	s_and_saveexec_b32 s24, s7
	s_cbranch_execnz .LBB2_3024
	s_branch .LBB2_3025
.LBB2_3271:                             ;   in Loop: Header=BB2_2676 Depth=2
	s_mov_b32 s7, -1
	s_mov_b32 s26, exec_lo
                                        ; implicit-def: $sgpr24
	v_cmpx_eq_u16_e32 0x80, v102
; %bb.3272:                             ;   in Loop: Header=BB2_2676 Depth=2
	s_mov_b32 s24, 0x7f800001
	s_xor_b32 s7, exec_lo, -1
; %bb.3273:                             ;   in Loop: Header=BB2_2676 Depth=2
	s_or_b32 exec_lo, exec_lo, s26
	s_delay_alu instid0(SALU_CYCLE_1)
	s_and_b32 s7, s7, exec_lo
	s_or_saveexec_b32 s25, s25
	v_mov_b32_e32 v118, s24
	s_xor_b32 exec_lo, exec_lo, s25
	s_cbranch_execz .LBB2_3027
.LBB2_3274:                             ;   in Loop: Header=BB2_2676 Depth=2
	v_cmp_ne_u16_e32 vcc_lo, 0, v102
	v_mov_b32_e32 v118, 0
	s_and_not1_b32 s7, s7, exec_lo
	s_and_b32 s24, vcc_lo, exec_lo
	s_delay_alu instid0(SALU_CYCLE_1)
	s_or_b32 s7, s7, s24
	s_or_b32 exec_lo, exec_lo, s25
	s_and_saveexec_b32 s24, s7
	s_cbranch_execnz .LBB2_3028
	s_branch .LBB2_3029
.LBB2_3275:                             ;   in Loop: Header=BB2_2676 Depth=2
	s_mov_b32 s7, -1
	s_mov_b32 s26, exec_lo
                                        ; implicit-def: $sgpr24
	v_cmpx_eq_u16_e32 0x80, v118
; %bb.3276:                             ;   in Loop: Header=BB2_2676 Depth=2
	s_mov_b32 s24, 0x7f800001
	s_xor_b32 s7, exec_lo, -1
; %bb.3277:                             ;   in Loop: Header=BB2_2676 Depth=2
	s_or_b32 exec_lo, exec_lo, s26
	s_delay_alu instid0(SALU_CYCLE_1)
	s_and_b32 s7, s7, exec_lo
                                        ; implicit-def: $vgpr118
	s_or_saveexec_b32 s25, s25
	v_mov_b32_e32 v117, s24
	s_xor_b32 exec_lo, exec_lo, s25
	s_cbranch_execz .LBB2_3039
.LBB2_3278:                             ;   in Loop: Header=BB2_2676 Depth=2
	v_cmp_ne_u16_e32 vcc_lo, 0, v118
	v_mov_b32_e32 v117, 0
	s_and_not1_b32 s7, s7, exec_lo
	s_and_b32 s24, vcc_lo, exec_lo
	s_delay_alu instid0(SALU_CYCLE_1)
	s_or_b32 s7, s7, s24
	s_or_b32 exec_lo, exec_lo, s25
	s_and_saveexec_b32 s24, s7
	s_cbranch_execnz .LBB2_3040
	s_branch .LBB2_3041
.LBB2_3279:                             ;   in Loop: Header=BB2_2676 Depth=2
	s_mov_b32 s7, -1
	s_mov_b32 s26, exec_lo
                                        ; implicit-def: $sgpr24
	v_cmpx_eq_u16_e32 0x80, v119
; %bb.3280:                             ;   in Loop: Header=BB2_2676 Depth=2
	s_mov_b32 s24, 0x7f800001
	s_xor_b32 s7, exec_lo, -1
; %bb.3281:                             ;   in Loop: Header=BB2_2676 Depth=2
	s_or_b32 exec_lo, exec_lo, s26
	s_delay_alu instid0(SALU_CYCLE_1)
	s_and_b32 s7, s7, exec_lo
                                        ; implicit-def: $vgpr119
	s_or_saveexec_b32 s25, s25
	v_mov_b32_e32 v118, s24
	s_xor_b32 exec_lo, exec_lo, s25
	s_cbranch_execz .LBB2_3043
.LBB2_3282:                             ;   in Loop: Header=BB2_2676 Depth=2
	v_cmp_ne_u16_e32 vcc_lo, 0, v119
	v_mov_b32_e32 v118, 0
	s_and_not1_b32 s7, s7, exec_lo
	s_and_b32 s24, vcc_lo, exec_lo
	s_delay_alu instid0(SALU_CYCLE_1)
	s_or_b32 s7, s7, s24
	s_or_b32 exec_lo, exec_lo, s25
	s_and_saveexec_b32 s24, s7
	s_cbranch_execnz .LBB2_3044
	s_branch .LBB2_3045
.LBB2_3283:                             ;   in Loop: Header=BB2_2676 Depth=2
	s_mov_b32 s7, -1
	s_mov_b32 s26, exec_lo
                                        ; implicit-def: $sgpr24
	v_cmpx_eq_u16_e32 0x80, v118
; %bb.3284:                             ;   in Loop: Header=BB2_2676 Depth=2
	s_mov_b32 s24, 0x7f800001
	s_xor_b32 s7, exec_lo, -1
; %bb.3285:                             ;   in Loop: Header=BB2_2676 Depth=2
	s_or_b32 exec_lo, exec_lo, s26
	s_delay_alu instid0(SALU_CYCLE_1)
	s_and_b32 s7, s7, exec_lo
	s_or_saveexec_b32 s25, s25
	v_mov_b32_e32 v117, s24
	s_xor_b32 exec_lo, exec_lo, s25
	s_cbranch_execz .LBB2_3055
.LBB2_3286:                             ;   in Loop: Header=BB2_2676 Depth=2
	v_cmp_ne_u16_e32 vcc_lo, 0, v118
	v_mov_b32_e32 v117, 0
	s_and_not1_b32 s7, s7, exec_lo
	s_and_b32 s24, vcc_lo, exec_lo
	s_delay_alu instid0(SALU_CYCLE_1)
	s_or_b32 s7, s7, s24
	s_or_b32 exec_lo, exec_lo, s25
	s_and_saveexec_b32 s24, s7
	s_cbranch_execnz .LBB2_3056
	s_branch .LBB2_3057
.LBB2_3287:                             ;   in Loop: Header=BB2_2676 Depth=2
	s_mov_b32 s7, -1
	s_mov_b32 s26, exec_lo
                                        ; implicit-def: $sgpr24
	v_cmpx_eq_u16_e32 0x80, v98
; %bb.3288:                             ;   in Loop: Header=BB2_2676 Depth=2
	s_mov_b32 s24, 0x7f800001
	s_xor_b32 s7, exec_lo, -1
; %bb.3289:                             ;   in Loop: Header=BB2_2676 Depth=2
	s_or_b32 exec_lo, exec_lo, s26
	s_delay_alu instid0(SALU_CYCLE_1)
	s_and_b32 s7, s7, exec_lo
	s_or_saveexec_b32 s25, s25
	v_mov_b32_e32 v118, s24
	s_xor_b32 exec_lo, exec_lo, s25
	s_cbranch_execz .LBB2_3059
.LBB2_3290:                             ;   in Loop: Header=BB2_2676 Depth=2
	v_cmp_ne_u16_e32 vcc_lo, 0, v98
	v_mov_b32_e32 v118, 0
	s_and_not1_b32 s7, s7, exec_lo
	s_and_b32 s24, vcc_lo, exec_lo
	s_delay_alu instid0(SALU_CYCLE_1)
	s_or_b32 s7, s7, s24
	s_or_b32 exec_lo, exec_lo, s25
	s_and_saveexec_b32 s24, s7
	s_cbranch_execnz .LBB2_3060
	s_branch .LBB2_3061
.LBB2_3291:                             ;   in Loop: Header=BB2_2676 Depth=2
	s_mov_b32 s7, -1
	s_mov_b32 s26, exec_lo
                                        ; implicit-def: $sgpr24
	v_cmpx_eq_u16_e32 0x80, v103
; %bb.3292:                             ;   in Loop: Header=BB2_2676 Depth=2
	s_mov_b32 s24, 0x7f800001
	s_xor_b32 s7, exec_lo, -1
; %bb.3293:                             ;   in Loop: Header=BB2_2676 Depth=2
	s_or_b32 exec_lo, exec_lo, s26
	s_delay_alu instid0(SALU_CYCLE_1)
	s_and_b32 s7, s7, exec_lo
                                        ; implicit-def: $vgpr103
	s_or_saveexec_b32 s25, s25
	v_mov_b32_e32 v97, s24
	s_xor_b32 exec_lo, exec_lo, s25
	s_cbranch_execz .LBB2_3071
.LBB2_3294:                             ;   in Loop: Header=BB2_2676 Depth=2
	v_cmp_ne_u16_e32 vcc_lo, 0, v103
	v_mov_b32_e32 v97, 0
	s_and_not1_b32 s7, s7, exec_lo
	s_and_b32 s24, vcc_lo, exec_lo
	s_delay_alu instid0(SALU_CYCLE_1)
	s_or_b32 s7, s7, s24
	s_or_b32 exec_lo, exec_lo, s25
	s_and_saveexec_b32 s24, s7
	s_cbranch_execnz .LBB2_3072
	s_branch .LBB2_3073
.LBB2_3295:                             ;   in Loop: Header=BB2_2676 Depth=2
	s_mov_b32 s7, -1
	s_mov_b32 s26, exec_lo
                                        ; implicit-def: $sgpr24
	v_cmpx_eq_u16_e32 0x80, v117
; %bb.3296:                             ;   in Loop: Header=BB2_2676 Depth=2
	s_mov_b32 s24, 0x7f800001
	s_xor_b32 s7, exec_lo, -1
; %bb.3297:                             ;   in Loop: Header=BB2_2676 Depth=2
	s_or_b32 exec_lo, exec_lo, s26
	s_delay_alu instid0(SALU_CYCLE_1)
	s_and_b32 s7, s7, exec_lo
                                        ; implicit-def: $vgpr117
	s_or_saveexec_b32 s25, s25
	v_mov_b32_e32 v103, s24
	s_xor_b32 exec_lo, exec_lo, s25
	s_cbranch_execz .LBB2_3075
.LBB2_3298:                             ;   in Loop: Header=BB2_2676 Depth=2
	v_cmp_ne_u16_e32 vcc_lo, 0, v117
	v_mov_b32_e32 v103, 0
	s_and_not1_b32 s7, s7, exec_lo
	s_and_b32 s24, vcc_lo, exec_lo
	s_delay_alu instid0(SALU_CYCLE_1)
	s_or_b32 s7, s7, s24
	s_or_b32 exec_lo, exec_lo, s25
	s_and_saveexec_b32 s24, s7
	s_cbranch_execnz .LBB2_3076
	s_branch .LBB2_3077
.LBB2_3299:                             ;   in Loop: Header=BB2_2676 Depth=2
	s_mov_b32 s7, -1
	s_mov_b32 s26, exec_lo
                                        ; implicit-def: $sgpr24
	v_cmpx_eq_u16_e32 0x80, v117
; %bb.3300:                             ;   in Loop: Header=BB2_2676 Depth=2
	s_mov_b32 s24, 0x7f800001
	s_xor_b32 s7, exec_lo, -1
; %bb.3301:                             ;   in Loop: Header=BB2_2676 Depth=2
	s_or_b32 exec_lo, exec_lo, s26
	s_delay_alu instid0(SALU_CYCLE_1)
	s_and_b32 s7, s7, exec_lo
	s_or_saveexec_b32 s25, s25
	v_mov_b32_e32 v103, s24
	s_xor_b32 exec_lo, exec_lo, s25
	s_cbranch_execz .LBB2_3087
.LBB2_3302:                             ;   in Loop: Header=BB2_2676 Depth=2
	v_cmp_ne_u16_e32 vcc_lo, 0, v117
	v_mov_b32_e32 v103, 0
	s_and_not1_b32 s7, s7, exec_lo
	s_and_b32 s24, vcc_lo, exec_lo
	s_delay_alu instid0(SALU_CYCLE_1)
	s_or_b32 s7, s7, s24
	s_or_b32 exec_lo, exec_lo, s25
	s_and_saveexec_b32 s24, s7
	s_cbranch_execnz .LBB2_3088
	s_branch .LBB2_3089
.LBB2_3303:                             ;   in Loop: Header=BB2_2676 Depth=2
	s_mov_b32 s7, -1
	s_mov_b32 s26, exec_lo
                                        ; implicit-def: $sgpr24
	v_cmpx_eq_u16_e32 0x80, v117
; %bb.3304:                             ;   in Loop: Header=BB2_2676 Depth=2
	s_mov_b32 s24, 0x7f800001
	s_xor_b32 s7, exec_lo, -1
; %bb.3305:                             ;   in Loop: Header=BB2_2676 Depth=2
	s_or_b32 exec_lo, exec_lo, s26
	s_delay_alu instid0(SALU_CYCLE_1)
	s_and_b32 s7, s7, exec_lo
	s_or_saveexec_b32 s25, s25
	v_mov_b32_e32 v118, s24
	s_xor_b32 exec_lo, exec_lo, s25
	s_cbranch_execz .LBB2_3091
.LBB2_3306:                             ;   in Loop: Header=BB2_2676 Depth=2
	v_cmp_ne_u16_e32 vcc_lo, 0, v117
	v_mov_b32_e32 v118, 0
	s_and_not1_b32 s7, s7, exec_lo
	s_and_b32 s24, vcc_lo, exec_lo
	s_delay_alu instid0(SALU_CYCLE_1)
	s_or_b32 s7, s7, s24
	s_or_b32 exec_lo, exec_lo, s25
	s_and_saveexec_b32 s24, s7
	s_cbranch_execnz .LBB2_3092
	s_branch .LBB2_3093
.LBB2_3307:                             ;   in Loop: Header=BB2_2676 Depth=2
	s_mov_b32 s7, -1
	s_mov_b32 s26, exec_lo
                                        ; implicit-def: $sgpr24
	v_cmpx_eq_u16_e32 0x80, v117
; %bb.3308:                             ;   in Loop: Header=BB2_2676 Depth=2
	s_mov_b32 s24, 0x7f800001
	s_xor_b32 s7, exec_lo, -1
; %bb.3309:                             ;   in Loop: Header=BB2_2676 Depth=2
	s_or_b32 exec_lo, exec_lo, s26
	s_delay_alu instid0(SALU_CYCLE_1)
	s_and_b32 s7, s7, exec_lo
                                        ; implicit-def: $vgpr117
	s_or_saveexec_b32 s25, s25
	v_mov_b32_e32 v96, s24
	s_xor_b32 exec_lo, exec_lo, s25
	s_cbranch_execz .LBB2_3103
.LBB2_3310:                             ;   in Loop: Header=BB2_2676 Depth=2
	v_cmp_ne_u16_e32 vcc_lo, 0, v117
	v_mov_b32_e32 v96, 0
	s_and_not1_b32 s7, s7, exec_lo
	s_and_b32 s24, vcc_lo, exec_lo
	s_delay_alu instid0(SALU_CYCLE_1)
	s_or_b32 s7, s7, s24
	s_or_b32 exec_lo, exec_lo, s25
	v_lshl_or_b32 v98, v100, 16, v98
	s_and_saveexec_b32 s24, s7
	s_cbranch_execnz .LBB2_3104
	s_branch .LBB2_3105
.LBB2_3311:                             ;   in Loop: Header=BB2_2676 Depth=2
	s_mov_b32 s7, -1
	s_mov_b32 s26, exec_lo
                                        ; implicit-def: $sgpr24
	v_cmpx_eq_u16_e32 0x80, v118
; %bb.3312:                             ;   in Loop: Header=BB2_2676 Depth=2
	s_mov_b32 s24, 0x7f800001
	s_xor_b32 s7, exec_lo, -1
; %bb.3313:                             ;   in Loop: Header=BB2_2676 Depth=2
	s_or_b32 exec_lo, exec_lo, s26
	s_delay_alu instid0(SALU_CYCLE_1)
	s_and_b32 s7, s7, exec_lo
                                        ; implicit-def: $vgpr118
	s_or_saveexec_b32 s25, s25
	v_mov_b32_e32 v117, s24
	s_xor_b32 exec_lo, exec_lo, s25
	s_cbranch_execz .LBB2_3107
.LBB2_3314:                             ;   in Loop: Header=BB2_2676 Depth=2
	v_cmp_ne_u16_e32 vcc_lo, 0, v118
	v_mov_b32_e32 v117, 0
	s_and_not1_b32 s7, s7, exec_lo
	s_and_b32 s24, vcc_lo, exec_lo
	s_delay_alu instid0(SALU_CYCLE_1)
	s_or_b32 s7, s7, s24
	s_or_b32 exec_lo, exec_lo, s25
	s_and_saveexec_b32 s24, s7
	s_cbranch_execnz .LBB2_3108
	s_branch .LBB2_3109
.LBB2_3315:                             ;   in Loop: Header=BB2_2676 Depth=2
	s_mov_b32 s7, -1
	s_mov_b32 s26, exec_lo
                                        ; implicit-def: $sgpr24
	v_cmpx_eq_u16_e32 0x80, v117
; %bb.3316:                             ;   in Loop: Header=BB2_2676 Depth=2
	s_mov_b32 s24, 0x7f800001
	s_xor_b32 s7, exec_lo, -1
; %bb.3317:                             ;   in Loop: Header=BB2_2676 Depth=2
	s_or_b32 exec_lo, exec_lo, s26
	s_delay_alu instid0(SALU_CYCLE_1)
	s_and_b32 s7, s7, exec_lo
	s_or_saveexec_b32 s25, s25
	v_mov_b32_e32 v100, s24
	s_xor_b32 exec_lo, exec_lo, s25
	s_cbranch_execz .LBB2_3119
.LBB2_3318:                             ;   in Loop: Header=BB2_2676 Depth=2
	v_cmp_ne_u16_e32 vcc_lo, 0, v117
	v_mov_b32_e32 v100, 0
	s_and_not1_b32 s7, s7, exec_lo
	s_and_b32 s24, vcc_lo, exec_lo
	s_delay_alu instid0(SALU_CYCLE_1)
	s_or_b32 s7, s7, s24
	s_or_b32 exec_lo, exec_lo, s25
	s_and_saveexec_b32 s24, s7
	s_cbranch_execnz .LBB2_3120
	s_branch .LBB2_3121
.LBB2_3319:                             ;   in Loop: Header=BB2_2676 Depth=2
	s_mov_b32 s7, -1
	s_mov_b32 s26, exec_lo
                                        ; implicit-def: $sgpr24
	v_cmpx_eq_u16_e32 0x80, v98
; %bb.3320:                             ;   in Loop: Header=BB2_2676 Depth=2
	s_mov_b32 s24, 0x7f800001
	s_xor_b32 s7, exec_lo, -1
; %bb.3321:                             ;   in Loop: Header=BB2_2676 Depth=2
	s_or_b32 exec_lo, exec_lo, s26
	s_delay_alu instid0(SALU_CYCLE_1)
	s_and_b32 s7, s7, exec_lo
	s_or_saveexec_b32 s25, s25
	v_mov_b32_e32 v117, s24
	s_xor_b32 exec_lo, exec_lo, s25
	s_cbranch_execz .LBB2_3123
.LBB2_3322:                             ;   in Loop: Header=BB2_2676 Depth=2
	v_cmp_ne_u16_e32 vcc_lo, 0, v98
	v_mov_b32_e32 v117, 0
	s_and_not1_b32 s7, s7, exec_lo
	s_and_b32 s24, vcc_lo, exec_lo
	s_delay_alu instid0(SALU_CYCLE_1)
	s_or_b32 s7, s7, s24
	s_or_b32 exec_lo, exec_lo, s25
	s_and_saveexec_b32 s24, s7
	s_cbranch_execnz .LBB2_3124
	s_branch .LBB2_3125
.LBB2_3323:                             ;   in Loop: Header=BB2_1935 Depth=1
	s_or_b32 exec_lo, exec_lo, s22
.LBB2_3324:                             ;   in Loop: Header=BB2_1935 Depth=1
	s_delay_alu instid0(SALU_CYCLE_1) | instskip(SKIP_3) | instid1(VALU_DEP_1)
	s_or_b32 exec_lo, exec_lo, s21
	v_cmp_lt_i32_e32 vcc_lo, 0, v83
	s_mov_b32 s21, exec_lo
	v_cndmask_b32_e32 v10, 0, v39, vcc_lo
	v_sub_nc_u32_e32 v10, v10, v83
	s_delay_alu instid0(VALU_DEP_1)
	v_lshl_add_u32 v48, v10, 5, v84
.LBB2_3325:                             ;   in Loop: Header=BB2_1935 Depth=1
	s_or_b32 exec_lo, exec_lo, s10
.LBB2_3326:                             ;   in Loop: Header=BB2_1935 Depth=1
	s_and_saveexec_b32 s10, s21
	s_cbranch_execz .LBB2_3717
; %bb.3327:                             ;   in Loop: Header=BB2_1935 Depth=1
	s_delay_alu instid0(VALU_DEP_1) | instskip(SKIP_2) | instid1(VALU_DEP_2)
	v_ashrrev_i32_e32 v10, 31, v48
	v_lshrrev_b32_e32 v11, 8, v82
	s_mov_b32 s21, exec_lo
	v_lshrrev_b32_e32 v10, 27, v10
	s_delay_alu instid0(VALU_DEP_1) | instskip(NEXT) | instid1(VALU_DEP_1)
	v_add_nc_u32_e32 v10, v48, v10
	v_ashrrev_i32_e32 v49, 5, v10
	s_delay_alu instid0(VALU_DEP_1) | instskip(NEXT) | instid1(VALU_DEP_1)
	v_sub_nc_u32_e32 v83, v11, v49
	v_cmpx_lt_i32_e32 0, v83
	s_cbranch_execz .LBB2_3662
; %bb.3328:                             ;   in Loop: Header=BB2_1935 Depth=1
	s_cbranch_execnz .LBB2_5143
; %bb.3329:                             ;   in Loop: Header=BB2_1935 Depth=1
	ds_load_b128 v[35:38], v0
	ds_load_b64 v[12:13], v0
	v_and_b32_e32 v10, 0xffffffe0, v10
	v_lshlrev_b32_e32 v11, 8, v49
	s_mov_b32 s22, 0
	s_delay_alu instid0(VALU_DEP_2) | instskip(NEXT) | instid1(VALU_DEP_1)
	v_sub_nc_u32_e32 v10, v48, v10
	v_add3_u32 v84, v81, v10, v11
	s_delay_alu instid0(VALU_DEP_1) | instskip(SKIP_2) | instid1(VALU_DEP_2)
	v_ashrrev_i32_e32 v85, 31, v84
	s_waitcnt lgkmcnt(1)
	v_add_co_u32 v10, vcc_lo, v35, v84
	v_add_co_ci_u32_e32 v11, vcc_lo, v36, v85, vcc_lo
	s_waitcnt lgkmcnt(0)
	v_add_co_u32 v35, vcc_lo, 0xe0, v12
	v_add_co_ci_u32_e32 v36, vcc_lo, 0, v13, vcc_lo
	v_add_co_u32 v12, vcc_lo, v37, v84
	v_add_co_ci_u32_e32 v13, vcc_lo, v38, v85, vcc_lo
	s_delay_alu instid0(VALU_DEP_4) | instskip(NEXT) | instid1(VALU_DEP_4)
	v_add_co_u32 v35, vcc_lo, v35, v84
	v_add_co_ci_u32_e32 v36, vcc_lo, v36, v85, vcc_lo
.LBB2_3330:                             ;   Parent Loop BB2_1935 Depth=1
                                        ; =>  This Inner Loop Header: Depth=2
	s_cbranch_execnz .LBB2_5145
; %bb.3331:                             ;   in Loop: Header=BB2_3330 Depth=2
	ds_load_b64 v[37:38], v0
	s_waitcnt lgkmcnt(0)
	v_and_b32_e32 v38, 0xff, v37
	v_readfirstlane_b32 s7, v37
	s_delay_alu instid0(VALU_DEP_2)
	v_cmp_gt_i16_e32 vcc_lo, 0x80, v38
	s_cbranch_vccnz .LBB2_3335
; %bb.3332:                             ;   in Loop: Header=BB2_3330 Depth=2
	v_cmp_eq_u16_e32 vcc_lo, 0x80, v38
	s_mov_b32 s23, -1
                                        ; implicit-def: $sgpr24
	s_cbranch_vccz .LBB2_3334
; %bb.3333:                             ;   in Loop: Header=BB2_3330 Depth=2
	s_mov_b32 s23, 0
	s_mov_b32 s24, 0x7f800001
.LBB2_3334:                             ;   in Loop: Header=BB2_3330 Depth=2
	s_mov_b32 s25, 0
	s_branch .LBB2_3336
.LBB2_3335:                             ;   in Loop: Header=BB2_3330 Depth=2
	s_mov_b32 s25, -1
	s_mov_b32 s23, 0
                                        ; implicit-def: $sgpr24
.LBB2_3336:                             ;   in Loop: Header=BB2_3330 Depth=2
	s_and_b32 vcc_lo, exec_lo, s25
	s_cbranch_vccz .LBB2_3338
; %bb.3337:                             ;   in Loop: Header=BB2_3330 Depth=2
	v_cmp_ne_u16_e64 s23, 0, v38
	s_mov_b32 s24, 0
.LBB2_3338:                             ;   in Loop: Header=BB2_3330 Depth=2
	s_delay_alu instid0(SALU_CYCLE_1) | instskip(NEXT) | instid1(VALU_DEP_2)
	v_mov_b32_e32 v38, s24
	s_and_not1_b32 vcc_lo, exec_lo, s23
	s_cbranch_vccnz .LBB2_3340
; %bb.3339:                             ;   in Loop: Header=BB2_3330 Depth=2
	s_and_b32 s23, s7, 7
	s_bfe_u32 s25, s7, 0x40003
	s_clz_i32_u32 s24, s23
	v_lshlrev_b32_e32 v37, 24, v37
	s_min_u32 s24, s24, 32
	s_delay_alu instid0(SALU_CYCLE_1)
	s_sub_i32 s26, s24, 28
	s_sub_i32 s24, 29, s24
	s_lshl_b32 s7, s7, s26
	v_and_b32_e32 v37, 0x80000000, v37
	s_and_b32 s7, s7, 7
	s_cmp_eq_u32 s25, 0
	s_cselect_b32 s24, s24, s25
	s_cselect_b32 s7, s7, s23
	s_lshl_b32 s23, s24, 23
	s_lshl_b32 s7, s7, 20
	s_add_i32 s23, s23, 0x3b800000
	s_delay_alu instid0(SALU_CYCLE_1) | instskip(NEXT) | instid1(VALU_DEP_1)
	v_or_b32_e32 v37, s23, v37
	v_or_b32_e32 v38, s7, v37
.LBB2_3340:                             ;   in Loop: Header=BB2_3330 Depth=2
	flat_load_u8 v37, v[10:11] slc dlc
	s_mov_b32 s7, 0
	s_mov_b32 s24, exec_lo
                                        ; implicit-def: $sgpr23
	s_waitcnt vmcnt(0) lgkmcnt(0)
	v_cmpx_lt_i16_e32 0x7f, v37
	s_xor_b32 s24, exec_lo, s24
	s_cbranch_execnz .LBB2_3565
; %bb.3341:                             ;   in Loop: Header=BB2_3330 Depth=2
	s_or_saveexec_b32 s24, s24
	v_mov_b32_e32 v84, s23
	s_xor_b32 exec_lo, exec_lo, s24
	s_cbranch_execnz .LBB2_3568
.LBB2_3342:                             ;   in Loop: Header=BB2_3330 Depth=2
	s_or_b32 exec_lo, exec_lo, s24
	s_and_saveexec_b32 s23, s7
	s_cbranch_execz .LBB2_3344
.LBB2_3343:                             ;   in Loop: Header=BB2_3330 Depth=2
	v_and_b32_e32 v84, 0xffff, v37
	v_lshlrev_b32_e32 v37, 24, v37
	s_delay_alu instid0(VALU_DEP_2) | instskip(NEXT) | instid1(VALU_DEP_2)
	v_and_b32_e32 v85, 7, v84
	v_and_b32_e32 v37, 0x80000000, v37
	s_delay_alu instid0(VALU_DEP_2) | instskip(NEXT) | instid1(VALU_DEP_1)
	v_clz_i32_u32_e32 v86, v85
	v_min_u32_e32 v86, 32, v86
	s_delay_alu instid0(VALU_DEP_1) | instskip(SKIP_1) | instid1(VALU_DEP_2)
	v_subrev_nc_u32_e32 v87, 28, v86
	v_sub_nc_u32_e32 v86, 29, v86
	v_lshlrev_b32_e32 v87, v87, v84
	v_bfe_u32 v84, v84, 3, 4
	s_delay_alu instid0(VALU_DEP_2) | instskip(NEXT) | instid1(VALU_DEP_2)
	v_and_b32_e32 v87, 7, v87
	v_cmp_eq_u32_e32 vcc_lo, 0, v84
	s_delay_alu instid0(VALU_DEP_2) | instskip(NEXT) | instid1(VALU_DEP_1)
	v_dual_cndmask_b32 v84, v84, v86 :: v_dual_cndmask_b32 v85, v85, v87
	v_lshl_add_u32 v84, v84, 23, 0x3b800000
	s_delay_alu instid0(VALU_DEP_2) | instskip(NEXT) | instid1(VALU_DEP_1)
	v_lshlrev_b32_e32 v85, 20, v85
	v_or3_b32 v84, v37, v84, v85
.LBB2_3344:                             ;   in Loop: Header=BB2_3330 Depth=2
	s_or_b32 exec_lo, exec_lo, s23
	s_delay_alu instid0(VALU_DEP_1) | instskip(NEXT) | instid1(VALU_DEP_1)
	v_mul_f32_e32 v37, v38, v84
	v_and_b32_e32 v84, 0x7f800000, v37
	s_delay_alu instid0(VALU_DEP_1)
	v_cmp_ne_u32_e32 vcc_lo, 0x7f800000, v84
	v_mov_b32_e32 v84, 0x80
	s_and_saveexec_b32 s23, vcc_lo
	s_cbranch_execz .LBB2_3352
; %bb.3345:                             ;   in Loop: Header=BB2_3330 Depth=2
	v_mov_b32_e32 v84, 0
	s_mov_b32 s24, exec_lo
	v_cmpx_ne_u32_e32 0, v37
	s_cbranch_execz .LBB2_3351
; %bb.3346:                             ;   in Loop: Header=BB2_3330 Depth=2
	v_bfe_u32 v84, v37, 23, 8
	s_delay_alu instid0(VALU_DEP_1) | instskip(SKIP_1) | instid1(VALU_DEP_2)
	v_sub_nc_u32_e32 v86, 0x78, v84
	v_cmp_gt_u32_e32 vcc_lo, 0x79, v84
	v_dual_cndmask_b32 v86, 0, v86 :: v_dual_and_b32 v85, 0x7fffff, v37
	s_delay_alu instid0(VALU_DEP_1) | instskip(SKIP_2) | instid1(VALU_DEP_4)
	v_or_b32_e32 v87, 0x800000, v85
	v_cmp_eq_u32_e32 vcc_lo, 0, v84
	v_add_nc_u32_e32 v84, 0xffffff89, v84
	v_cndmask_b32_e64 v86, v86, 0x77, vcc_lo
	s_delay_alu instid0(VALU_DEP_4) | instskip(NEXT) | instid1(VALU_DEP_3)
	v_cndmask_b32_e32 v85, v87, v85, vcc_lo
	v_cndmask_b32_e64 v84, v84, 0xffffff8a, vcc_lo
	s_delay_alu instid0(VALU_DEP_3) | instskip(NEXT) | instid1(VALU_DEP_3)
	v_lshl_add_u32 v87, 0x100000, v86, -1
	v_lshrrev_b32_e32 v96, v86, v85
	v_lshlrev_b32_e64 v98, v86, 0x80000
	s_delay_alu instid0(VALU_DEP_4) | instskip(NEXT) | instid1(VALU_DEP_4)
	v_add_nc_u32_e32 v86, v86, v84
	v_and_b32_e32 v85, v87, v85
	s_delay_alu instid0(VALU_DEP_4) | instskip(NEXT) | instid1(VALU_DEP_2)
	v_bfe_u32 v97, v96, 20, 1
	v_cmp_eq_u32_e64 s7, v85, v98
	s_delay_alu instid0(VALU_DEP_2) | instskip(NEXT) | instid1(VALU_DEP_1)
	v_add_nc_u32_e32 v87, -1, v97
	v_cndmask_b32_e64 v85, 0, v87, s7
	v_lshrrev_b32_e32 v87, 23, v96
	s_mov_b32 s7, exec_lo
	s_delay_alu instid0(VALU_DEP_2) | instskip(NEXT) | instid1(VALU_DEP_2)
	v_add_nc_u32_e32 v85, v85, v96
	v_xor_b32_e32 v87, 1, v87
	s_delay_alu instid0(VALU_DEP_2) | instskip(NEXT) | instid1(VALU_DEP_1)
	v_and_b32_e32 v84, 0xfffff, v85
	v_add_nc_u32_e32 v85, v84, v96
                                        ; implicit-def: $vgpr84
	s_delay_alu instid0(VALU_DEP_3)
	v_cmpx_ne_u32_e64 v86, v87
	s_xor_b32 s7, exec_lo, s7
; %bb.3347:                             ;   in Loop: Header=BB2_3330 Depth=2
	s_delay_alu instid0(VALU_DEP_2) | instskip(SKIP_2) | instid1(VALU_DEP_2)
	v_cmp_lt_u32_e32 vcc_lo, 0xffffff, v85
	v_sub_nc_u32_e32 v84, v86, v87
	v_cndmask_b32_e64 v86, 0, 1, vcc_lo
	v_add_co_ci_u32_e32 v84, vcc_lo, 0, v84, vcc_lo
	s_delay_alu instid0(VALU_DEP_2)
	v_lshrrev_b32_e32 v85, v86, v85
; %bb.3348:                             ;   in Loop: Header=BB2_3330 Depth=2
	s_and_not1_saveexec_b32 s7, s7
; %bb.3349:                             ;   in Loop: Header=BB2_3330 Depth=2
	s_delay_alu instid0(VALU_DEP_1)
	v_bfe_u32 v84, v85, 23, 1
; %bb.3350:                             ;   in Loop: Header=BB2_3330 Depth=2
	s_or_b32 exec_lo, exec_lo, s7
	v_lshrrev_b32_e32 v85, 20, v85
	s_delay_alu instid0(VALU_DEP_2) | instskip(SKIP_2) | instid1(VALU_DEP_4)
	v_cmp_gt_i32_e32 vcc_lo, 16, v84
	v_lshrrev_b32_e32 v37, 24, v37
	v_min_i32_e32 v86, 15, v84
	v_cndmask_b32_e32 v85, 7, v85, vcc_lo
	s_delay_alu instid0(VALU_DEP_3) | instskip(NEXT) | instid1(VALU_DEP_3)
	v_and_b32_e32 v37, 0x80, v37
	v_lshlrev_b32_e32 v86, 3, v86
	s_delay_alu instid0(VALU_DEP_3) | instskip(SKIP_1) | instid1(VALU_DEP_2)
	v_and_b32_e32 v87, 7, v85
	v_or_b32_e32 v84, v84, v85
	v_or3_b32 v37, v86, v37, v87
	s_delay_alu instid0(VALU_DEP_2) | instskip(NEXT) | instid1(VALU_DEP_2)
	v_cmp_ne_u32_e32 vcc_lo, 0, v84
	v_cndmask_b32_e32 v84, 0, v37, vcc_lo
.LBB2_3351:                             ;   in Loop: Header=BB2_3330 Depth=2
	s_or_b32 exec_lo, exec_lo, s24
.LBB2_3352:                             ;   in Loop: Header=BB2_3330 Depth=2
	s_delay_alu instid0(SALU_CYCLE_1)
	s_or_b32 exec_lo, exec_lo, s23
	flat_load_u8 v37, v[10:11] offset:32 slc dlc
	s_mov_b32 s7, 0
	s_mov_b32 s24, exec_lo
                                        ; implicit-def: $sgpr23
	s_waitcnt vmcnt(0) lgkmcnt(0)
	v_cmpx_lt_i16_e32 0x7f, v37
	s_xor_b32 s24, exec_lo, s24
	s_cbranch_execnz .LBB2_3569
; %bb.3353:                             ;   in Loop: Header=BB2_3330 Depth=2
	s_or_saveexec_b32 s24, s24
	v_mov_b32_e32 v85, s23
	s_xor_b32 exec_lo, exec_lo, s24
	s_cbranch_execnz .LBB2_3572
.LBB2_3354:                             ;   in Loop: Header=BB2_3330 Depth=2
	s_or_b32 exec_lo, exec_lo, s24
	s_and_saveexec_b32 s23, s7
	s_cbranch_execz .LBB2_3356
.LBB2_3355:                             ;   in Loop: Header=BB2_3330 Depth=2
	v_and_b32_e32 v85, 0xffff, v37
	v_lshlrev_b32_e32 v37, 24, v37
	s_delay_alu instid0(VALU_DEP_2) | instskip(NEXT) | instid1(VALU_DEP_2)
	v_and_b32_e32 v86, 7, v85
	v_and_b32_e32 v37, 0x80000000, v37
	s_delay_alu instid0(VALU_DEP_2) | instskip(NEXT) | instid1(VALU_DEP_1)
	v_clz_i32_u32_e32 v87, v86
	v_min_u32_e32 v87, 32, v87
	s_delay_alu instid0(VALU_DEP_1) | instskip(SKIP_1) | instid1(VALU_DEP_2)
	v_subrev_nc_u32_e32 v96, 28, v87
	v_sub_nc_u32_e32 v87, 29, v87
	v_lshlrev_b32_e32 v96, v96, v85
	v_bfe_u32 v85, v85, 3, 4
	s_delay_alu instid0(VALU_DEP_2) | instskip(NEXT) | instid1(VALU_DEP_2)
	v_and_b32_e32 v96, 7, v96
	v_cmp_eq_u32_e32 vcc_lo, 0, v85
	s_delay_alu instid0(VALU_DEP_2) | instskip(NEXT) | instid1(VALU_DEP_1)
	v_dual_cndmask_b32 v85, v85, v87 :: v_dual_cndmask_b32 v86, v86, v96
	v_lshl_add_u32 v85, v85, 23, 0x3b800000
	s_delay_alu instid0(VALU_DEP_2) | instskip(NEXT) | instid1(VALU_DEP_1)
	v_lshlrev_b32_e32 v86, 20, v86
	v_or3_b32 v85, v37, v85, v86
.LBB2_3356:                             ;   in Loop: Header=BB2_3330 Depth=2
	s_or_b32 exec_lo, exec_lo, s23
	s_delay_alu instid0(VALU_DEP_1) | instskip(SKIP_2) | instid1(VALU_DEP_2)
	v_mul_f32_e32 v37, v38, v85
	v_mov_b32_e32 v97, 0x80
	s_mov_b32 s23, exec_lo
	v_and_b32_e32 v85, 0x7f800000, v37
	s_delay_alu instid0(VALU_DEP_1)
	v_cmpx_ne_u32_e32 0x7f800000, v85
	s_cbranch_execz .LBB2_3364
; %bb.3357:                             ;   in Loop: Header=BB2_3330 Depth=2
	v_mov_b32_e32 v97, 0
	s_mov_b32 s24, exec_lo
	v_cmpx_ne_u32_e32 0, v37
	s_cbranch_execz .LBB2_3363
; %bb.3358:                             ;   in Loop: Header=BB2_3330 Depth=2
	v_bfe_u32 v85, v37, 23, 8
	s_delay_alu instid0(VALU_DEP_1) | instskip(SKIP_1) | instid1(VALU_DEP_2)
	v_sub_nc_u32_e32 v87, 0x78, v85
	v_cmp_gt_u32_e32 vcc_lo, 0x79, v85
	v_dual_cndmask_b32 v87, 0, v87 :: v_dual_and_b32 v86, 0x7fffff, v37
	s_delay_alu instid0(VALU_DEP_1) | instskip(SKIP_2) | instid1(VALU_DEP_4)
	v_or_b32_e32 v96, 0x800000, v86
	v_cmp_eq_u32_e32 vcc_lo, 0, v85
	v_add_nc_u32_e32 v85, 0xffffff89, v85
	v_cndmask_b32_e64 v87, v87, 0x77, vcc_lo
	s_delay_alu instid0(VALU_DEP_4) | instskip(NEXT) | instid1(VALU_DEP_3)
	v_cndmask_b32_e32 v86, v96, v86, vcc_lo
	v_cndmask_b32_e64 v85, v85, 0xffffff8a, vcc_lo
	s_delay_alu instid0(VALU_DEP_3) | instskip(NEXT) | instid1(VALU_DEP_3)
	v_lshl_add_u32 v96, 0x100000, v87, -1
	v_lshrrev_b32_e32 v97, v87, v86
	v_lshlrev_b32_e64 v99, v87, 0x80000
	s_delay_alu instid0(VALU_DEP_4) | instskip(NEXT) | instid1(VALU_DEP_4)
	v_add_nc_u32_e32 v87, v87, v85
	v_and_b32_e32 v86, v96, v86
	s_delay_alu instid0(VALU_DEP_4) | instskip(NEXT) | instid1(VALU_DEP_2)
	v_bfe_u32 v98, v97, 20, 1
	v_cmp_eq_u32_e64 s7, v86, v99
	s_delay_alu instid0(VALU_DEP_2) | instskip(NEXT) | instid1(VALU_DEP_1)
	v_add_nc_u32_e32 v96, -1, v98
	v_cndmask_b32_e64 v86, 0, v96, s7
	v_lshrrev_b32_e32 v96, 23, v97
	s_mov_b32 s7, exec_lo
	s_delay_alu instid0(VALU_DEP_2) | instskip(NEXT) | instid1(VALU_DEP_2)
	v_add_nc_u32_e32 v86, v86, v97
	v_xor_b32_e32 v96, 1, v96
	s_delay_alu instid0(VALU_DEP_2) | instskip(NEXT) | instid1(VALU_DEP_1)
	v_and_b32_e32 v85, 0xfffff, v86
	v_add_nc_u32_e32 v86, v85, v97
                                        ; implicit-def: $vgpr85
	s_delay_alu instid0(VALU_DEP_3)
	v_cmpx_ne_u32_e64 v87, v96
	s_xor_b32 s7, exec_lo, s7
; %bb.3359:                             ;   in Loop: Header=BB2_3330 Depth=2
	s_delay_alu instid0(VALU_DEP_2) | instskip(SKIP_2) | instid1(VALU_DEP_2)
	v_cmp_lt_u32_e32 vcc_lo, 0xffffff, v86
	v_sub_nc_u32_e32 v85, v87, v96
	v_cndmask_b32_e64 v87, 0, 1, vcc_lo
	v_add_co_ci_u32_e32 v85, vcc_lo, 0, v85, vcc_lo
	s_delay_alu instid0(VALU_DEP_2)
	v_lshrrev_b32_e32 v86, v87, v86
; %bb.3360:                             ;   in Loop: Header=BB2_3330 Depth=2
	s_and_not1_saveexec_b32 s7, s7
; %bb.3361:                             ;   in Loop: Header=BB2_3330 Depth=2
	s_delay_alu instid0(VALU_DEP_1)
	v_bfe_u32 v85, v86, 23, 1
; %bb.3362:                             ;   in Loop: Header=BB2_3330 Depth=2
	s_or_b32 exec_lo, exec_lo, s7
	v_lshrrev_b32_e32 v86, 20, v86
	s_delay_alu instid0(VALU_DEP_2) | instskip(SKIP_2) | instid1(VALU_DEP_2)
	v_cmp_gt_i32_e32 vcc_lo, 16, v85
	v_lshrrev_b32_e32 v37, 24, v37
	v_min_i32_e32 v87, 15, v85
	v_dual_cndmask_b32 v86, 7, v86 :: v_dual_and_b32 v37, 0x80, v37
	s_delay_alu instid0(VALU_DEP_2) | instskip(NEXT) | instid1(VALU_DEP_2)
	v_lshlrev_b32_e32 v87, 3, v87
	v_or_b32_e32 v85, v85, v86
	s_delay_alu instid0(VALU_DEP_1) | instskip(SKIP_1) | instid1(VALU_DEP_1)
	v_cmp_ne_u32_e32 vcc_lo, 0, v85
	v_and_b32_e32 v96, 7, v86
	v_or3_b32 v37, v87, v37, v96
	s_delay_alu instid0(VALU_DEP_1)
	v_cndmask_b32_e32 v97, 0, v37, vcc_lo
.LBB2_3363:                             ;   in Loop: Header=BB2_3330 Depth=2
	s_or_b32 exec_lo, exec_lo, s24
.LBB2_3364:                             ;   in Loop: Header=BB2_3330 Depth=2
	s_delay_alu instid0(SALU_CYCLE_1)
	s_or_b32 exec_lo, exec_lo, s23
	flat_load_u8 v37, v[10:11] offset:64 slc dlc
	s_mov_b32 s7, 0
	s_mov_b32 s24, exec_lo
                                        ; implicit-def: $sgpr23
	s_waitcnt vmcnt(0) lgkmcnt(0)
	v_cmpx_lt_i16_e32 0x7f, v37
	s_xor_b32 s24, exec_lo, s24
	s_cbranch_execnz .LBB2_3573
; %bb.3365:                             ;   in Loop: Header=BB2_3330 Depth=2
	s_or_saveexec_b32 s24, s24
	v_mov_b32_e32 v85, s23
	s_xor_b32 exec_lo, exec_lo, s24
	s_cbranch_execnz .LBB2_3576
.LBB2_3366:                             ;   in Loop: Header=BB2_3330 Depth=2
	s_or_b32 exec_lo, exec_lo, s24
	s_and_saveexec_b32 s23, s7
	s_cbranch_execz .LBB2_3368
.LBB2_3367:                             ;   in Loop: Header=BB2_3330 Depth=2
	v_and_b32_e32 v85, 0xffff, v37
	v_lshlrev_b32_e32 v37, 24, v37
	s_delay_alu instid0(VALU_DEP_2) | instskip(NEXT) | instid1(VALU_DEP_2)
	v_and_b32_e32 v86, 7, v85
	v_and_b32_e32 v37, 0x80000000, v37
	s_delay_alu instid0(VALU_DEP_2) | instskip(NEXT) | instid1(VALU_DEP_1)
	v_clz_i32_u32_e32 v87, v86
	v_min_u32_e32 v87, 32, v87
	s_delay_alu instid0(VALU_DEP_1) | instskip(SKIP_1) | instid1(VALU_DEP_2)
	v_subrev_nc_u32_e32 v96, 28, v87
	v_sub_nc_u32_e32 v87, 29, v87
	v_lshlrev_b32_e32 v96, v96, v85
	v_bfe_u32 v85, v85, 3, 4
	s_delay_alu instid0(VALU_DEP_2) | instskip(NEXT) | instid1(VALU_DEP_2)
	v_and_b32_e32 v96, 7, v96
	v_cmp_eq_u32_e32 vcc_lo, 0, v85
	s_delay_alu instid0(VALU_DEP_2) | instskip(NEXT) | instid1(VALU_DEP_1)
	v_dual_cndmask_b32 v85, v85, v87 :: v_dual_cndmask_b32 v86, v86, v96
	v_lshl_add_u32 v85, v85, 23, 0x3b800000
	s_delay_alu instid0(VALU_DEP_2) | instskip(NEXT) | instid1(VALU_DEP_1)
	v_lshlrev_b32_e32 v86, 20, v86
	v_or3_b32 v85, v37, v85, v86
.LBB2_3368:                             ;   in Loop: Header=BB2_3330 Depth=2
	s_or_b32 exec_lo, exec_lo, s23
	s_delay_alu instid0(VALU_DEP_1) | instskip(SKIP_2) | instid1(VALU_DEP_2)
	v_mul_f32_e32 v37, v38, v85
	v_mov_b32_e32 v99, 0x80
	s_mov_b32 s23, exec_lo
	v_and_b32_e32 v85, 0x7f800000, v37
	s_delay_alu instid0(VALU_DEP_1)
	v_cmpx_ne_u32_e32 0x7f800000, v85
	s_cbranch_execz .LBB2_3376
; %bb.3369:                             ;   in Loop: Header=BB2_3330 Depth=2
	v_mov_b32_e32 v99, 0
	s_mov_b32 s24, exec_lo
	v_cmpx_ne_u32_e32 0, v37
	s_cbranch_execz .LBB2_3375
; %bb.3370:                             ;   in Loop: Header=BB2_3330 Depth=2
	v_bfe_u32 v85, v37, 23, 8
	s_delay_alu instid0(VALU_DEP_1) | instskip(SKIP_1) | instid1(VALU_DEP_2)
	v_sub_nc_u32_e32 v87, 0x78, v85
	v_cmp_gt_u32_e32 vcc_lo, 0x79, v85
	v_dual_cndmask_b32 v87, 0, v87 :: v_dual_and_b32 v86, 0x7fffff, v37
	s_delay_alu instid0(VALU_DEP_1) | instskip(SKIP_2) | instid1(VALU_DEP_4)
	v_or_b32_e32 v96, 0x800000, v86
	v_cmp_eq_u32_e32 vcc_lo, 0, v85
	v_add_nc_u32_e32 v85, 0xffffff89, v85
	v_cndmask_b32_e64 v87, v87, 0x77, vcc_lo
	s_delay_alu instid0(VALU_DEP_4) | instskip(NEXT) | instid1(VALU_DEP_3)
	v_cndmask_b32_e32 v86, v96, v86, vcc_lo
	v_cndmask_b32_e64 v85, v85, 0xffffff8a, vcc_lo
	s_delay_alu instid0(VALU_DEP_3) | instskip(NEXT) | instid1(VALU_DEP_3)
	v_lshl_add_u32 v96, 0x100000, v87, -1
	v_lshrrev_b32_e32 v98, v87, v86
	v_lshlrev_b32_e64 v100, v87, 0x80000
	s_delay_alu instid0(VALU_DEP_4) | instskip(NEXT) | instid1(VALU_DEP_4)
	v_add_nc_u32_e32 v87, v87, v85
	v_and_b32_e32 v86, v96, v86
	s_delay_alu instid0(VALU_DEP_4) | instskip(NEXT) | instid1(VALU_DEP_2)
	v_bfe_u32 v99, v98, 20, 1
	v_cmp_eq_u32_e64 s7, v86, v100
	s_delay_alu instid0(VALU_DEP_2) | instskip(NEXT) | instid1(VALU_DEP_1)
	v_add_nc_u32_e32 v96, -1, v99
	v_cndmask_b32_e64 v86, 0, v96, s7
	v_lshrrev_b32_e32 v96, 23, v98
	s_mov_b32 s7, exec_lo
	s_delay_alu instid0(VALU_DEP_2) | instskip(NEXT) | instid1(VALU_DEP_2)
	v_add_nc_u32_e32 v86, v86, v98
	v_xor_b32_e32 v96, 1, v96
	s_delay_alu instid0(VALU_DEP_2) | instskip(NEXT) | instid1(VALU_DEP_1)
	v_and_b32_e32 v85, 0xfffff, v86
	v_add_nc_u32_e32 v86, v85, v98
                                        ; implicit-def: $vgpr85
	s_delay_alu instid0(VALU_DEP_3)
	v_cmpx_ne_u32_e64 v87, v96
	s_xor_b32 s7, exec_lo, s7
; %bb.3371:                             ;   in Loop: Header=BB2_3330 Depth=2
	s_delay_alu instid0(VALU_DEP_2) | instskip(SKIP_2) | instid1(VALU_DEP_2)
	v_cmp_lt_u32_e32 vcc_lo, 0xffffff, v86
	v_sub_nc_u32_e32 v85, v87, v96
	v_cndmask_b32_e64 v87, 0, 1, vcc_lo
	v_add_co_ci_u32_e32 v85, vcc_lo, 0, v85, vcc_lo
	s_delay_alu instid0(VALU_DEP_2)
	v_lshrrev_b32_e32 v86, v87, v86
; %bb.3372:                             ;   in Loop: Header=BB2_3330 Depth=2
	s_and_not1_saveexec_b32 s7, s7
; %bb.3373:                             ;   in Loop: Header=BB2_3330 Depth=2
	s_delay_alu instid0(VALU_DEP_1)
	v_bfe_u32 v85, v86, 23, 1
; %bb.3374:                             ;   in Loop: Header=BB2_3330 Depth=2
	s_or_b32 exec_lo, exec_lo, s7
	v_lshrrev_b32_e32 v86, 20, v86
	s_delay_alu instid0(VALU_DEP_2) | instskip(SKIP_2) | instid1(VALU_DEP_2)
	v_cmp_gt_i32_e32 vcc_lo, 16, v85
	v_lshrrev_b32_e32 v37, 24, v37
	v_min_i32_e32 v87, 15, v85
	v_dual_cndmask_b32 v86, 7, v86 :: v_dual_and_b32 v37, 0x80, v37
	s_delay_alu instid0(VALU_DEP_2) | instskip(NEXT) | instid1(VALU_DEP_2)
	v_lshlrev_b32_e32 v87, 3, v87
	v_or_b32_e32 v85, v85, v86
	s_delay_alu instid0(VALU_DEP_1) | instskip(SKIP_1) | instid1(VALU_DEP_1)
	v_cmp_ne_u32_e32 vcc_lo, 0, v85
	v_and_b32_e32 v96, 7, v86
	v_or3_b32 v37, v87, v37, v96
	s_delay_alu instid0(VALU_DEP_1)
	v_cndmask_b32_e32 v99, 0, v37, vcc_lo
.LBB2_3375:                             ;   in Loop: Header=BB2_3330 Depth=2
	s_or_b32 exec_lo, exec_lo, s24
.LBB2_3376:                             ;   in Loop: Header=BB2_3330 Depth=2
	s_delay_alu instid0(SALU_CYCLE_1)
	s_or_b32 exec_lo, exec_lo, s23
	flat_load_u8 v37, v[10:11] offset:96 slc dlc
	s_mov_b32 s7, 0
	s_mov_b32 s24, exec_lo
                                        ; implicit-def: $sgpr23
	s_waitcnt vmcnt(0) lgkmcnt(0)
	v_cmpx_lt_i16_e32 0x7f, v37
	s_xor_b32 s24, exec_lo, s24
	s_cbranch_execnz .LBB2_3577
; %bb.3377:                             ;   in Loop: Header=BB2_3330 Depth=2
	s_or_saveexec_b32 s24, s24
	v_mov_b32_e32 v85, s23
	s_xor_b32 exec_lo, exec_lo, s24
	s_cbranch_execnz .LBB2_3580
.LBB2_3378:                             ;   in Loop: Header=BB2_3330 Depth=2
	s_or_b32 exec_lo, exec_lo, s24
	s_and_saveexec_b32 s23, s7
	s_cbranch_execz .LBB2_3380
.LBB2_3379:                             ;   in Loop: Header=BB2_3330 Depth=2
	v_and_b32_e32 v85, 0xffff, v37
	v_lshlrev_b32_e32 v37, 24, v37
	s_delay_alu instid0(VALU_DEP_2) | instskip(NEXT) | instid1(VALU_DEP_2)
	v_and_b32_e32 v86, 7, v85
	v_and_b32_e32 v37, 0x80000000, v37
	s_delay_alu instid0(VALU_DEP_2) | instskip(NEXT) | instid1(VALU_DEP_1)
	v_clz_i32_u32_e32 v87, v86
	v_min_u32_e32 v87, 32, v87
	s_delay_alu instid0(VALU_DEP_1) | instskip(SKIP_1) | instid1(VALU_DEP_2)
	v_subrev_nc_u32_e32 v96, 28, v87
	v_sub_nc_u32_e32 v87, 29, v87
	v_lshlrev_b32_e32 v96, v96, v85
	v_bfe_u32 v85, v85, 3, 4
	s_delay_alu instid0(VALU_DEP_2) | instskip(NEXT) | instid1(VALU_DEP_2)
	v_and_b32_e32 v96, 7, v96
	v_cmp_eq_u32_e32 vcc_lo, 0, v85
	s_delay_alu instid0(VALU_DEP_2) | instskip(NEXT) | instid1(VALU_DEP_1)
	v_dual_cndmask_b32 v85, v85, v87 :: v_dual_cndmask_b32 v86, v86, v96
	v_lshl_add_u32 v85, v85, 23, 0x3b800000
	s_delay_alu instid0(VALU_DEP_2) | instskip(NEXT) | instid1(VALU_DEP_1)
	v_lshlrev_b32_e32 v86, 20, v86
	v_or3_b32 v85, v37, v85, v86
.LBB2_3380:                             ;   in Loop: Header=BB2_3330 Depth=2
	s_or_b32 exec_lo, exec_lo, s23
	s_delay_alu instid0(VALU_DEP_1) | instskip(SKIP_1) | instid1(VALU_DEP_1)
	v_dual_mul_f32 v37, v38, v85 :: v_dual_mov_b32 v98, 0x80
	s_mov_b32 s23, exec_lo
	v_and_b32_e32 v85, 0x7f800000, v37
	s_delay_alu instid0(VALU_DEP_1)
	v_cmpx_ne_u32_e32 0x7f800000, v85
	s_cbranch_execz .LBB2_3388
; %bb.3381:                             ;   in Loop: Header=BB2_3330 Depth=2
	v_mov_b32_e32 v98, 0
	s_mov_b32 s24, exec_lo
	v_cmpx_ne_u32_e32 0, v37
	s_cbranch_execz .LBB2_3387
; %bb.3382:                             ;   in Loop: Header=BB2_3330 Depth=2
	v_bfe_u32 v85, v37, 23, 8
	s_delay_alu instid0(VALU_DEP_1) | instskip(SKIP_1) | instid1(VALU_DEP_2)
	v_sub_nc_u32_e32 v87, 0x78, v85
	v_cmp_gt_u32_e32 vcc_lo, 0x79, v85
	v_dual_cndmask_b32 v87, 0, v87 :: v_dual_and_b32 v86, 0x7fffff, v37
	s_delay_alu instid0(VALU_DEP_1) | instskip(SKIP_2) | instid1(VALU_DEP_4)
	v_or_b32_e32 v96, 0x800000, v86
	v_cmp_eq_u32_e32 vcc_lo, 0, v85
	v_add_nc_u32_e32 v85, 0xffffff89, v85
	v_cndmask_b32_e64 v87, v87, 0x77, vcc_lo
	s_delay_alu instid0(VALU_DEP_4) | instskip(NEXT) | instid1(VALU_DEP_3)
	v_cndmask_b32_e32 v86, v96, v86, vcc_lo
	v_cndmask_b32_e64 v85, v85, 0xffffff8a, vcc_lo
	s_delay_alu instid0(VALU_DEP_3) | instskip(NEXT) | instid1(VALU_DEP_3)
	v_lshl_add_u32 v96, 0x100000, v87, -1
	v_lshrrev_b32_e32 v98, v87, v86
	v_lshlrev_b32_e64 v101, v87, 0x80000
	s_delay_alu instid0(VALU_DEP_4) | instskip(NEXT) | instid1(VALU_DEP_4)
	v_add_nc_u32_e32 v87, v87, v85
	v_and_b32_e32 v86, v96, v86
	s_delay_alu instid0(VALU_DEP_4) | instskip(NEXT) | instid1(VALU_DEP_2)
	v_bfe_u32 v100, v98, 20, 1
	v_cmp_eq_u32_e64 s7, v86, v101
	s_delay_alu instid0(VALU_DEP_2) | instskip(NEXT) | instid1(VALU_DEP_1)
	v_add_nc_u32_e32 v96, -1, v100
	v_cndmask_b32_e64 v86, 0, v96, s7
	v_lshrrev_b32_e32 v96, 23, v98
	s_mov_b32 s7, exec_lo
	s_delay_alu instid0(VALU_DEP_2) | instskip(NEXT) | instid1(VALU_DEP_2)
	v_add_nc_u32_e32 v86, v86, v98
	v_xor_b32_e32 v96, 1, v96
	s_delay_alu instid0(VALU_DEP_2) | instskip(NEXT) | instid1(VALU_DEP_1)
	v_and_b32_e32 v85, 0xfffff, v86
	v_add_nc_u32_e32 v86, v85, v98
                                        ; implicit-def: $vgpr85
	s_delay_alu instid0(VALU_DEP_3)
	v_cmpx_ne_u32_e64 v87, v96
	s_xor_b32 s7, exec_lo, s7
; %bb.3383:                             ;   in Loop: Header=BB2_3330 Depth=2
	s_delay_alu instid0(VALU_DEP_2) | instskip(SKIP_2) | instid1(VALU_DEP_2)
	v_cmp_lt_u32_e32 vcc_lo, 0xffffff, v86
	v_sub_nc_u32_e32 v85, v87, v96
	v_cndmask_b32_e64 v87, 0, 1, vcc_lo
	v_add_co_ci_u32_e32 v85, vcc_lo, 0, v85, vcc_lo
	s_delay_alu instid0(VALU_DEP_2)
	v_lshrrev_b32_e32 v86, v87, v86
; %bb.3384:                             ;   in Loop: Header=BB2_3330 Depth=2
	s_and_not1_saveexec_b32 s7, s7
; %bb.3385:                             ;   in Loop: Header=BB2_3330 Depth=2
	s_delay_alu instid0(VALU_DEP_1)
	v_bfe_u32 v85, v86, 23, 1
; %bb.3386:                             ;   in Loop: Header=BB2_3330 Depth=2
	s_or_b32 exec_lo, exec_lo, s7
	v_lshrrev_b32_e32 v86, 20, v86
	s_delay_alu instid0(VALU_DEP_2) | instskip(SKIP_2) | instid1(VALU_DEP_2)
	v_cmp_gt_i32_e32 vcc_lo, 16, v85
	v_lshrrev_b32_e32 v37, 24, v37
	v_min_i32_e32 v87, 15, v85
	v_dual_cndmask_b32 v86, 7, v86 :: v_dual_and_b32 v37, 0x80, v37
	s_delay_alu instid0(VALU_DEP_1) | instskip(SKIP_1) | instid1(VALU_DEP_2)
	v_or_b32_e32 v85, v85, v86
	v_and_b32_e32 v96, 7, v86
	v_cmp_ne_u32_e32 vcc_lo, 0, v85
	v_lshlrev_b32_e32 v87, 3, v87
	s_delay_alu instid0(VALU_DEP_1) | instskip(NEXT) | instid1(VALU_DEP_1)
	v_or3_b32 v37, v87, v37, v96
	v_cndmask_b32_e32 v98, 0, v37, vcc_lo
.LBB2_3387:                             ;   in Loop: Header=BB2_3330 Depth=2
	s_or_b32 exec_lo, exec_lo, s24
.LBB2_3388:                             ;   in Loop: Header=BB2_3330 Depth=2
	s_delay_alu instid0(SALU_CYCLE_1)
	s_or_b32 exec_lo, exec_lo, s23
	flat_load_u8 v37, v[10:11] offset:128 slc dlc
	s_mov_b32 s7, 0
	s_mov_b32 s24, exec_lo
                                        ; implicit-def: $sgpr23
	s_waitcnt vmcnt(0) lgkmcnt(0)
	v_cmpx_lt_i16_e32 0x7f, v37
	s_xor_b32 s24, exec_lo, s24
	s_cbranch_execnz .LBB2_3581
; %bb.3389:                             ;   in Loop: Header=BB2_3330 Depth=2
	s_or_saveexec_b32 s24, s24
	v_mov_b32_e32 v85, s23
	s_xor_b32 exec_lo, exec_lo, s24
	s_cbranch_execnz .LBB2_3584
.LBB2_3390:                             ;   in Loop: Header=BB2_3330 Depth=2
	s_or_b32 exec_lo, exec_lo, s24
	s_and_saveexec_b32 s23, s7
	s_cbranch_execz .LBB2_3392
.LBB2_3391:                             ;   in Loop: Header=BB2_3330 Depth=2
	v_and_b32_e32 v85, 0xffff, v37
	v_lshlrev_b32_e32 v37, 24, v37
	s_delay_alu instid0(VALU_DEP_2) | instskip(NEXT) | instid1(VALU_DEP_2)
	v_and_b32_e32 v86, 7, v85
	v_and_b32_e32 v37, 0x80000000, v37
	s_delay_alu instid0(VALU_DEP_2) | instskip(NEXT) | instid1(VALU_DEP_1)
	v_clz_i32_u32_e32 v87, v86
	v_min_u32_e32 v87, 32, v87
	s_delay_alu instid0(VALU_DEP_1) | instskip(SKIP_1) | instid1(VALU_DEP_2)
	v_subrev_nc_u32_e32 v96, 28, v87
	v_sub_nc_u32_e32 v87, 29, v87
	v_lshlrev_b32_e32 v96, v96, v85
	v_bfe_u32 v85, v85, 3, 4
	s_delay_alu instid0(VALU_DEP_2) | instskip(NEXT) | instid1(VALU_DEP_2)
	v_and_b32_e32 v96, 7, v96
	v_cmp_eq_u32_e32 vcc_lo, 0, v85
	s_delay_alu instid0(VALU_DEP_2) | instskip(NEXT) | instid1(VALU_DEP_1)
	v_dual_cndmask_b32 v85, v85, v87 :: v_dual_cndmask_b32 v86, v86, v96
	v_lshl_add_u32 v85, v85, 23, 0x3b800000
	s_delay_alu instid0(VALU_DEP_2) | instskip(NEXT) | instid1(VALU_DEP_1)
	v_lshlrev_b32_e32 v86, 20, v86
	v_or3_b32 v85, v37, v85, v86
.LBB2_3392:                             ;   in Loop: Header=BB2_3330 Depth=2
	s_or_b32 exec_lo, exec_lo, s23
	s_delay_alu instid0(VALU_DEP_1) | instskip(SKIP_1) | instid1(VALU_DEP_1)
	v_dual_mul_f32 v37, v38, v85 :: v_dual_mov_b32 v96, 0x80
	s_mov_b32 s23, exec_lo
	v_and_b32_e32 v85, 0x7f800000, v37
	s_delay_alu instid0(VALU_DEP_1)
	v_cmpx_ne_u32_e32 0x7f800000, v85
	s_cbranch_execz .LBB2_3400
; %bb.3393:                             ;   in Loop: Header=BB2_3330 Depth=2
	v_mov_b32_e32 v96, 0
	s_mov_b32 s24, exec_lo
	v_cmpx_ne_u32_e32 0, v37
	s_cbranch_execz .LBB2_3399
; %bb.3394:                             ;   in Loop: Header=BB2_3330 Depth=2
	v_bfe_u32 v85, v37, 23, 8
	s_delay_alu instid0(VALU_DEP_1) | instskip(SKIP_1) | instid1(VALU_DEP_2)
	v_sub_nc_u32_e32 v87, 0x78, v85
	v_cmp_gt_u32_e32 vcc_lo, 0x79, v85
	v_dual_cndmask_b32 v87, 0, v87 :: v_dual_and_b32 v86, 0x7fffff, v37
	s_delay_alu instid0(VALU_DEP_1) | instskip(SKIP_2) | instid1(VALU_DEP_4)
	v_or_b32_e32 v96, 0x800000, v86
	v_cmp_eq_u32_e32 vcc_lo, 0, v85
	v_add_nc_u32_e32 v85, 0xffffff89, v85
	v_cndmask_b32_e64 v87, v87, 0x77, vcc_lo
	s_delay_alu instid0(VALU_DEP_4) | instskip(NEXT) | instid1(VALU_DEP_3)
	v_cndmask_b32_e32 v86, v96, v86, vcc_lo
	v_cndmask_b32_e64 v85, v85, 0xffffff8a, vcc_lo
	s_delay_alu instid0(VALU_DEP_3) | instskip(NEXT) | instid1(VALU_DEP_3)
	v_lshl_add_u32 v96, 0x100000, v87, -1
	v_lshrrev_b32_e32 v100, v87, v86
	v_lshlrev_b32_e64 v102, v87, 0x80000
	s_delay_alu instid0(VALU_DEP_4) | instskip(NEXT) | instid1(VALU_DEP_4)
	v_add_nc_u32_e32 v87, v87, v85
	v_and_b32_e32 v86, v96, v86
	s_delay_alu instid0(VALU_DEP_4) | instskip(NEXT) | instid1(VALU_DEP_2)
	v_bfe_u32 v101, v100, 20, 1
	v_cmp_eq_u32_e64 s7, v86, v102
	s_delay_alu instid0(VALU_DEP_2) | instskip(NEXT) | instid1(VALU_DEP_1)
	v_add_nc_u32_e32 v96, -1, v101
	v_cndmask_b32_e64 v86, 0, v96, s7
	v_lshrrev_b32_e32 v96, 23, v100
	s_mov_b32 s7, exec_lo
	s_delay_alu instid0(VALU_DEP_2) | instskip(NEXT) | instid1(VALU_DEP_2)
	v_add_nc_u32_e32 v86, v86, v100
	v_xor_b32_e32 v96, 1, v96
	s_delay_alu instid0(VALU_DEP_2) | instskip(NEXT) | instid1(VALU_DEP_1)
	v_and_b32_e32 v85, 0xfffff, v86
	v_add_nc_u32_e32 v86, v85, v100
                                        ; implicit-def: $vgpr85
	s_delay_alu instid0(VALU_DEP_3)
	v_cmpx_ne_u32_e64 v87, v96
	s_xor_b32 s7, exec_lo, s7
; %bb.3395:                             ;   in Loop: Header=BB2_3330 Depth=2
	s_delay_alu instid0(VALU_DEP_2) | instskip(SKIP_2) | instid1(VALU_DEP_2)
	v_cmp_lt_u32_e32 vcc_lo, 0xffffff, v86
	v_sub_nc_u32_e32 v85, v87, v96
	v_cndmask_b32_e64 v87, 0, 1, vcc_lo
	v_add_co_ci_u32_e32 v85, vcc_lo, 0, v85, vcc_lo
	s_delay_alu instid0(VALU_DEP_2)
	v_lshrrev_b32_e32 v86, v87, v86
; %bb.3396:                             ;   in Loop: Header=BB2_3330 Depth=2
	s_and_not1_saveexec_b32 s7, s7
; %bb.3397:                             ;   in Loop: Header=BB2_3330 Depth=2
	s_delay_alu instid0(VALU_DEP_1)
	v_bfe_u32 v85, v86, 23, 1
; %bb.3398:                             ;   in Loop: Header=BB2_3330 Depth=2
	s_or_b32 exec_lo, exec_lo, s7
	v_lshrrev_b32_e32 v86, 20, v86
	s_delay_alu instid0(VALU_DEP_2) | instskip(SKIP_2) | instid1(VALU_DEP_2)
	v_cmp_gt_i32_e32 vcc_lo, 16, v85
	v_lshrrev_b32_e32 v37, 24, v37
	v_min_i32_e32 v87, 15, v85
	v_dual_cndmask_b32 v86, 7, v86 :: v_dual_and_b32 v37, 0x80, v37
	s_delay_alu instid0(VALU_DEP_1) | instskip(SKIP_1) | instid1(VALU_DEP_2)
	v_or_b32_e32 v85, v85, v86
	v_and_b32_e32 v96, 7, v86
	v_cmp_ne_u32_e32 vcc_lo, 0, v85
	v_lshlrev_b32_e32 v87, 3, v87
	s_delay_alu instid0(VALU_DEP_1) | instskip(NEXT) | instid1(VALU_DEP_1)
	v_or3_b32 v37, v87, v37, v96
	v_cndmask_b32_e32 v96, 0, v37, vcc_lo
.LBB2_3399:                             ;   in Loop: Header=BB2_3330 Depth=2
	s_or_b32 exec_lo, exec_lo, s24
.LBB2_3400:                             ;   in Loop: Header=BB2_3330 Depth=2
	s_delay_alu instid0(SALU_CYCLE_1)
	s_or_b32 exec_lo, exec_lo, s23
	flat_load_u8 v37, v[10:11] offset:160 slc dlc
	s_mov_b32 s7, 0
	s_mov_b32 s24, exec_lo
                                        ; implicit-def: $sgpr23
	s_waitcnt vmcnt(0) lgkmcnt(0)
	v_cmpx_lt_i16_e32 0x7f, v37
	s_xor_b32 s24, exec_lo, s24
	s_cbranch_execnz .LBB2_3585
; %bb.3401:                             ;   in Loop: Header=BB2_3330 Depth=2
	s_or_saveexec_b32 s24, s24
	v_mov_b32_e32 v85, s23
	s_xor_b32 exec_lo, exec_lo, s24
	s_cbranch_execnz .LBB2_3588
.LBB2_3402:                             ;   in Loop: Header=BB2_3330 Depth=2
	s_or_b32 exec_lo, exec_lo, s24
	s_and_saveexec_b32 s23, s7
	s_cbranch_execz .LBB2_3404
.LBB2_3403:                             ;   in Loop: Header=BB2_3330 Depth=2
	v_and_b32_e32 v85, 0xffff, v37
	v_lshlrev_b32_e32 v37, 24, v37
	s_delay_alu instid0(VALU_DEP_2) | instskip(NEXT) | instid1(VALU_DEP_2)
	v_and_b32_e32 v86, 7, v85
	v_and_b32_e32 v37, 0x80000000, v37
	s_delay_alu instid0(VALU_DEP_2) | instskip(NEXT) | instid1(VALU_DEP_1)
	v_clz_i32_u32_e32 v87, v86
	v_min_u32_e32 v87, 32, v87
	s_delay_alu instid0(VALU_DEP_1) | instskip(SKIP_1) | instid1(VALU_DEP_2)
	v_subrev_nc_u32_e32 v100, 28, v87
	v_sub_nc_u32_e32 v87, 29, v87
	v_lshlrev_b32_e32 v100, v100, v85
	v_bfe_u32 v85, v85, 3, 4
	s_delay_alu instid0(VALU_DEP_2) | instskip(NEXT) | instid1(VALU_DEP_2)
	v_and_b32_e32 v100, 7, v100
	v_cmp_eq_u32_e32 vcc_lo, 0, v85
	s_delay_alu instid0(VALU_DEP_2) | instskip(NEXT) | instid1(VALU_DEP_1)
	v_dual_cndmask_b32 v85, v85, v87 :: v_dual_cndmask_b32 v86, v86, v100
	v_lshl_add_u32 v85, v85, 23, 0x3b800000
	s_delay_alu instid0(VALU_DEP_2) | instskip(NEXT) | instid1(VALU_DEP_1)
	v_lshlrev_b32_e32 v86, 20, v86
	v_or3_b32 v85, v37, v85, v86
.LBB2_3404:                             ;   in Loop: Header=BB2_3330 Depth=2
	s_or_b32 exec_lo, exec_lo, s23
	s_delay_alu instid0(VALU_DEP_1) | instskip(SKIP_1) | instid1(VALU_DEP_1)
	v_dual_mul_f32 v37, v38, v85 :: v_dual_mov_b32 v86, 0x80
	s_mov_b32 s23, exec_lo
	v_and_b32_e32 v85, 0x7f800000, v37
	s_delay_alu instid0(VALU_DEP_1)
	v_cmpx_ne_u32_e32 0x7f800000, v85
	s_cbranch_execz .LBB2_3412
; %bb.3405:                             ;   in Loop: Header=BB2_3330 Depth=2
	v_mov_b32_e32 v86, 0
	s_mov_b32 s24, exec_lo
	v_cmpx_ne_u32_e32 0, v37
	s_cbranch_execz .LBB2_3411
; %bb.3406:                             ;   in Loop: Header=BB2_3330 Depth=2
	v_bfe_u32 v85, v37, 23, 8
	s_delay_alu instid0(VALU_DEP_1) | instskip(SKIP_1) | instid1(VALU_DEP_2)
	v_sub_nc_u32_e32 v87, 0x78, v85
	v_cmp_gt_u32_e32 vcc_lo, 0x79, v85
	v_dual_cndmask_b32 v87, 0, v87 :: v_dual_and_b32 v86, 0x7fffff, v37
	s_delay_alu instid0(VALU_DEP_1) | instskip(SKIP_2) | instid1(VALU_DEP_4)
	v_or_b32_e32 v100, 0x800000, v86
	v_cmp_eq_u32_e32 vcc_lo, 0, v85
	v_add_nc_u32_e32 v85, 0xffffff89, v85
	v_cndmask_b32_e64 v87, v87, 0x77, vcc_lo
	s_delay_alu instid0(VALU_DEP_4) | instskip(NEXT) | instid1(VALU_DEP_3)
	v_cndmask_b32_e32 v86, v100, v86, vcc_lo
	v_cndmask_b32_e64 v85, v85, 0xffffff8a, vcc_lo
	s_delay_alu instid0(VALU_DEP_3) | instskip(NEXT) | instid1(VALU_DEP_3)
	v_lshl_add_u32 v100, 0x100000, v87, -1
	v_lshrrev_b32_e32 v101, v87, v86
	v_lshlrev_b32_e64 v103, v87, 0x80000
	s_delay_alu instid0(VALU_DEP_4) | instskip(NEXT) | instid1(VALU_DEP_4)
	v_add_nc_u32_e32 v87, v87, v85
	v_and_b32_e32 v86, v100, v86
	s_delay_alu instid0(VALU_DEP_4) | instskip(NEXT) | instid1(VALU_DEP_2)
	v_bfe_u32 v102, v101, 20, 1
	v_cmp_eq_u32_e64 s7, v86, v103
	s_delay_alu instid0(VALU_DEP_2) | instskip(NEXT) | instid1(VALU_DEP_1)
	v_add_nc_u32_e32 v100, -1, v102
	v_cndmask_b32_e64 v86, 0, v100, s7
	v_lshrrev_b32_e32 v100, 23, v101
	s_mov_b32 s7, exec_lo
	s_delay_alu instid0(VALU_DEP_2) | instskip(NEXT) | instid1(VALU_DEP_2)
	v_add_nc_u32_e32 v86, v86, v101
	v_xor_b32_e32 v100, 1, v100
	s_delay_alu instid0(VALU_DEP_2) | instskip(NEXT) | instid1(VALU_DEP_1)
	v_and_b32_e32 v85, 0xfffff, v86
	v_add_nc_u32_e32 v86, v85, v101
                                        ; implicit-def: $vgpr85
	s_delay_alu instid0(VALU_DEP_3)
	v_cmpx_ne_u32_e64 v87, v100
	s_xor_b32 s7, exec_lo, s7
; %bb.3407:                             ;   in Loop: Header=BB2_3330 Depth=2
	s_delay_alu instid0(VALU_DEP_2) | instskip(SKIP_2) | instid1(VALU_DEP_2)
	v_cmp_lt_u32_e32 vcc_lo, 0xffffff, v86
	v_sub_nc_u32_e32 v85, v87, v100
	v_cndmask_b32_e64 v87, 0, 1, vcc_lo
	v_add_co_ci_u32_e32 v85, vcc_lo, 0, v85, vcc_lo
	s_delay_alu instid0(VALU_DEP_2)
	v_lshrrev_b32_e32 v86, v87, v86
; %bb.3408:                             ;   in Loop: Header=BB2_3330 Depth=2
	s_and_not1_saveexec_b32 s7, s7
; %bb.3409:                             ;   in Loop: Header=BB2_3330 Depth=2
	s_delay_alu instid0(VALU_DEP_1)
	v_bfe_u32 v85, v86, 23, 1
; %bb.3410:                             ;   in Loop: Header=BB2_3330 Depth=2
	s_or_b32 exec_lo, exec_lo, s7
	v_lshrrev_b32_e32 v86, 20, v86
	s_delay_alu instid0(VALU_DEP_2) | instskip(SKIP_2) | instid1(VALU_DEP_2)
	v_cmp_gt_i32_e32 vcc_lo, 16, v85
	v_lshrrev_b32_e32 v37, 24, v37
	v_min_i32_e32 v87, 15, v85
	v_dual_cndmask_b32 v86, 7, v86 :: v_dual_and_b32 v37, 0x80, v37
	s_delay_alu instid0(VALU_DEP_1) | instskip(SKIP_1) | instid1(VALU_DEP_2)
	v_or_b32_e32 v85, v85, v86
	v_and_b32_e32 v100, 7, v86
	v_cmp_ne_u32_e32 vcc_lo, 0, v85
	v_lshlrev_b32_e32 v87, 3, v87
	s_delay_alu instid0(VALU_DEP_1) | instskip(NEXT) | instid1(VALU_DEP_1)
	v_or3_b32 v37, v87, v37, v100
	v_cndmask_b32_e32 v86, 0, v37, vcc_lo
.LBB2_3411:                             ;   in Loop: Header=BB2_3330 Depth=2
	s_or_b32 exec_lo, exec_lo, s24
.LBB2_3412:                             ;   in Loop: Header=BB2_3330 Depth=2
	s_delay_alu instid0(SALU_CYCLE_1)
	s_or_b32 exec_lo, exec_lo, s23
	flat_load_u8 v37, v[10:11] offset:192 slc dlc
	s_mov_b32 s7, 0
	s_mov_b32 s24, exec_lo
                                        ; implicit-def: $sgpr23
	s_waitcnt vmcnt(0) lgkmcnt(0)
	v_cmpx_lt_i16_e32 0x7f, v37
	s_xor_b32 s24, exec_lo, s24
	s_cbranch_execnz .LBB2_3589
; %bb.3413:                             ;   in Loop: Header=BB2_3330 Depth=2
	s_or_saveexec_b32 s24, s24
	v_mov_b32_e32 v85, s23
	s_xor_b32 exec_lo, exec_lo, s24
	s_cbranch_execnz .LBB2_3592
.LBB2_3414:                             ;   in Loop: Header=BB2_3330 Depth=2
	s_or_b32 exec_lo, exec_lo, s24
	s_and_saveexec_b32 s23, s7
	s_cbranch_execz .LBB2_3416
.LBB2_3415:                             ;   in Loop: Header=BB2_3330 Depth=2
	v_and_b32_e32 v85, 0xffff, v37
	v_lshlrev_b32_e32 v37, 24, v37
	s_delay_alu instid0(VALU_DEP_2) | instskip(NEXT) | instid1(VALU_DEP_2)
	v_and_b32_e32 v87, 7, v85
	v_and_b32_e32 v37, 0x80000000, v37
	s_delay_alu instid0(VALU_DEP_2) | instskip(NEXT) | instid1(VALU_DEP_1)
	v_clz_i32_u32_e32 v100, v87
	v_min_u32_e32 v100, 32, v100
	s_delay_alu instid0(VALU_DEP_1) | instskip(SKIP_1) | instid1(VALU_DEP_2)
	v_subrev_nc_u32_e32 v101, 28, v100
	v_sub_nc_u32_e32 v100, 29, v100
	v_lshlrev_b32_e32 v101, v101, v85
	v_bfe_u32 v85, v85, 3, 4
	s_delay_alu instid0(VALU_DEP_2) | instskip(NEXT) | instid1(VALU_DEP_2)
	v_and_b32_e32 v101, 7, v101
	v_cmp_eq_u32_e32 vcc_lo, 0, v85
	v_cndmask_b32_e32 v85, v85, v100, vcc_lo
	s_delay_alu instid0(VALU_DEP_3) | instskip(NEXT) | instid1(VALU_DEP_2)
	v_cndmask_b32_e32 v87, v87, v101, vcc_lo
	v_lshl_add_u32 v85, v85, 23, 0x3b800000
	s_delay_alu instid0(VALU_DEP_2) | instskip(NEXT) | instid1(VALU_DEP_1)
	v_lshlrev_b32_e32 v87, 20, v87
	v_or3_b32 v85, v37, v85, v87
.LBB2_3416:                             ;   in Loop: Header=BB2_3330 Depth=2
	s_or_b32 exec_lo, exec_lo, s23
	s_delay_alu instid0(VALU_DEP_1) | instskip(NEXT) | instid1(VALU_DEP_1)
	v_mul_f32_e32 v37, v38, v85
	v_and_b32_e32 v85, 0x7f800000, v37
	s_delay_alu instid0(VALU_DEP_1)
	v_cmp_ne_u32_e32 vcc_lo, 0x7f800000, v85
	v_mov_b32_e32 v85, 0x80
	s_and_saveexec_b32 s23, vcc_lo
	s_cbranch_execz .LBB2_3424
; %bb.3417:                             ;   in Loop: Header=BB2_3330 Depth=2
	v_mov_b32_e32 v85, 0
	s_mov_b32 s24, exec_lo
	v_cmpx_ne_u32_e32 0, v37
	s_cbranch_execz .LBB2_3423
; %bb.3418:                             ;   in Loop: Header=BB2_3330 Depth=2
	v_bfe_u32 v85, v37, 23, 8
	s_delay_alu instid0(VALU_DEP_1) | instskip(SKIP_1) | instid1(VALU_DEP_2)
	v_sub_nc_u32_e32 v100, 0x78, v85
	v_cmp_gt_u32_e32 vcc_lo, 0x79, v85
	v_dual_cndmask_b32 v100, 0, v100 :: v_dual_and_b32 v87, 0x7fffff, v37
	s_delay_alu instid0(VALU_DEP_1) | instskip(SKIP_2) | instid1(VALU_DEP_4)
	v_or_b32_e32 v101, 0x800000, v87
	v_cmp_eq_u32_e32 vcc_lo, 0, v85
	v_add_nc_u32_e32 v85, 0xffffff89, v85
	v_cndmask_b32_e64 v100, v100, 0x77, vcc_lo
	s_delay_alu instid0(VALU_DEP_2) | instskip(SKIP_1) | instid1(VALU_DEP_3)
	v_cndmask_b32_e64 v85, v85, 0xffffff8a, vcc_lo
	v_cndmask_b32_e32 v87, v101, v87, vcc_lo
	v_lshl_add_u32 v101, 0x100000, v100, -1
	v_lshlrev_b32_e64 v112, v100, 0x80000
	s_delay_alu instid0(VALU_DEP_3) | instskip(SKIP_1) | instid1(VALU_DEP_4)
	v_lshrrev_b32_e32 v102, v100, v87
	v_add_nc_u32_e32 v100, v100, v85
	v_and_b32_e32 v87, v101, v87
	s_delay_alu instid0(VALU_DEP_3) | instskip(NEXT) | instid1(VALU_DEP_2)
	v_bfe_u32 v103, v102, 20, 1
	v_cmp_eq_u32_e64 s7, v87, v112
	s_delay_alu instid0(VALU_DEP_2) | instskip(NEXT) | instid1(VALU_DEP_1)
	v_add_nc_u32_e32 v101, -1, v103
	v_cndmask_b32_e64 v87, 0, v101, s7
	v_lshrrev_b32_e32 v101, 23, v102
	s_mov_b32 s7, exec_lo
	s_delay_alu instid0(VALU_DEP_2) | instskip(NEXT) | instid1(VALU_DEP_2)
	v_add_nc_u32_e32 v87, v87, v102
	v_xor_b32_e32 v101, 1, v101
	s_delay_alu instid0(VALU_DEP_2) | instskip(NEXT) | instid1(VALU_DEP_1)
	v_and_b32_e32 v85, 0xfffff, v87
	v_add_nc_u32_e32 v87, v85, v102
                                        ; implicit-def: $vgpr85
	s_delay_alu instid0(VALU_DEP_3)
	v_cmpx_ne_u32_e64 v100, v101
	s_xor_b32 s7, exec_lo, s7
; %bb.3419:                             ;   in Loop: Header=BB2_3330 Depth=2
	s_delay_alu instid0(VALU_DEP_2) | instskip(SKIP_2) | instid1(VALU_DEP_2)
	v_cmp_lt_u32_e32 vcc_lo, 0xffffff, v87
	v_sub_nc_u32_e32 v85, v100, v101
	v_cndmask_b32_e64 v100, 0, 1, vcc_lo
	v_add_co_ci_u32_e32 v85, vcc_lo, 0, v85, vcc_lo
	s_delay_alu instid0(VALU_DEP_2)
	v_lshrrev_b32_e32 v87, v100, v87
; %bb.3420:                             ;   in Loop: Header=BB2_3330 Depth=2
	s_and_not1_saveexec_b32 s7, s7
; %bb.3421:                             ;   in Loop: Header=BB2_3330 Depth=2
	s_delay_alu instid0(VALU_DEP_1)
	v_bfe_u32 v85, v87, 23, 1
; %bb.3422:                             ;   in Loop: Header=BB2_3330 Depth=2
	s_or_b32 exec_lo, exec_lo, s7
	v_lshrrev_b32_e32 v87, 20, v87
	s_delay_alu instid0(VALU_DEP_2) | instskip(SKIP_2) | instid1(VALU_DEP_4)
	v_cmp_gt_i32_e32 vcc_lo, 16, v85
	v_lshrrev_b32_e32 v37, 24, v37
	v_min_i32_e32 v100, 15, v85
	v_cndmask_b32_e32 v87, 7, v87, vcc_lo
	s_delay_alu instid0(VALU_DEP_3) | instskip(NEXT) | instid1(VALU_DEP_3)
	v_and_b32_e32 v37, 0x80, v37
	v_lshlrev_b32_e32 v100, 3, v100
	s_delay_alu instid0(VALU_DEP_3) | instskip(SKIP_1) | instid1(VALU_DEP_2)
	v_and_b32_e32 v101, 7, v87
	v_or_b32_e32 v85, v85, v87
	v_or3_b32 v37, v100, v37, v101
	s_delay_alu instid0(VALU_DEP_2) | instskip(NEXT) | instid1(VALU_DEP_2)
	v_cmp_ne_u32_e32 vcc_lo, 0, v85
	v_cndmask_b32_e32 v85, 0, v37, vcc_lo
.LBB2_3423:                             ;   in Loop: Header=BB2_3330 Depth=2
	s_or_b32 exec_lo, exec_lo, s24
.LBB2_3424:                             ;   in Loop: Header=BB2_3330 Depth=2
	s_delay_alu instid0(SALU_CYCLE_1)
	s_or_b32 exec_lo, exec_lo, s23
	flat_load_u8 v37, v[10:11] offset:224 slc dlc
	s_mov_b32 s7, 0
	s_mov_b32 s24, exec_lo
                                        ; implicit-def: $sgpr23
	s_waitcnt vmcnt(0) lgkmcnt(0)
	v_cmpx_lt_i16_e32 0x7f, v37
	s_xor_b32 s24, exec_lo, s24
	s_cbranch_execnz .LBB2_3593
; %bb.3425:                             ;   in Loop: Header=BB2_3330 Depth=2
	s_or_saveexec_b32 s24, s24
	v_mov_b32_e32 v87, s23
	s_xor_b32 exec_lo, exec_lo, s24
	s_cbranch_execnz .LBB2_3596
.LBB2_3426:                             ;   in Loop: Header=BB2_3330 Depth=2
	s_or_b32 exec_lo, exec_lo, s24
	s_and_saveexec_b32 s23, s7
	s_cbranch_execz .LBB2_3428
.LBB2_3427:                             ;   in Loop: Header=BB2_3330 Depth=2
	v_and_b32_e32 v87, 0xffff, v37
	v_lshlrev_b32_e32 v37, 24, v37
	s_delay_alu instid0(VALU_DEP_2) | instskip(NEXT) | instid1(VALU_DEP_2)
	v_and_b32_e32 v100, 7, v87
	v_and_b32_e32 v37, 0x80000000, v37
	s_delay_alu instid0(VALU_DEP_2) | instskip(NEXT) | instid1(VALU_DEP_1)
	v_clz_i32_u32_e32 v101, v100
	v_min_u32_e32 v101, 32, v101
	s_delay_alu instid0(VALU_DEP_1) | instskip(SKIP_1) | instid1(VALU_DEP_2)
	v_subrev_nc_u32_e32 v102, 28, v101
	v_sub_nc_u32_e32 v101, 29, v101
	v_lshlrev_b32_e32 v102, v102, v87
	v_bfe_u32 v87, v87, 3, 4
	s_delay_alu instid0(VALU_DEP_2) | instskip(NEXT) | instid1(VALU_DEP_2)
	v_and_b32_e32 v102, 7, v102
	v_cmp_eq_u32_e32 vcc_lo, 0, v87
	s_delay_alu instid0(VALU_DEP_2) | instskip(NEXT) | instid1(VALU_DEP_1)
	v_dual_cndmask_b32 v87, v87, v101 :: v_dual_cndmask_b32 v100, v100, v102
	v_lshl_add_u32 v87, v87, 23, 0x3b800000
	s_delay_alu instid0(VALU_DEP_2) | instskip(NEXT) | instid1(VALU_DEP_1)
	v_lshlrev_b32_e32 v100, 20, v100
	v_or3_b32 v87, v37, v87, v100
.LBB2_3428:                             ;   in Loop: Header=BB2_3330 Depth=2
	s_or_b32 exec_lo, exec_lo, s23
	s_delay_alu instid0(VALU_DEP_1) | instskip(NEXT) | instid1(VALU_DEP_1)
	v_mul_f32_e32 v37, v38, v87
	v_and_b32_e32 v38, 0x7f800000, v37
	s_delay_alu instid0(VALU_DEP_1)
	v_cmp_ne_u32_e32 vcc_lo, 0x7f800000, v38
	v_mov_b32_e32 v38, 0x80
	s_and_saveexec_b32 s23, vcc_lo
	s_cbranch_execz .LBB2_3436
; %bb.3429:                             ;   in Loop: Header=BB2_3330 Depth=2
	v_mov_b32_e32 v38, 0
	s_mov_b32 s24, exec_lo
	v_cmpx_ne_u32_e32 0, v37
	s_cbranch_execz .LBB2_3435
; %bb.3430:                             ;   in Loop: Header=BB2_3330 Depth=2
	v_bfe_u32 v38, v37, 23, 8
	s_delay_alu instid0(VALU_DEP_1) | instskip(SKIP_1) | instid1(VALU_DEP_2)
	v_sub_nc_u32_e32 v100, 0x78, v38
	v_cmp_gt_u32_e32 vcc_lo, 0x79, v38
	v_dual_cndmask_b32 v100, 0, v100 :: v_dual_and_b32 v87, 0x7fffff, v37
	s_delay_alu instid0(VALU_DEP_1) | instskip(SKIP_2) | instid1(VALU_DEP_4)
	v_or_b32_e32 v101, 0x800000, v87
	v_cmp_eq_u32_e32 vcc_lo, 0, v38
	v_add_nc_u32_e32 v38, 0xffffff89, v38
	v_cndmask_b32_e64 v100, v100, 0x77, vcc_lo
	s_delay_alu instid0(VALU_DEP_4) | instskip(NEXT) | instid1(VALU_DEP_3)
	v_cndmask_b32_e32 v87, v101, v87, vcc_lo
	v_cndmask_b32_e64 v38, v38, 0xffffff8a, vcc_lo
	s_delay_alu instid0(VALU_DEP_3) | instskip(NEXT) | instid1(VALU_DEP_3)
	v_lshl_add_u32 v101, 0x100000, v100, -1
	v_lshrrev_b32_e32 v102, v100, v87
	v_lshlrev_b32_e64 v112, v100, 0x80000
	s_delay_alu instid0(VALU_DEP_4) | instskip(NEXT) | instid1(VALU_DEP_4)
	v_add_nc_u32_e32 v100, v100, v38
	v_and_b32_e32 v87, v101, v87
	s_delay_alu instid0(VALU_DEP_4) | instskip(NEXT) | instid1(VALU_DEP_2)
	v_bfe_u32 v103, v102, 20, 1
	v_cmp_eq_u32_e64 s7, v87, v112
	s_delay_alu instid0(VALU_DEP_2) | instskip(NEXT) | instid1(VALU_DEP_1)
	v_add_nc_u32_e32 v101, -1, v103
	v_cndmask_b32_e64 v87, 0, v101, s7
	v_lshrrev_b32_e32 v101, 23, v102
	s_mov_b32 s7, exec_lo
	s_delay_alu instid0(VALU_DEP_2) | instskip(NEXT) | instid1(VALU_DEP_2)
	v_add_nc_u32_e32 v87, v87, v102
	v_xor_b32_e32 v101, 1, v101
	s_delay_alu instid0(VALU_DEP_2) | instskip(NEXT) | instid1(VALU_DEP_1)
	v_and_b32_e32 v38, 0xfffff, v87
	v_add_nc_u32_e32 v87, v38, v102
                                        ; implicit-def: $vgpr38
	s_delay_alu instid0(VALU_DEP_3)
	v_cmpx_ne_u32_e64 v100, v101
	s_xor_b32 s7, exec_lo, s7
; %bb.3431:                             ;   in Loop: Header=BB2_3330 Depth=2
	s_delay_alu instid0(VALU_DEP_2) | instskip(SKIP_2) | instid1(VALU_DEP_2)
	v_cmp_lt_u32_e32 vcc_lo, 0xffffff, v87
	v_sub_nc_u32_e32 v38, v100, v101
	v_cndmask_b32_e64 v100, 0, 1, vcc_lo
	v_add_co_ci_u32_e32 v38, vcc_lo, 0, v38, vcc_lo
	s_delay_alu instid0(VALU_DEP_2)
	v_lshrrev_b32_e32 v87, v100, v87
; %bb.3432:                             ;   in Loop: Header=BB2_3330 Depth=2
	s_and_not1_saveexec_b32 s7, s7
; %bb.3433:                             ;   in Loop: Header=BB2_3330 Depth=2
	s_delay_alu instid0(VALU_DEP_1)
	v_bfe_u32 v38, v87, 23, 1
; %bb.3434:                             ;   in Loop: Header=BB2_3330 Depth=2
	s_or_b32 exec_lo, exec_lo, s7
	v_lshrrev_b32_e32 v87, 20, v87
	s_delay_alu instid0(VALU_DEP_2) | instskip(SKIP_2) | instid1(VALU_DEP_2)
	v_cmp_gt_i32_e32 vcc_lo, 16, v38
	v_min_i32_e32 v100, 15, v38
	v_lshrrev_b32_e32 v37, 24, v37
	v_dual_cndmask_b32 v87, 7, v87 :: v_dual_lshlrev_b32 v100, 3, v100
	s_delay_alu instid0(VALU_DEP_2) | instskip(NEXT) | instid1(VALU_DEP_2)
	v_and_b32_e32 v37, 0x80, v37
	v_or_b32_e32 v38, v38, v87
	s_delay_alu instid0(VALU_DEP_1) | instskip(SKIP_1) | instid1(VALU_DEP_1)
	v_cmp_ne_u32_e32 vcc_lo, 0, v38
	v_and_b32_e32 v101, 7, v87
	v_or3_b32 v37, v100, v37, v101
	s_delay_alu instid0(VALU_DEP_1)
	v_cndmask_b32_e32 v38, 0, v37, vcc_lo
.LBB2_3435:                             ;   in Loop: Header=BB2_3330 Depth=2
	s_or_b32 exec_lo, exec_lo, s24
.LBB2_3436:                             ;   in Loop: Header=BB2_3330 Depth=2
	s_delay_alu instid0(SALU_CYCLE_1)
	s_or_b32 exec_lo, exec_lo, s23
	s_clause 0x7
	flat_load_u8 v113, v[12:13] slc dlc
	flat_load_u8 v112, v[12:13] offset:32 slc dlc
	flat_load_u8 v103, v[12:13] offset:64 slc dlc
	flat_load_u8 v102, v[12:13] offset:96 slc dlc
	flat_load_u8 v101, v[12:13] offset:128 slc dlc
	flat_load_u8 v100, v[12:13] offset:160 slc dlc
	flat_load_u8 v87, v[12:13] offset:192 slc dlc
	flat_load_u8 v37, v[12:13] offset:224 slc dlc
	v_and_b32_e32 v115, 0xff, v84
	s_mov_b32 s7, 0
	s_mov_b32 s24, exec_lo
                                        ; implicit-def: $sgpr23
	s_delay_alu instid0(VALU_DEP_1)
	v_cmpx_lt_i16_e32 0x7f, v115
	s_xor_b32 s24, exec_lo, s24
	s_cbranch_execnz .LBB2_3597
; %bb.3437:                             ;   in Loop: Header=BB2_3330 Depth=2
	s_or_saveexec_b32 s24, s24
	v_mov_b32_e32 v114, s23
	s_xor_b32 exec_lo, exec_lo, s24
	s_cbranch_execnz .LBB2_3600
.LBB2_3438:                             ;   in Loop: Header=BB2_3330 Depth=2
	s_or_b32 exec_lo, exec_lo, s24
	s_and_saveexec_b32 s23, s7
	s_cbranch_execz .LBB2_3440
.LBB2_3439:                             ;   in Loop: Header=BB2_3330 Depth=2
	v_lshrrev_b16 v117, 3, v84
	s_delay_alu instid0(VALU_DEP_1) | instskip(NEXT) | instid1(VALU_DEP_1)
	v_and_b32_e32 v117, 15, v117
	v_cmp_eq_u32_e32 vcc_lo, 0, v117
	v_and_b32_e32 v114, 7, v84
	s_delay_alu instid0(VALU_DEP_1) | instskip(NEXT) | instid1(VALU_DEP_1)
	v_clz_i32_u32_e32 v115, v114
	v_min_u32_e32 v115, 32, v115
	s_delay_alu instid0(VALU_DEP_1) | instskip(SKIP_1) | instid1(VALU_DEP_1)
	v_subrev_nc_u32_e32 v116, 28, v115
	v_sub_nc_u32_e32 v115, 29, v115
	v_dual_cndmask_b32 v115, v117, v115 :: v_dual_lshlrev_b32 v116, v116, v84
	v_lshlrev_b32_e32 v84, 24, v84
	s_delay_alu instid0(VALU_DEP_2) | instskip(NEXT) | instid1(VALU_DEP_3)
	v_and_b32_e32 v116, 7, v116
	v_lshl_add_u32 v115, v115, 23, 0x3b800000
	s_delay_alu instid0(VALU_DEP_3) | instskip(NEXT) | instid1(VALU_DEP_3)
	v_and_b32_e32 v84, 0x80000000, v84
	v_cndmask_b32_e32 v114, v114, v116, vcc_lo
	s_delay_alu instid0(VALU_DEP_1) | instskip(NEXT) | instid1(VALU_DEP_1)
	v_lshlrev_b32_e32 v114, 20, v114
	v_or3_b32 v114, v84, v115, v114
.LBB2_3440:                             ;   in Loop: Header=BB2_3330 Depth=2
	s_or_b32 exec_lo, exec_lo, s23
	s_waitcnt vmcnt(7) lgkmcnt(7)
	v_and_b32_e32 v115, 0xff, v113
	s_mov_b32 s7, 0
	s_mov_b32 s24, exec_lo
                                        ; implicit-def: $sgpr23
	s_delay_alu instid0(VALU_DEP_1)
	v_cmpx_lt_i16_e32 0x7f, v115
	s_xor_b32 s24, exec_lo, s24
	s_cbranch_execnz .LBB2_3601
; %bb.3441:                             ;   in Loop: Header=BB2_3330 Depth=2
	s_or_saveexec_b32 s24, s24
	v_mov_b32_e32 v84, s23
	s_xor_b32 exec_lo, exec_lo, s24
	s_cbranch_execnz .LBB2_3604
.LBB2_3442:                             ;   in Loop: Header=BB2_3330 Depth=2
	s_or_b32 exec_lo, exec_lo, s24
	s_and_saveexec_b32 s23, s7
	s_cbranch_execz .LBB2_3444
.LBB2_3443:                             ;   in Loop: Header=BB2_3330 Depth=2
	v_lshrrev_b16 v117, 3, v113
	s_delay_alu instid0(VALU_DEP_1) | instskip(NEXT) | instid1(VALU_DEP_1)
	v_and_b32_e32 v117, 15, v117
	v_cmp_eq_u32_e32 vcc_lo, 0, v117
	v_and_b32_e32 v84, 7, v113
	s_delay_alu instid0(VALU_DEP_1) | instskip(NEXT) | instid1(VALU_DEP_1)
	v_clz_i32_u32_e32 v115, v84
	v_min_u32_e32 v115, 32, v115
	s_delay_alu instid0(VALU_DEP_1) | instskip(SKIP_1) | instid1(VALU_DEP_1)
	v_subrev_nc_u32_e32 v116, 28, v115
	v_sub_nc_u32_e32 v115, 29, v115
	v_dual_cndmask_b32 v115, v117, v115 :: v_dual_lshlrev_b32 v116, v116, v113
	v_lshlrev_b32_e32 v113, 24, v113
	s_delay_alu instid0(VALU_DEP_2) | instskip(NEXT) | instid1(VALU_DEP_3)
	v_and_b32_e32 v116, 7, v116
	v_lshl_add_u32 v115, v115, 23, 0x3b800000
	s_delay_alu instid0(VALU_DEP_2) | instskip(NEXT) | instid1(VALU_DEP_1)
	v_dual_cndmask_b32 v84, v84, v116 :: v_dual_and_b32 v113, 0x80000000, v113
	v_lshlrev_b32_e32 v84, 20, v84
	s_delay_alu instid0(VALU_DEP_1)
	v_or3_b32 v84, v113, v115, v84
.LBB2_3444:                             ;   in Loop: Header=BB2_3330 Depth=2
	s_or_b32 exec_lo, exec_lo, s23
	s_delay_alu instid0(VALU_DEP_1) | instskip(NEXT) | instid1(VALU_DEP_1)
	v_add_f32_e32 v113, v114, v84
	v_and_b32_e32 v84, 0x7f800000, v113
	s_delay_alu instid0(VALU_DEP_1)
	v_cmp_ne_u32_e32 vcc_lo, 0x7f800000, v84
	v_mov_b32_e32 v84, 0x80
	s_and_saveexec_b32 s23, vcc_lo
	s_cbranch_execz .LBB2_3452
; %bb.3445:                             ;   in Loop: Header=BB2_3330 Depth=2
	v_mov_b32_e32 v84, 0
	s_mov_b32 s24, exec_lo
	v_cmpx_ne_u32_e32 0, v113
	s_cbranch_execz .LBB2_3451
; %bb.3446:                             ;   in Loop: Header=BB2_3330 Depth=2
	v_bfe_u32 v84, v113, 23, 8
	s_delay_alu instid0(VALU_DEP_1) | instskip(SKIP_1) | instid1(VALU_DEP_2)
	v_sub_nc_u32_e32 v115, 0x78, v84
	v_cmp_gt_u32_e32 vcc_lo, 0x79, v84
	v_dual_cndmask_b32 v115, 0, v115 :: v_dual_and_b32 v114, 0x7fffff, v113
	s_delay_alu instid0(VALU_DEP_1) | instskip(SKIP_2) | instid1(VALU_DEP_4)
	v_or_b32_e32 v116, 0x800000, v114
	v_cmp_eq_u32_e32 vcc_lo, 0, v84
	v_add_nc_u32_e32 v84, 0xffffff89, v84
	v_cndmask_b32_e64 v115, v115, 0x77, vcc_lo
	s_delay_alu instid0(VALU_DEP_2) | instskip(SKIP_1) | instid1(VALU_DEP_3)
	v_cndmask_b32_e64 v84, v84, 0xffffff8a, vcc_lo
	v_cndmask_b32_e32 v114, v116, v114, vcc_lo
	v_lshl_add_u32 v116, 0x100000, v115, -1
	v_lshlrev_b32_e64 v119, v115, 0x80000
	s_delay_alu instid0(VALU_DEP_3) | instskip(SKIP_1) | instid1(VALU_DEP_4)
	v_lshrrev_b32_e32 v117, v115, v114
	v_add_nc_u32_e32 v115, v115, v84
	v_and_b32_e32 v114, v116, v114
	s_delay_alu instid0(VALU_DEP_3) | instskip(NEXT) | instid1(VALU_DEP_2)
	v_bfe_u32 v118, v117, 20, 1
	v_cmp_eq_u32_e64 s7, v114, v119
	s_delay_alu instid0(VALU_DEP_2) | instskip(NEXT) | instid1(VALU_DEP_1)
	v_add_nc_u32_e32 v116, -1, v118
	v_cndmask_b32_e64 v114, 0, v116, s7
	v_lshrrev_b32_e32 v116, 23, v117
	s_mov_b32 s7, exec_lo
	s_delay_alu instid0(VALU_DEP_2) | instskip(NEXT) | instid1(VALU_DEP_2)
	v_add_nc_u32_e32 v114, v114, v117
	v_xor_b32_e32 v116, 1, v116
	s_delay_alu instid0(VALU_DEP_2) | instskip(NEXT) | instid1(VALU_DEP_1)
	v_and_b32_e32 v84, 0xfffff, v114
	v_add_nc_u32_e32 v114, v84, v117
                                        ; implicit-def: $vgpr84
	s_delay_alu instid0(VALU_DEP_3)
	v_cmpx_ne_u32_e64 v115, v116
	s_xor_b32 s7, exec_lo, s7
; %bb.3447:                             ;   in Loop: Header=BB2_3330 Depth=2
	s_delay_alu instid0(VALU_DEP_2) | instskip(SKIP_2) | instid1(VALU_DEP_2)
	v_cmp_lt_u32_e32 vcc_lo, 0xffffff, v114
	v_sub_nc_u32_e32 v84, v115, v116
	v_cndmask_b32_e64 v115, 0, 1, vcc_lo
	v_add_co_ci_u32_e32 v84, vcc_lo, 0, v84, vcc_lo
	s_delay_alu instid0(VALU_DEP_2)
	v_lshrrev_b32_e32 v114, v115, v114
; %bb.3448:                             ;   in Loop: Header=BB2_3330 Depth=2
	s_and_not1_saveexec_b32 s7, s7
; %bb.3449:                             ;   in Loop: Header=BB2_3330 Depth=2
	s_delay_alu instid0(VALU_DEP_1)
	v_bfe_u32 v84, v114, 23, 1
; %bb.3450:                             ;   in Loop: Header=BB2_3330 Depth=2
	s_or_b32 exec_lo, exec_lo, s7
	v_lshrrev_b32_e32 v114, 20, v114
	s_delay_alu instid0(VALU_DEP_2) | instskip(SKIP_2) | instid1(VALU_DEP_2)
	v_cmp_gt_i32_e32 vcc_lo, 16, v84
	v_lshrrev_b32_e32 v113, 24, v113
	v_min_i32_e32 v115, 15, v84
	v_dual_cndmask_b32 v114, 7, v114 :: v_dual_and_b32 v113, 0x80, v113
	s_delay_alu instid0(VALU_DEP_1) | instskip(SKIP_1) | instid1(VALU_DEP_2)
	v_or_b32_e32 v84, v84, v114
	v_and_b32_e32 v116, 7, v114
	v_cmp_ne_u32_e32 vcc_lo, 0, v84
	v_lshlrev_b32_e32 v115, 3, v115
	s_delay_alu instid0(VALU_DEP_1) | instskip(NEXT) | instid1(VALU_DEP_1)
	v_or3_b32 v113, v115, v113, v116
	v_cndmask_b32_e32 v84, 0, v113, vcc_lo
.LBB2_3451:                             ;   in Loop: Header=BB2_3330 Depth=2
	s_or_b32 exec_lo, exec_lo, s24
.LBB2_3452:                             ;   in Loop: Header=BB2_3330 Depth=2
	s_delay_alu instid0(SALU_CYCLE_1) | instskip(SKIP_3) | instid1(VALU_DEP_1)
	s_or_b32 exec_lo, exec_lo, s23
	v_and_b32_e32 v114, 0xff, v97
	s_mov_b32 s7, 0
	s_mov_b32 s24, exec_lo
                                        ; implicit-def: $sgpr23
	v_cmpx_lt_i16_e32 0x7f, v114
	s_xor_b32 s24, exec_lo, s24
	s_cbranch_execnz .LBB2_3605
; %bb.3453:                             ;   in Loop: Header=BB2_3330 Depth=2
	s_or_saveexec_b32 s24, s24
	v_mov_b32_e32 v113, s23
	s_xor_b32 exec_lo, exec_lo, s24
	s_cbranch_execnz .LBB2_3608
.LBB2_3454:                             ;   in Loop: Header=BB2_3330 Depth=2
	s_or_b32 exec_lo, exec_lo, s24
	s_and_saveexec_b32 s23, s7
	s_cbranch_execz .LBB2_3456
.LBB2_3455:                             ;   in Loop: Header=BB2_3330 Depth=2
	v_lshrrev_b16 v116, 3, v97
	s_delay_alu instid0(VALU_DEP_1) | instskip(NEXT) | instid1(VALU_DEP_1)
	v_and_b32_e32 v116, 15, v116
	v_cmp_eq_u32_e32 vcc_lo, 0, v116
	v_and_b32_e32 v113, 7, v97
	s_delay_alu instid0(VALU_DEP_1) | instskip(NEXT) | instid1(VALU_DEP_1)
	v_clz_i32_u32_e32 v114, v113
	v_min_u32_e32 v114, 32, v114
	s_delay_alu instid0(VALU_DEP_1) | instskip(SKIP_1) | instid1(VALU_DEP_1)
	v_subrev_nc_u32_e32 v115, 28, v114
	v_sub_nc_u32_e32 v114, 29, v114
	v_dual_cndmask_b32 v114, v116, v114 :: v_dual_lshlrev_b32 v115, v115, v97
	v_lshlrev_b32_e32 v97, 24, v97
	s_delay_alu instid0(VALU_DEP_2) | instskip(NEXT) | instid1(VALU_DEP_3)
	v_and_b32_e32 v115, 7, v115
	v_lshl_add_u32 v114, v114, 23, 0x3b800000
	s_delay_alu instid0(VALU_DEP_3) | instskip(NEXT) | instid1(VALU_DEP_3)
	v_and_b32_e32 v97, 0x80000000, v97
	v_cndmask_b32_e32 v113, v113, v115, vcc_lo
	s_delay_alu instid0(VALU_DEP_1) | instskip(NEXT) | instid1(VALU_DEP_1)
	v_lshlrev_b32_e32 v113, 20, v113
	v_or3_b32 v113, v97, v114, v113
.LBB2_3456:                             ;   in Loop: Header=BB2_3330 Depth=2
	s_or_b32 exec_lo, exec_lo, s23
	s_waitcnt vmcnt(6) lgkmcnt(6)
	v_and_b32_e32 v114, 0xff, v112
	s_mov_b32 s7, 0
	s_mov_b32 s24, exec_lo
                                        ; implicit-def: $sgpr23
	s_delay_alu instid0(VALU_DEP_1)
	v_cmpx_lt_i16_e32 0x7f, v114
	s_xor_b32 s24, exec_lo, s24
	s_cbranch_execnz .LBB2_3609
; %bb.3457:                             ;   in Loop: Header=BB2_3330 Depth=2
	s_or_saveexec_b32 s24, s24
	v_mov_b32_e32 v97, s23
	s_xor_b32 exec_lo, exec_lo, s24
	s_cbranch_execnz .LBB2_3612
.LBB2_3458:                             ;   in Loop: Header=BB2_3330 Depth=2
	s_or_b32 exec_lo, exec_lo, s24
	s_and_saveexec_b32 s23, s7
	s_cbranch_execz .LBB2_3460
.LBB2_3459:                             ;   in Loop: Header=BB2_3330 Depth=2
	v_lshrrev_b16 v116, 3, v112
	s_delay_alu instid0(VALU_DEP_1) | instskip(NEXT) | instid1(VALU_DEP_1)
	v_and_b32_e32 v116, 15, v116
	v_cmp_eq_u32_e32 vcc_lo, 0, v116
	v_and_b32_e32 v97, 7, v112
	s_delay_alu instid0(VALU_DEP_1) | instskip(NEXT) | instid1(VALU_DEP_1)
	v_clz_i32_u32_e32 v114, v97
	v_min_u32_e32 v114, 32, v114
	s_delay_alu instid0(VALU_DEP_1) | instskip(SKIP_1) | instid1(VALU_DEP_1)
	v_subrev_nc_u32_e32 v115, 28, v114
	v_sub_nc_u32_e32 v114, 29, v114
	v_dual_cndmask_b32 v114, v116, v114 :: v_dual_lshlrev_b32 v115, v115, v112
	v_lshlrev_b32_e32 v112, 24, v112
	s_delay_alu instid0(VALU_DEP_2) | instskip(NEXT) | instid1(VALU_DEP_3)
	v_and_b32_e32 v115, 7, v115
	v_lshl_add_u32 v114, v114, 23, 0x3b800000
	s_delay_alu instid0(VALU_DEP_2) | instskip(NEXT) | instid1(VALU_DEP_1)
	v_dual_cndmask_b32 v97, v97, v115 :: v_dual_and_b32 v112, 0x80000000, v112
	v_lshlrev_b32_e32 v97, 20, v97
	s_delay_alu instid0(VALU_DEP_1)
	v_or3_b32 v97, v112, v114, v97
.LBB2_3460:                             ;   in Loop: Header=BB2_3330 Depth=2
	s_or_b32 exec_lo, exec_lo, s23
	s_delay_alu instid0(VALU_DEP_1) | instskip(NEXT) | instid1(VALU_DEP_1)
	v_add_f32_e32 v112, v113, v97
	v_and_b32_e32 v97, 0x7f800000, v112
	s_delay_alu instid0(VALU_DEP_1)
	v_cmp_ne_u32_e32 vcc_lo, 0x7f800000, v97
	v_mov_b32_e32 v97, 0x80
	s_and_saveexec_b32 s23, vcc_lo
	s_cbranch_execz .LBB2_3468
; %bb.3461:                             ;   in Loop: Header=BB2_3330 Depth=2
	v_mov_b32_e32 v97, 0
	s_mov_b32 s24, exec_lo
	v_cmpx_ne_u32_e32 0, v112
	s_cbranch_execz .LBB2_3467
; %bb.3462:                             ;   in Loop: Header=BB2_3330 Depth=2
	v_bfe_u32 v97, v112, 23, 8
	s_delay_alu instid0(VALU_DEP_1) | instskip(SKIP_1) | instid1(VALU_DEP_2)
	v_sub_nc_u32_e32 v114, 0x78, v97
	v_cmp_gt_u32_e32 vcc_lo, 0x79, v97
	v_dual_cndmask_b32 v114, 0, v114 :: v_dual_and_b32 v113, 0x7fffff, v112
	s_delay_alu instid0(VALU_DEP_1) | instskip(SKIP_2) | instid1(VALU_DEP_4)
	v_or_b32_e32 v115, 0x800000, v113
	v_cmp_eq_u32_e32 vcc_lo, 0, v97
	v_add_nc_u32_e32 v97, 0xffffff89, v97
	v_cndmask_b32_e64 v114, v114, 0x77, vcc_lo
	s_delay_alu instid0(VALU_DEP_4) | instskip(NEXT) | instid1(VALU_DEP_3)
	v_cndmask_b32_e32 v113, v115, v113, vcc_lo
	v_cndmask_b32_e64 v97, v97, 0xffffff8a, vcc_lo
	s_delay_alu instid0(VALU_DEP_3) | instskip(NEXT) | instid1(VALU_DEP_3)
	v_lshl_add_u32 v115, 0x100000, v114, -1
	v_lshrrev_b32_e32 v116, v114, v113
	v_lshlrev_b32_e64 v118, v114, 0x80000
	s_delay_alu instid0(VALU_DEP_4) | instskip(NEXT) | instid1(VALU_DEP_4)
	v_add_nc_u32_e32 v114, v114, v97
	v_and_b32_e32 v113, v115, v113
	s_delay_alu instid0(VALU_DEP_4) | instskip(NEXT) | instid1(VALU_DEP_2)
	v_bfe_u32 v117, v116, 20, 1
	v_cmp_eq_u32_e64 s7, v113, v118
	s_delay_alu instid0(VALU_DEP_2) | instskip(NEXT) | instid1(VALU_DEP_1)
	v_add_nc_u32_e32 v115, -1, v117
	v_cndmask_b32_e64 v113, 0, v115, s7
	v_lshrrev_b32_e32 v115, 23, v116
	s_mov_b32 s7, exec_lo
	s_delay_alu instid0(VALU_DEP_2) | instskip(NEXT) | instid1(VALU_DEP_2)
	v_add_nc_u32_e32 v113, v113, v116
	v_xor_b32_e32 v115, 1, v115
	s_delay_alu instid0(VALU_DEP_2) | instskip(NEXT) | instid1(VALU_DEP_1)
	v_and_b32_e32 v97, 0xfffff, v113
	v_add_nc_u32_e32 v113, v97, v116
                                        ; implicit-def: $vgpr97
	s_delay_alu instid0(VALU_DEP_3)
	v_cmpx_ne_u32_e64 v114, v115
	s_xor_b32 s7, exec_lo, s7
; %bb.3463:                             ;   in Loop: Header=BB2_3330 Depth=2
	s_delay_alu instid0(VALU_DEP_2) | instskip(SKIP_2) | instid1(VALU_DEP_2)
	v_cmp_lt_u32_e32 vcc_lo, 0xffffff, v113
	v_sub_nc_u32_e32 v97, v114, v115
	v_cndmask_b32_e64 v114, 0, 1, vcc_lo
	v_add_co_ci_u32_e32 v97, vcc_lo, 0, v97, vcc_lo
	s_delay_alu instid0(VALU_DEP_2)
	v_lshrrev_b32_e32 v113, v114, v113
; %bb.3464:                             ;   in Loop: Header=BB2_3330 Depth=2
	s_and_not1_saveexec_b32 s7, s7
; %bb.3465:                             ;   in Loop: Header=BB2_3330 Depth=2
	s_delay_alu instid0(VALU_DEP_1)
	v_bfe_u32 v97, v113, 23, 1
; %bb.3466:                             ;   in Loop: Header=BB2_3330 Depth=2
	s_or_b32 exec_lo, exec_lo, s7
	v_lshrrev_b32_e32 v113, 20, v113
	s_delay_alu instid0(VALU_DEP_2) | instskip(SKIP_2) | instid1(VALU_DEP_2)
	v_cmp_gt_i32_e32 vcc_lo, 16, v97
	v_lshrrev_b32_e32 v112, 24, v112
	v_min_i32_e32 v114, 15, v97
	v_dual_cndmask_b32 v113, 7, v113 :: v_dual_and_b32 v112, 0x80, v112
	s_delay_alu instid0(VALU_DEP_1) | instskip(SKIP_1) | instid1(VALU_DEP_2)
	v_or_b32_e32 v97, v97, v113
	v_and_b32_e32 v115, 7, v113
	v_cmp_ne_u32_e32 vcc_lo, 0, v97
	v_lshlrev_b32_e32 v114, 3, v114
	s_delay_alu instid0(VALU_DEP_1) | instskip(NEXT) | instid1(VALU_DEP_1)
	v_or3_b32 v112, v114, v112, v115
	v_cndmask_b32_e32 v97, 0, v112, vcc_lo
.LBB2_3467:                             ;   in Loop: Header=BB2_3330 Depth=2
	s_or_b32 exec_lo, exec_lo, s24
.LBB2_3468:                             ;   in Loop: Header=BB2_3330 Depth=2
	s_delay_alu instid0(SALU_CYCLE_1) | instskip(SKIP_3) | instid1(VALU_DEP_1)
	s_or_b32 exec_lo, exec_lo, s23
	v_and_b32_e32 v113, 0xff, v99
	s_mov_b32 s7, 0
	s_mov_b32 s24, exec_lo
                                        ; implicit-def: $sgpr23
	v_cmpx_lt_i16_e32 0x7f, v113
	s_xor_b32 s24, exec_lo, s24
	s_cbranch_execnz .LBB2_3613
; %bb.3469:                             ;   in Loop: Header=BB2_3330 Depth=2
	s_or_saveexec_b32 s24, s24
	v_mov_b32_e32 v112, s23
	s_xor_b32 exec_lo, exec_lo, s24
	s_cbranch_execnz .LBB2_3616
.LBB2_3470:                             ;   in Loop: Header=BB2_3330 Depth=2
	s_or_b32 exec_lo, exec_lo, s24
	s_and_saveexec_b32 s23, s7
	s_cbranch_execz .LBB2_3472
.LBB2_3471:                             ;   in Loop: Header=BB2_3330 Depth=2
	v_lshrrev_b16 v115, 3, v99
	s_delay_alu instid0(VALU_DEP_1) | instskip(NEXT) | instid1(VALU_DEP_1)
	v_and_b32_e32 v115, 15, v115
	v_cmp_eq_u32_e32 vcc_lo, 0, v115
	v_and_b32_e32 v112, 7, v99
	s_delay_alu instid0(VALU_DEP_1) | instskip(NEXT) | instid1(VALU_DEP_1)
	v_clz_i32_u32_e32 v113, v112
	v_min_u32_e32 v113, 32, v113
	s_delay_alu instid0(VALU_DEP_1) | instskip(SKIP_1) | instid1(VALU_DEP_1)
	v_subrev_nc_u32_e32 v114, 28, v113
	v_sub_nc_u32_e32 v113, 29, v113
	v_dual_cndmask_b32 v113, v115, v113 :: v_dual_lshlrev_b32 v114, v114, v99
	v_lshlrev_b32_e32 v99, 24, v99
	s_delay_alu instid0(VALU_DEP_2) | instskip(NEXT) | instid1(VALU_DEP_3)
	v_and_b32_e32 v114, 7, v114
	v_lshl_add_u32 v113, v113, 23, 0x3b800000
	s_delay_alu instid0(VALU_DEP_2) | instskip(NEXT) | instid1(VALU_DEP_1)
	v_dual_cndmask_b32 v112, v112, v114 :: v_dual_and_b32 v99, 0x80000000, v99
	v_lshlrev_b32_e32 v112, 20, v112
	s_delay_alu instid0(VALU_DEP_1)
	v_or3_b32 v112, v99, v113, v112
.LBB2_3472:                             ;   in Loop: Header=BB2_3330 Depth=2
	s_or_b32 exec_lo, exec_lo, s23
	s_waitcnt vmcnt(5) lgkmcnt(5)
	v_and_b32_e32 v113, 0xff, v103
	s_mov_b32 s7, 0
	s_mov_b32 s24, exec_lo
                                        ; implicit-def: $sgpr23
	s_delay_alu instid0(VALU_DEP_1)
	v_cmpx_lt_i16_e32 0x7f, v113
	s_xor_b32 s24, exec_lo, s24
	s_cbranch_execnz .LBB2_3617
; %bb.3473:                             ;   in Loop: Header=BB2_3330 Depth=2
	s_or_saveexec_b32 s24, s24
	v_mov_b32_e32 v99, s23
	s_xor_b32 exec_lo, exec_lo, s24
	s_cbranch_execnz .LBB2_3620
.LBB2_3474:                             ;   in Loop: Header=BB2_3330 Depth=2
	s_or_b32 exec_lo, exec_lo, s24
	s_and_saveexec_b32 s23, s7
	s_cbranch_execz .LBB2_3476
.LBB2_3475:                             ;   in Loop: Header=BB2_3330 Depth=2
	v_and_b32_e32 v99, 7, v103
	v_lshrrev_b16 v115, 3, v103
	s_delay_alu instid0(VALU_DEP_2) | instskip(NEXT) | instid1(VALU_DEP_2)
	v_clz_i32_u32_e32 v113, v99
	v_and_b32_e32 v115, 15, v115
	s_delay_alu instid0(VALU_DEP_2) | instskip(NEXT) | instid1(VALU_DEP_2)
	v_min_u32_e32 v113, 32, v113
	v_cmp_eq_u32_e32 vcc_lo, 0, v115
	s_delay_alu instid0(VALU_DEP_2) | instskip(SKIP_1) | instid1(VALU_DEP_1)
	v_subrev_nc_u32_e32 v114, 28, v113
	v_sub_nc_u32_e32 v113, 29, v113
	v_dual_cndmask_b32 v113, v115, v113 :: v_dual_lshlrev_b32 v114, v114, v103
	v_lshlrev_b32_e32 v103, 24, v103
	s_delay_alu instid0(VALU_DEP_2) | instskip(NEXT) | instid1(VALU_DEP_3)
	v_and_b32_e32 v114, 7, v114
	v_lshl_add_u32 v113, v113, 23, 0x3b800000
	s_delay_alu instid0(VALU_DEP_3) | instskip(NEXT) | instid1(VALU_DEP_3)
	v_and_b32_e32 v103, 0x80000000, v103
	v_cndmask_b32_e32 v99, v99, v114, vcc_lo
	s_delay_alu instid0(VALU_DEP_1) | instskip(NEXT) | instid1(VALU_DEP_1)
	v_lshlrev_b32_e32 v99, 20, v99
	v_or3_b32 v99, v103, v113, v99
.LBB2_3476:                             ;   in Loop: Header=BB2_3330 Depth=2
	s_or_b32 exec_lo, exec_lo, s23
	s_delay_alu instid0(VALU_DEP_1) | instskip(NEXT) | instid1(VALU_DEP_1)
	v_add_f32_e32 v103, v112, v99
	v_and_b32_e32 v99, 0x7f800000, v103
	s_delay_alu instid0(VALU_DEP_1)
	v_cmp_ne_u32_e32 vcc_lo, 0x7f800000, v99
	v_mov_b32_e32 v99, 0x80
	s_and_saveexec_b32 s23, vcc_lo
	s_cbranch_execz .LBB2_3484
; %bb.3477:                             ;   in Loop: Header=BB2_3330 Depth=2
	v_mov_b32_e32 v99, 0
	s_mov_b32 s24, exec_lo
	v_cmpx_ne_u32_e32 0, v103
	s_cbranch_execz .LBB2_3483
; %bb.3478:                             ;   in Loop: Header=BB2_3330 Depth=2
	v_bfe_u32 v99, v103, 23, 8
	s_delay_alu instid0(VALU_DEP_1) | instskip(SKIP_1) | instid1(VALU_DEP_2)
	v_sub_nc_u32_e32 v113, 0x78, v99
	v_cmp_gt_u32_e32 vcc_lo, 0x79, v99
	v_dual_cndmask_b32 v113, 0, v113 :: v_dual_and_b32 v112, 0x7fffff, v103
	s_delay_alu instid0(VALU_DEP_1) | instskip(SKIP_2) | instid1(VALU_DEP_4)
	v_or_b32_e32 v114, 0x800000, v112
	v_cmp_eq_u32_e32 vcc_lo, 0, v99
	v_add_nc_u32_e32 v99, 0xffffff89, v99
	v_cndmask_b32_e64 v113, v113, 0x77, vcc_lo
	s_delay_alu instid0(VALU_DEP_4) | instskip(NEXT) | instid1(VALU_DEP_3)
	v_cndmask_b32_e32 v112, v114, v112, vcc_lo
	v_cndmask_b32_e64 v99, v99, 0xffffff8a, vcc_lo
	s_delay_alu instid0(VALU_DEP_3) | instskip(NEXT) | instid1(VALU_DEP_3)
	v_lshl_add_u32 v114, 0x100000, v113, -1
	v_lshrrev_b32_e32 v115, v113, v112
	v_lshlrev_b32_e64 v117, v113, 0x80000
	s_delay_alu instid0(VALU_DEP_4) | instskip(NEXT) | instid1(VALU_DEP_4)
	v_add_nc_u32_e32 v113, v113, v99
	v_and_b32_e32 v112, v114, v112
	s_delay_alu instid0(VALU_DEP_4) | instskip(NEXT) | instid1(VALU_DEP_2)
	v_bfe_u32 v116, v115, 20, 1
	v_cmp_eq_u32_e64 s7, v112, v117
	s_delay_alu instid0(VALU_DEP_2) | instskip(NEXT) | instid1(VALU_DEP_1)
	v_add_nc_u32_e32 v114, -1, v116
	v_cndmask_b32_e64 v112, 0, v114, s7
	v_lshrrev_b32_e32 v114, 23, v115
	s_mov_b32 s7, exec_lo
	s_delay_alu instid0(VALU_DEP_2) | instskip(NEXT) | instid1(VALU_DEP_2)
	v_add_nc_u32_e32 v112, v112, v115
	v_xor_b32_e32 v114, 1, v114
	s_delay_alu instid0(VALU_DEP_2) | instskip(NEXT) | instid1(VALU_DEP_1)
	v_and_b32_e32 v99, 0xfffff, v112
	v_add_nc_u32_e32 v112, v99, v115
                                        ; implicit-def: $vgpr99
	s_delay_alu instid0(VALU_DEP_3)
	v_cmpx_ne_u32_e64 v113, v114
	s_xor_b32 s7, exec_lo, s7
; %bb.3479:                             ;   in Loop: Header=BB2_3330 Depth=2
	s_delay_alu instid0(VALU_DEP_2) | instskip(SKIP_2) | instid1(VALU_DEP_2)
	v_cmp_lt_u32_e32 vcc_lo, 0xffffff, v112
	v_sub_nc_u32_e32 v99, v113, v114
	v_cndmask_b32_e64 v113, 0, 1, vcc_lo
	v_add_co_ci_u32_e32 v99, vcc_lo, 0, v99, vcc_lo
	s_delay_alu instid0(VALU_DEP_2)
	v_lshrrev_b32_e32 v112, v113, v112
; %bb.3480:                             ;   in Loop: Header=BB2_3330 Depth=2
	s_and_not1_saveexec_b32 s7, s7
; %bb.3481:                             ;   in Loop: Header=BB2_3330 Depth=2
	s_delay_alu instid0(VALU_DEP_1)
	v_bfe_u32 v99, v112, 23, 1
; %bb.3482:                             ;   in Loop: Header=BB2_3330 Depth=2
	s_or_b32 exec_lo, exec_lo, s7
	v_lshrrev_b32_e32 v112, 20, v112
	s_delay_alu instid0(VALU_DEP_2) | instskip(SKIP_2) | instid1(VALU_DEP_2)
	v_cmp_gt_i32_e32 vcc_lo, 16, v99
	v_lshrrev_b32_e32 v103, 24, v103
	v_min_i32_e32 v113, 15, v99
	v_dual_cndmask_b32 v112, 7, v112 :: v_dual_and_b32 v103, 0x80, v103
	s_delay_alu instid0(VALU_DEP_2) | instskip(NEXT) | instid1(VALU_DEP_2)
	v_lshlrev_b32_e32 v113, 3, v113
	v_or_b32_e32 v99, v99, v112
	s_delay_alu instid0(VALU_DEP_1) | instskip(SKIP_1) | instid1(VALU_DEP_1)
	v_cmp_ne_u32_e32 vcc_lo, 0, v99
	v_and_b32_e32 v114, 7, v112
	v_or3_b32 v103, v113, v103, v114
	s_delay_alu instid0(VALU_DEP_1)
	v_cndmask_b32_e32 v99, 0, v103, vcc_lo
.LBB2_3483:                             ;   in Loop: Header=BB2_3330 Depth=2
	s_or_b32 exec_lo, exec_lo, s24
.LBB2_3484:                             ;   in Loop: Header=BB2_3330 Depth=2
	s_delay_alu instid0(SALU_CYCLE_1) | instskip(SKIP_3) | instid1(VALU_DEP_1)
	s_or_b32 exec_lo, exec_lo, s23
	v_and_b32_e32 v112, 0xff, v98
	s_mov_b32 s7, 0
	s_mov_b32 s24, exec_lo
                                        ; implicit-def: $sgpr23
	v_cmpx_lt_i16_e32 0x7f, v112
	s_xor_b32 s24, exec_lo, s24
	s_cbranch_execnz .LBB2_3621
; %bb.3485:                             ;   in Loop: Header=BB2_3330 Depth=2
	s_or_saveexec_b32 s24, s24
	v_mov_b32_e32 v103, s23
	s_xor_b32 exec_lo, exec_lo, s24
	s_cbranch_execnz .LBB2_3624
.LBB2_3486:                             ;   in Loop: Header=BB2_3330 Depth=2
	s_or_b32 exec_lo, exec_lo, s24
	s_and_saveexec_b32 s23, s7
	s_cbranch_execz .LBB2_3488
.LBB2_3487:                             ;   in Loop: Header=BB2_3330 Depth=2
	v_lshrrev_b16 v114, 3, v98
	s_delay_alu instid0(VALU_DEP_1) | instskip(NEXT) | instid1(VALU_DEP_1)
	v_and_b32_e32 v114, 15, v114
	v_cmp_eq_u32_e32 vcc_lo, 0, v114
	v_and_b32_e32 v103, 7, v98
	s_delay_alu instid0(VALU_DEP_1) | instskip(NEXT) | instid1(VALU_DEP_1)
	v_clz_i32_u32_e32 v112, v103
	v_min_u32_e32 v112, 32, v112
	s_delay_alu instid0(VALU_DEP_1) | instskip(SKIP_1) | instid1(VALU_DEP_1)
	v_subrev_nc_u32_e32 v113, 28, v112
	v_sub_nc_u32_e32 v112, 29, v112
	v_dual_cndmask_b32 v112, v114, v112 :: v_dual_lshlrev_b32 v113, v113, v98
	v_lshlrev_b32_e32 v98, 24, v98
	s_delay_alu instid0(VALU_DEP_2) | instskip(NEXT) | instid1(VALU_DEP_3)
	v_and_b32_e32 v113, 7, v113
	v_lshl_add_u32 v112, v112, 23, 0x3b800000
	s_delay_alu instid0(VALU_DEP_2) | instskip(NEXT) | instid1(VALU_DEP_1)
	v_dual_cndmask_b32 v103, v103, v113 :: v_dual_and_b32 v98, 0x80000000, v98
	v_lshlrev_b32_e32 v103, 20, v103
	s_delay_alu instid0(VALU_DEP_1)
	v_or3_b32 v103, v98, v112, v103
.LBB2_3488:                             ;   in Loop: Header=BB2_3330 Depth=2
	s_or_b32 exec_lo, exec_lo, s23
	s_waitcnt vmcnt(4) lgkmcnt(4)
	v_and_b32_e32 v112, 0xff, v102
	s_mov_b32 s7, 0
	s_mov_b32 s24, exec_lo
                                        ; implicit-def: $sgpr23
	s_delay_alu instid0(VALU_DEP_1)
	v_cmpx_lt_i16_e32 0x7f, v112
	s_xor_b32 s24, exec_lo, s24
	s_cbranch_execnz .LBB2_3625
; %bb.3489:                             ;   in Loop: Header=BB2_3330 Depth=2
	s_or_saveexec_b32 s24, s24
	v_mov_b32_e32 v98, s23
	s_xor_b32 exec_lo, exec_lo, s24
	s_cbranch_execnz .LBB2_3628
.LBB2_3490:                             ;   in Loop: Header=BB2_3330 Depth=2
	s_or_b32 exec_lo, exec_lo, s24
	s_and_saveexec_b32 s23, s7
	s_cbranch_execz .LBB2_3492
.LBB2_3491:                             ;   in Loop: Header=BB2_3330 Depth=2
	v_and_b32_e32 v98, 7, v102
	v_lshrrev_b16 v114, 3, v102
	s_delay_alu instid0(VALU_DEP_2) | instskip(NEXT) | instid1(VALU_DEP_2)
	v_clz_i32_u32_e32 v112, v98
	v_and_b32_e32 v114, 15, v114
	s_delay_alu instid0(VALU_DEP_2) | instskip(NEXT) | instid1(VALU_DEP_2)
	v_min_u32_e32 v112, 32, v112
	v_cmp_eq_u32_e32 vcc_lo, 0, v114
	s_delay_alu instid0(VALU_DEP_2) | instskip(SKIP_1) | instid1(VALU_DEP_1)
	v_subrev_nc_u32_e32 v113, 28, v112
	v_sub_nc_u32_e32 v112, 29, v112
	v_dual_cndmask_b32 v112, v114, v112 :: v_dual_lshlrev_b32 v113, v113, v102
	v_lshlrev_b32_e32 v102, 24, v102
	s_delay_alu instid0(VALU_DEP_2) | instskip(NEXT) | instid1(VALU_DEP_3)
	v_and_b32_e32 v113, 7, v113
	v_lshl_add_u32 v112, v112, 23, 0x3b800000
	s_delay_alu instid0(VALU_DEP_3) | instskip(NEXT) | instid1(VALU_DEP_3)
	v_and_b32_e32 v102, 0x80000000, v102
	v_cndmask_b32_e32 v98, v98, v113, vcc_lo
	s_delay_alu instid0(VALU_DEP_1) | instskip(NEXT) | instid1(VALU_DEP_1)
	v_lshlrev_b32_e32 v98, 20, v98
	v_or3_b32 v98, v102, v112, v98
.LBB2_3492:                             ;   in Loop: Header=BB2_3330 Depth=2
	s_or_b32 exec_lo, exec_lo, s23
	s_delay_alu instid0(VALU_DEP_1) | instskip(NEXT) | instid1(VALU_DEP_1)
	v_add_f32_e32 v102, v103, v98
	v_and_b32_e32 v98, 0x7f800000, v102
	s_delay_alu instid0(VALU_DEP_1)
	v_cmp_ne_u32_e32 vcc_lo, 0x7f800000, v98
	v_mov_b32_e32 v98, 0x80
	s_and_saveexec_b32 s23, vcc_lo
	s_cbranch_execz .LBB2_3500
; %bb.3493:                             ;   in Loop: Header=BB2_3330 Depth=2
	v_mov_b32_e32 v98, 0
	s_mov_b32 s24, exec_lo
	v_cmpx_ne_u32_e32 0, v102
	s_cbranch_execz .LBB2_3499
; %bb.3494:                             ;   in Loop: Header=BB2_3330 Depth=2
	v_bfe_u32 v98, v102, 23, 8
	s_delay_alu instid0(VALU_DEP_1) | instskip(SKIP_1) | instid1(VALU_DEP_2)
	v_sub_nc_u32_e32 v112, 0x78, v98
	v_cmp_gt_u32_e32 vcc_lo, 0x79, v98
	v_dual_cndmask_b32 v112, 0, v112 :: v_dual_and_b32 v103, 0x7fffff, v102
	s_delay_alu instid0(VALU_DEP_1) | instskip(SKIP_2) | instid1(VALU_DEP_4)
	v_or_b32_e32 v113, 0x800000, v103
	v_cmp_eq_u32_e32 vcc_lo, 0, v98
	v_add_nc_u32_e32 v98, 0xffffff89, v98
	v_cndmask_b32_e64 v112, v112, 0x77, vcc_lo
	s_delay_alu instid0(VALU_DEP_4) | instskip(NEXT) | instid1(VALU_DEP_3)
	v_cndmask_b32_e32 v103, v113, v103, vcc_lo
	v_cndmask_b32_e64 v98, v98, 0xffffff8a, vcc_lo
	s_delay_alu instid0(VALU_DEP_3) | instskip(NEXT) | instid1(VALU_DEP_3)
	v_lshl_add_u32 v113, 0x100000, v112, -1
	v_lshrrev_b32_e32 v114, v112, v103
	v_lshlrev_b32_e64 v116, v112, 0x80000
	s_delay_alu instid0(VALU_DEP_4) | instskip(NEXT) | instid1(VALU_DEP_4)
	v_add_nc_u32_e32 v112, v112, v98
	v_and_b32_e32 v103, v113, v103
	s_delay_alu instid0(VALU_DEP_4) | instskip(NEXT) | instid1(VALU_DEP_2)
	v_bfe_u32 v115, v114, 20, 1
	v_cmp_eq_u32_e64 s7, v103, v116
	s_delay_alu instid0(VALU_DEP_2) | instskip(NEXT) | instid1(VALU_DEP_1)
	v_add_nc_u32_e32 v113, -1, v115
	v_cndmask_b32_e64 v103, 0, v113, s7
	v_lshrrev_b32_e32 v113, 23, v114
	s_mov_b32 s7, exec_lo
	s_delay_alu instid0(VALU_DEP_2) | instskip(NEXT) | instid1(VALU_DEP_2)
	v_add_nc_u32_e32 v103, v103, v114
	v_xor_b32_e32 v113, 1, v113
	s_delay_alu instid0(VALU_DEP_2) | instskip(NEXT) | instid1(VALU_DEP_1)
	v_and_b32_e32 v98, 0xfffff, v103
	v_add_nc_u32_e32 v103, v98, v114
                                        ; implicit-def: $vgpr98
	s_delay_alu instid0(VALU_DEP_3)
	v_cmpx_ne_u32_e64 v112, v113
	s_xor_b32 s7, exec_lo, s7
; %bb.3495:                             ;   in Loop: Header=BB2_3330 Depth=2
	s_delay_alu instid0(VALU_DEP_2) | instskip(SKIP_2) | instid1(VALU_DEP_2)
	v_cmp_lt_u32_e32 vcc_lo, 0xffffff, v103
	v_sub_nc_u32_e32 v98, v112, v113
	v_cndmask_b32_e64 v112, 0, 1, vcc_lo
	v_add_co_ci_u32_e32 v98, vcc_lo, 0, v98, vcc_lo
	s_delay_alu instid0(VALU_DEP_2)
	v_lshrrev_b32_e32 v103, v112, v103
; %bb.3496:                             ;   in Loop: Header=BB2_3330 Depth=2
	s_and_not1_saveexec_b32 s7, s7
; %bb.3497:                             ;   in Loop: Header=BB2_3330 Depth=2
	s_delay_alu instid0(VALU_DEP_1)
	v_bfe_u32 v98, v103, 23, 1
; %bb.3498:                             ;   in Loop: Header=BB2_3330 Depth=2
	s_or_b32 exec_lo, exec_lo, s7
	v_lshrrev_b32_e32 v103, 20, v103
	s_delay_alu instid0(VALU_DEP_2) | instskip(SKIP_2) | instid1(VALU_DEP_2)
	v_cmp_gt_i32_e32 vcc_lo, 16, v98
	v_lshrrev_b32_e32 v102, 24, v102
	v_min_i32_e32 v112, 15, v98
	v_dual_cndmask_b32 v103, 7, v103 :: v_dual_and_b32 v102, 0x80, v102
	s_delay_alu instid0(VALU_DEP_2) | instskip(NEXT) | instid1(VALU_DEP_2)
	v_lshlrev_b32_e32 v112, 3, v112
	v_or_b32_e32 v98, v98, v103
	s_delay_alu instid0(VALU_DEP_1) | instskip(SKIP_1) | instid1(VALU_DEP_1)
	v_cmp_ne_u32_e32 vcc_lo, 0, v98
	v_and_b32_e32 v113, 7, v103
	v_or3_b32 v102, v112, v102, v113
	s_delay_alu instid0(VALU_DEP_1)
	v_cndmask_b32_e32 v98, 0, v102, vcc_lo
.LBB2_3499:                             ;   in Loop: Header=BB2_3330 Depth=2
	s_or_b32 exec_lo, exec_lo, s24
.LBB2_3500:                             ;   in Loop: Header=BB2_3330 Depth=2
	s_delay_alu instid0(SALU_CYCLE_1) | instskip(SKIP_3) | instid1(VALU_DEP_1)
	s_or_b32 exec_lo, exec_lo, s23
	v_and_b32_e32 v103, 0xff, v96
	s_mov_b32 s7, 0
	s_mov_b32 s24, exec_lo
                                        ; implicit-def: $sgpr23
	v_cmpx_lt_i16_e32 0x7f, v103
	s_xor_b32 s24, exec_lo, s24
	s_cbranch_execnz .LBB2_3629
; %bb.3501:                             ;   in Loop: Header=BB2_3330 Depth=2
	s_or_saveexec_b32 s24, s24
	v_mov_b32_e32 v102, s23
	s_xor_b32 exec_lo, exec_lo, s24
	s_cbranch_execnz .LBB2_3632
.LBB2_3502:                             ;   in Loop: Header=BB2_3330 Depth=2
	s_or_b32 exec_lo, exec_lo, s24
	s_and_saveexec_b32 s23, s7
	s_cbranch_execz .LBB2_3504
.LBB2_3503:                             ;   in Loop: Header=BB2_3330 Depth=2
	v_lshrrev_b16 v113, 3, v96
	s_delay_alu instid0(VALU_DEP_1) | instskip(NEXT) | instid1(VALU_DEP_1)
	v_and_b32_e32 v113, 15, v113
	v_cmp_eq_u32_e32 vcc_lo, 0, v113
	v_and_b32_e32 v102, 7, v96
	s_delay_alu instid0(VALU_DEP_1) | instskip(NEXT) | instid1(VALU_DEP_1)
	v_clz_i32_u32_e32 v103, v102
	v_min_u32_e32 v103, 32, v103
	s_delay_alu instid0(VALU_DEP_1) | instskip(SKIP_1) | instid1(VALU_DEP_1)
	v_subrev_nc_u32_e32 v112, 28, v103
	v_sub_nc_u32_e32 v103, 29, v103
	v_dual_cndmask_b32 v103, v113, v103 :: v_dual_lshlrev_b32 v112, v112, v96
	v_lshlrev_b32_e32 v96, 24, v96
	s_delay_alu instid0(VALU_DEP_2) | instskip(NEXT) | instid1(VALU_DEP_3)
	v_and_b32_e32 v112, 7, v112
	v_lshl_add_u32 v103, v103, 23, 0x3b800000
	s_delay_alu instid0(VALU_DEP_3) | instskip(NEXT) | instid1(VALU_DEP_3)
	v_and_b32_e32 v96, 0x80000000, v96
	v_cndmask_b32_e32 v102, v102, v112, vcc_lo
	s_delay_alu instid0(VALU_DEP_1) | instskip(NEXT) | instid1(VALU_DEP_1)
	v_lshlrev_b32_e32 v102, 20, v102
	v_or3_b32 v102, v96, v103, v102
.LBB2_3504:                             ;   in Loop: Header=BB2_3330 Depth=2
	s_or_b32 exec_lo, exec_lo, s23
	s_waitcnt vmcnt(3) lgkmcnt(3)
	v_and_b32_e32 v103, 0xff, v101
	s_mov_b32 s7, 0
	s_mov_b32 s24, exec_lo
                                        ; implicit-def: $sgpr23
	s_delay_alu instid0(VALU_DEP_1)
	v_cmpx_lt_i16_e32 0x7f, v103
	s_xor_b32 s24, exec_lo, s24
	s_cbranch_execnz .LBB2_3633
; %bb.3505:                             ;   in Loop: Header=BB2_3330 Depth=2
	s_or_saveexec_b32 s24, s24
	v_mov_b32_e32 v96, s23
	s_xor_b32 exec_lo, exec_lo, s24
	s_cbranch_execnz .LBB2_3636
.LBB2_3506:                             ;   in Loop: Header=BB2_3330 Depth=2
	s_or_b32 exec_lo, exec_lo, s24
	s_and_saveexec_b32 s23, s7
	s_cbranch_execz .LBB2_3508
.LBB2_3507:                             ;   in Loop: Header=BB2_3330 Depth=2
	v_lshrrev_b16 v113, 3, v101
	s_delay_alu instid0(VALU_DEP_1) | instskip(NEXT) | instid1(VALU_DEP_1)
	v_and_b32_e32 v113, 15, v113
	v_cmp_eq_u32_e32 vcc_lo, 0, v113
	v_and_b32_e32 v96, 7, v101
	s_delay_alu instid0(VALU_DEP_1) | instskip(NEXT) | instid1(VALU_DEP_1)
	v_clz_i32_u32_e32 v103, v96
	v_min_u32_e32 v103, 32, v103
	s_delay_alu instid0(VALU_DEP_1) | instskip(SKIP_1) | instid1(VALU_DEP_1)
	v_subrev_nc_u32_e32 v112, 28, v103
	v_sub_nc_u32_e32 v103, 29, v103
	v_dual_cndmask_b32 v103, v113, v103 :: v_dual_lshlrev_b32 v112, v112, v101
	v_lshlrev_b32_e32 v101, 24, v101
	s_delay_alu instid0(VALU_DEP_2) | instskip(NEXT) | instid1(VALU_DEP_3)
	v_and_b32_e32 v112, 7, v112
	v_lshl_add_u32 v103, v103, 23, 0x3b800000
	s_delay_alu instid0(VALU_DEP_2) | instskip(NEXT) | instid1(VALU_DEP_1)
	v_dual_cndmask_b32 v96, v96, v112 :: v_dual_and_b32 v101, 0x80000000, v101
	v_lshlrev_b32_e32 v96, 20, v96
	s_delay_alu instid0(VALU_DEP_1)
	v_or3_b32 v96, v101, v103, v96
.LBB2_3508:                             ;   in Loop: Header=BB2_3330 Depth=2
	s_or_b32 exec_lo, exec_lo, s23
	s_delay_alu instid0(VALU_DEP_1) | instskip(NEXT) | instid1(VALU_DEP_1)
	v_add_f32_e32 v101, v102, v96
	v_and_b32_e32 v96, 0x7f800000, v101
	s_delay_alu instid0(VALU_DEP_1)
	v_cmp_ne_u32_e32 vcc_lo, 0x7f800000, v96
	v_mov_b32_e32 v96, 0x80
	s_and_saveexec_b32 s23, vcc_lo
	s_cbranch_execz .LBB2_3516
; %bb.3509:                             ;   in Loop: Header=BB2_3330 Depth=2
	v_mov_b32_e32 v96, 0
	s_mov_b32 s24, exec_lo
	v_cmpx_ne_u32_e32 0, v101
	s_cbranch_execz .LBB2_3515
; %bb.3510:                             ;   in Loop: Header=BB2_3330 Depth=2
	v_bfe_u32 v96, v101, 23, 8
	s_delay_alu instid0(VALU_DEP_1) | instskip(SKIP_1) | instid1(VALU_DEP_2)
	v_sub_nc_u32_e32 v103, 0x78, v96
	v_cmp_gt_u32_e32 vcc_lo, 0x79, v96
	v_dual_cndmask_b32 v103, 0, v103 :: v_dual_and_b32 v102, 0x7fffff, v101
	s_delay_alu instid0(VALU_DEP_1) | instskip(SKIP_2) | instid1(VALU_DEP_4)
	v_or_b32_e32 v112, 0x800000, v102
	v_cmp_eq_u32_e32 vcc_lo, 0, v96
	v_add_nc_u32_e32 v96, 0xffffff89, v96
	v_cndmask_b32_e64 v103, v103, 0x77, vcc_lo
	s_delay_alu instid0(VALU_DEP_2) | instskip(SKIP_1) | instid1(VALU_DEP_3)
	v_cndmask_b32_e64 v96, v96, 0xffffff8a, vcc_lo
	v_cndmask_b32_e32 v102, v112, v102, vcc_lo
	v_lshl_add_u32 v112, 0x100000, v103, -1
	v_lshlrev_b32_e64 v115, v103, 0x80000
	s_delay_alu instid0(VALU_DEP_3) | instskip(SKIP_1) | instid1(VALU_DEP_4)
	v_lshrrev_b32_e32 v113, v103, v102
	v_add_nc_u32_e32 v103, v103, v96
	v_and_b32_e32 v102, v112, v102
	s_delay_alu instid0(VALU_DEP_3) | instskip(NEXT) | instid1(VALU_DEP_2)
	v_bfe_u32 v114, v113, 20, 1
	v_cmp_eq_u32_e64 s7, v102, v115
	s_delay_alu instid0(VALU_DEP_2) | instskip(NEXT) | instid1(VALU_DEP_1)
	v_add_nc_u32_e32 v112, -1, v114
	v_cndmask_b32_e64 v102, 0, v112, s7
	v_lshrrev_b32_e32 v112, 23, v113
	s_mov_b32 s7, exec_lo
	s_delay_alu instid0(VALU_DEP_2) | instskip(NEXT) | instid1(VALU_DEP_2)
	v_add_nc_u32_e32 v102, v102, v113
	v_xor_b32_e32 v112, 1, v112
	s_delay_alu instid0(VALU_DEP_2) | instskip(NEXT) | instid1(VALU_DEP_1)
	v_and_b32_e32 v96, 0xfffff, v102
	v_add_nc_u32_e32 v102, v96, v113
                                        ; implicit-def: $vgpr96
	s_delay_alu instid0(VALU_DEP_3)
	v_cmpx_ne_u32_e64 v103, v112
	s_xor_b32 s7, exec_lo, s7
; %bb.3511:                             ;   in Loop: Header=BB2_3330 Depth=2
	s_delay_alu instid0(VALU_DEP_2) | instskip(SKIP_2) | instid1(VALU_DEP_2)
	v_cmp_lt_u32_e32 vcc_lo, 0xffffff, v102
	v_sub_nc_u32_e32 v96, v103, v112
	v_cndmask_b32_e64 v103, 0, 1, vcc_lo
	v_add_co_ci_u32_e32 v96, vcc_lo, 0, v96, vcc_lo
	s_delay_alu instid0(VALU_DEP_2)
	v_lshrrev_b32_e32 v102, v103, v102
; %bb.3512:                             ;   in Loop: Header=BB2_3330 Depth=2
	s_and_not1_saveexec_b32 s7, s7
; %bb.3513:                             ;   in Loop: Header=BB2_3330 Depth=2
	s_delay_alu instid0(VALU_DEP_1)
	v_bfe_u32 v96, v102, 23, 1
; %bb.3514:                             ;   in Loop: Header=BB2_3330 Depth=2
	s_or_b32 exec_lo, exec_lo, s7
	v_lshrrev_b32_e32 v102, 20, v102
	s_delay_alu instid0(VALU_DEP_2) | instskip(SKIP_2) | instid1(VALU_DEP_2)
	v_cmp_gt_i32_e32 vcc_lo, 16, v96
	v_lshrrev_b32_e32 v101, 24, v101
	v_min_i32_e32 v103, 15, v96
	v_dual_cndmask_b32 v102, 7, v102 :: v_dual_and_b32 v101, 0x80, v101
	s_delay_alu instid0(VALU_DEP_1) | instskip(SKIP_1) | instid1(VALU_DEP_2)
	v_or_b32_e32 v96, v96, v102
	v_and_b32_e32 v112, 7, v102
	v_cmp_ne_u32_e32 vcc_lo, 0, v96
	v_lshlrev_b32_e32 v103, 3, v103
	s_delay_alu instid0(VALU_DEP_1) | instskip(NEXT) | instid1(VALU_DEP_1)
	v_or3_b32 v101, v103, v101, v112
	v_cndmask_b32_e32 v96, 0, v101, vcc_lo
.LBB2_3515:                             ;   in Loop: Header=BB2_3330 Depth=2
	s_or_b32 exec_lo, exec_lo, s24
.LBB2_3516:                             ;   in Loop: Header=BB2_3330 Depth=2
	s_delay_alu instid0(SALU_CYCLE_1) | instskip(SKIP_3) | instid1(VALU_DEP_1)
	s_or_b32 exec_lo, exec_lo, s23
	v_and_b32_e32 v102, 0xff, v86
	s_mov_b32 s7, 0
	s_mov_b32 s24, exec_lo
                                        ; implicit-def: $sgpr23
	v_cmpx_lt_i16_e32 0x7f, v102
	s_xor_b32 s24, exec_lo, s24
	s_cbranch_execnz .LBB2_3637
; %bb.3517:                             ;   in Loop: Header=BB2_3330 Depth=2
	s_or_saveexec_b32 s24, s24
	v_mov_b32_e32 v101, s23
	s_xor_b32 exec_lo, exec_lo, s24
	s_cbranch_execnz .LBB2_3640
.LBB2_3518:                             ;   in Loop: Header=BB2_3330 Depth=2
	s_or_b32 exec_lo, exec_lo, s24
	s_and_saveexec_b32 s23, s7
	s_cbranch_execz .LBB2_3520
.LBB2_3519:                             ;   in Loop: Header=BB2_3330 Depth=2
	v_and_b32_e32 v101, 7, v86
	v_lshrrev_b16 v112, 3, v86
	s_delay_alu instid0(VALU_DEP_2) | instskip(NEXT) | instid1(VALU_DEP_1)
	v_clz_i32_u32_e32 v102, v101
	v_min_u32_e32 v102, 32, v102
	s_delay_alu instid0(VALU_DEP_1) | instskip(SKIP_1) | instid1(VALU_DEP_2)
	v_subrev_nc_u32_e32 v103, 28, v102
	v_sub_nc_u32_e32 v102, 29, v102
	v_lshlrev_b32_e32 v103, v103, v86
	v_lshlrev_b32_e32 v86, 24, v86
	s_delay_alu instid0(VALU_DEP_2) | instskip(SKIP_1) | instid1(VALU_DEP_3)
	v_and_b32_e32 v103, 7, v103
	v_and_b32_e32 v112, 15, v112
	;; [unrolled: 1-line block ×3, first 2 shown]
	s_delay_alu instid0(VALU_DEP_2) | instskip(NEXT) | instid1(VALU_DEP_4)
	v_cmp_eq_u32_e32 vcc_lo, 0, v112
	v_dual_cndmask_b32 v101, v101, v103 :: v_dual_cndmask_b32 v102, v112, v102
	s_delay_alu instid0(VALU_DEP_1) | instskip(NEXT) | instid1(VALU_DEP_2)
	v_lshlrev_b32_e32 v101, 20, v101
	v_lshl_add_u32 v102, v102, 23, 0x3b800000
	s_delay_alu instid0(VALU_DEP_1)
	v_or3_b32 v101, v86, v102, v101
.LBB2_3520:                             ;   in Loop: Header=BB2_3330 Depth=2
	s_or_b32 exec_lo, exec_lo, s23
	s_waitcnt vmcnt(2) lgkmcnt(2)
	v_and_b32_e32 v102, 0xff, v100
	s_mov_b32 s7, 0
	s_mov_b32 s24, exec_lo
                                        ; implicit-def: $sgpr23
	s_delay_alu instid0(VALU_DEP_1)
	v_cmpx_lt_i16_e32 0x7f, v102
	s_xor_b32 s24, exec_lo, s24
	s_cbranch_execnz .LBB2_3641
; %bb.3521:                             ;   in Loop: Header=BB2_3330 Depth=2
	s_or_saveexec_b32 s24, s24
	v_mov_b32_e32 v86, s23
	s_xor_b32 exec_lo, exec_lo, s24
	s_cbranch_execnz .LBB2_3644
.LBB2_3522:                             ;   in Loop: Header=BB2_3330 Depth=2
	s_or_b32 exec_lo, exec_lo, s24
	s_and_saveexec_b32 s23, s7
	s_cbranch_execz .LBB2_3524
.LBB2_3523:                             ;   in Loop: Header=BB2_3330 Depth=2
	v_and_b32_e32 v86, 7, v100
	v_lshrrev_b16 v112, 3, v100
	s_delay_alu instid0(VALU_DEP_2) | instskip(NEXT) | instid1(VALU_DEP_2)
	v_clz_i32_u32_e32 v102, v86
	v_and_b32_e32 v112, 15, v112
	s_delay_alu instid0(VALU_DEP_2) | instskip(NEXT) | instid1(VALU_DEP_2)
	v_min_u32_e32 v102, 32, v102
	v_cmp_eq_u32_e32 vcc_lo, 0, v112
	s_delay_alu instid0(VALU_DEP_2) | instskip(SKIP_1) | instid1(VALU_DEP_1)
	v_subrev_nc_u32_e32 v103, 28, v102
	v_sub_nc_u32_e32 v102, 29, v102
	v_dual_cndmask_b32 v102, v112, v102 :: v_dual_lshlrev_b32 v103, v103, v100
	v_lshlrev_b32_e32 v100, 24, v100
	s_delay_alu instid0(VALU_DEP_2) | instskip(NEXT) | instid1(VALU_DEP_3)
	v_and_b32_e32 v103, 7, v103
	v_lshl_add_u32 v102, v102, 23, 0x3b800000
	s_delay_alu instid0(VALU_DEP_3) | instskip(NEXT) | instid1(VALU_DEP_3)
	v_and_b32_e32 v100, 0x80000000, v100
	v_cndmask_b32_e32 v86, v86, v103, vcc_lo
	s_delay_alu instid0(VALU_DEP_1) | instskip(NEXT) | instid1(VALU_DEP_1)
	v_lshlrev_b32_e32 v86, 20, v86
	v_or3_b32 v86, v100, v102, v86
.LBB2_3524:                             ;   in Loop: Header=BB2_3330 Depth=2
	s_or_b32 exec_lo, exec_lo, s23
	s_delay_alu instid0(VALU_DEP_1) | instskip(NEXT) | instid1(VALU_DEP_1)
	v_add_f32_e32 v100, v101, v86
	v_and_b32_e32 v86, 0x7f800000, v100
	s_delay_alu instid0(VALU_DEP_1)
	v_cmp_ne_u32_e32 vcc_lo, 0x7f800000, v86
	v_mov_b32_e32 v86, 0x80
	s_and_saveexec_b32 s23, vcc_lo
	s_cbranch_execz .LBB2_3532
; %bb.3525:                             ;   in Loop: Header=BB2_3330 Depth=2
	v_mov_b32_e32 v86, 0
	s_mov_b32 s24, exec_lo
	v_cmpx_ne_u32_e32 0, v100
	s_cbranch_execz .LBB2_3531
; %bb.3526:                             ;   in Loop: Header=BB2_3330 Depth=2
	v_bfe_u32 v86, v100, 23, 8
	s_delay_alu instid0(VALU_DEP_1) | instskip(SKIP_1) | instid1(VALU_DEP_2)
	v_sub_nc_u32_e32 v102, 0x78, v86
	v_cmp_gt_u32_e32 vcc_lo, 0x79, v86
	v_dual_cndmask_b32 v102, 0, v102 :: v_dual_and_b32 v101, 0x7fffff, v100
	s_delay_alu instid0(VALU_DEP_1) | instskip(SKIP_2) | instid1(VALU_DEP_4)
	v_or_b32_e32 v103, 0x800000, v101
	v_cmp_eq_u32_e32 vcc_lo, 0, v86
	v_add_nc_u32_e32 v86, 0xffffff89, v86
	v_cndmask_b32_e64 v102, v102, 0x77, vcc_lo
	s_delay_alu instid0(VALU_DEP_4) | instskip(NEXT) | instid1(VALU_DEP_3)
	v_cndmask_b32_e32 v101, v103, v101, vcc_lo
	v_cndmask_b32_e64 v86, v86, 0xffffff8a, vcc_lo
	s_delay_alu instid0(VALU_DEP_3) | instskip(NEXT) | instid1(VALU_DEP_3)
	v_lshl_add_u32 v103, 0x100000, v102, -1
	v_lshrrev_b32_e32 v112, v102, v101
	v_lshlrev_b32_e64 v114, v102, 0x80000
	s_delay_alu instid0(VALU_DEP_4) | instskip(NEXT) | instid1(VALU_DEP_4)
	v_add_nc_u32_e32 v102, v102, v86
	v_and_b32_e32 v101, v103, v101
	s_delay_alu instid0(VALU_DEP_4) | instskip(NEXT) | instid1(VALU_DEP_2)
	v_bfe_u32 v113, v112, 20, 1
	v_cmp_eq_u32_e64 s7, v101, v114
	s_delay_alu instid0(VALU_DEP_2) | instskip(NEXT) | instid1(VALU_DEP_1)
	v_add_nc_u32_e32 v103, -1, v113
	v_cndmask_b32_e64 v101, 0, v103, s7
	v_lshrrev_b32_e32 v103, 23, v112
	s_mov_b32 s7, exec_lo
	s_delay_alu instid0(VALU_DEP_2) | instskip(NEXT) | instid1(VALU_DEP_2)
	v_add_nc_u32_e32 v101, v101, v112
	v_xor_b32_e32 v103, 1, v103
	s_delay_alu instid0(VALU_DEP_2) | instskip(NEXT) | instid1(VALU_DEP_1)
	v_and_b32_e32 v86, 0xfffff, v101
	v_add_nc_u32_e32 v101, v86, v112
                                        ; implicit-def: $vgpr86
	s_delay_alu instid0(VALU_DEP_3)
	v_cmpx_ne_u32_e64 v102, v103
	s_xor_b32 s7, exec_lo, s7
; %bb.3527:                             ;   in Loop: Header=BB2_3330 Depth=2
	s_delay_alu instid0(VALU_DEP_2) | instskip(SKIP_2) | instid1(VALU_DEP_2)
	v_cmp_lt_u32_e32 vcc_lo, 0xffffff, v101
	v_sub_nc_u32_e32 v86, v102, v103
	v_cndmask_b32_e64 v102, 0, 1, vcc_lo
	v_add_co_ci_u32_e32 v86, vcc_lo, 0, v86, vcc_lo
	s_delay_alu instid0(VALU_DEP_2)
	v_lshrrev_b32_e32 v101, v102, v101
; %bb.3528:                             ;   in Loop: Header=BB2_3330 Depth=2
	s_and_not1_saveexec_b32 s7, s7
; %bb.3529:                             ;   in Loop: Header=BB2_3330 Depth=2
	s_delay_alu instid0(VALU_DEP_1)
	v_bfe_u32 v86, v101, 23, 1
; %bb.3530:                             ;   in Loop: Header=BB2_3330 Depth=2
	s_or_b32 exec_lo, exec_lo, s7
	v_lshrrev_b32_e32 v101, 20, v101
	s_delay_alu instid0(VALU_DEP_2) | instskip(SKIP_2) | instid1(VALU_DEP_2)
	v_cmp_gt_i32_e32 vcc_lo, 16, v86
	v_lshrrev_b32_e32 v100, 24, v100
	v_min_i32_e32 v102, 15, v86
	v_dual_cndmask_b32 v101, 7, v101 :: v_dual_and_b32 v100, 0x80, v100
	s_delay_alu instid0(VALU_DEP_2) | instskip(NEXT) | instid1(VALU_DEP_2)
	v_lshlrev_b32_e32 v102, 3, v102
	v_or_b32_e32 v86, v86, v101
	s_delay_alu instid0(VALU_DEP_1) | instskip(SKIP_1) | instid1(VALU_DEP_1)
	v_cmp_ne_u32_e32 vcc_lo, 0, v86
	v_and_b32_e32 v103, 7, v101
	v_or3_b32 v100, v102, v100, v103
	s_delay_alu instid0(VALU_DEP_1)
	v_cndmask_b32_e32 v86, 0, v100, vcc_lo
.LBB2_3531:                             ;   in Loop: Header=BB2_3330 Depth=2
	s_or_b32 exec_lo, exec_lo, s24
.LBB2_3532:                             ;   in Loop: Header=BB2_3330 Depth=2
	s_delay_alu instid0(SALU_CYCLE_1) | instskip(SKIP_3) | instid1(VALU_DEP_1)
	s_or_b32 exec_lo, exec_lo, s23
	v_and_b32_e32 v101, 0xff, v85
	s_mov_b32 s7, 0
	s_mov_b32 s24, exec_lo
                                        ; implicit-def: $sgpr23
	v_cmpx_lt_i16_e32 0x7f, v101
	s_xor_b32 s24, exec_lo, s24
	s_cbranch_execnz .LBB2_3645
; %bb.3533:                             ;   in Loop: Header=BB2_3330 Depth=2
	s_or_saveexec_b32 s24, s24
	v_mov_b32_e32 v100, s23
	s_xor_b32 exec_lo, exec_lo, s24
	s_cbranch_execnz .LBB2_3648
.LBB2_3534:                             ;   in Loop: Header=BB2_3330 Depth=2
	s_or_b32 exec_lo, exec_lo, s24
	s_and_saveexec_b32 s23, s7
	s_cbranch_execz .LBB2_3536
.LBB2_3535:                             ;   in Loop: Header=BB2_3330 Depth=2
	v_and_b32_e32 v100, 7, v85
	v_lshrrev_b16 v103, 3, v85
	s_delay_alu instid0(VALU_DEP_2) | instskip(NEXT) | instid1(VALU_DEP_1)
	v_clz_i32_u32_e32 v101, v100
	v_min_u32_e32 v101, 32, v101
	s_delay_alu instid0(VALU_DEP_1) | instskip(SKIP_1) | instid1(VALU_DEP_2)
	v_subrev_nc_u32_e32 v102, 28, v101
	v_sub_nc_u32_e32 v101, 29, v101
	v_lshlrev_b32_e32 v102, v102, v85
	v_lshlrev_b32_e32 v85, 24, v85
	s_delay_alu instid0(VALU_DEP_2) | instskip(SKIP_1) | instid1(VALU_DEP_3)
	v_and_b32_e32 v102, 7, v102
	v_and_b32_e32 v103, 15, v103
	;; [unrolled: 1-line block ×3, first 2 shown]
	s_delay_alu instid0(VALU_DEP_2) | instskip(NEXT) | instid1(VALU_DEP_4)
	v_cmp_eq_u32_e32 vcc_lo, 0, v103
	v_dual_cndmask_b32 v100, v100, v102 :: v_dual_cndmask_b32 v101, v103, v101
	s_delay_alu instid0(VALU_DEP_1) | instskip(NEXT) | instid1(VALU_DEP_2)
	v_lshlrev_b32_e32 v100, 20, v100
	v_lshl_add_u32 v101, v101, 23, 0x3b800000
	s_delay_alu instid0(VALU_DEP_1)
	v_or3_b32 v100, v85, v101, v100
.LBB2_3536:                             ;   in Loop: Header=BB2_3330 Depth=2
	s_or_b32 exec_lo, exec_lo, s23
	s_waitcnt vmcnt(1) lgkmcnt(1)
	v_and_b32_e32 v101, 0xff, v87
	s_mov_b32 s7, 0
	s_mov_b32 s24, exec_lo
                                        ; implicit-def: $sgpr23
	s_delay_alu instid0(VALU_DEP_1)
	v_cmpx_lt_i16_e32 0x7f, v101
	s_xor_b32 s24, exec_lo, s24
	s_cbranch_execnz .LBB2_3649
; %bb.3537:                             ;   in Loop: Header=BB2_3330 Depth=2
	s_or_saveexec_b32 s24, s24
	v_mov_b32_e32 v85, s23
	s_xor_b32 exec_lo, exec_lo, s24
	s_cbranch_execnz .LBB2_3652
.LBB2_3538:                             ;   in Loop: Header=BB2_3330 Depth=2
	s_or_b32 exec_lo, exec_lo, s24
	s_and_saveexec_b32 s23, s7
	s_cbranch_execz .LBB2_3540
.LBB2_3539:                             ;   in Loop: Header=BB2_3330 Depth=2
	v_and_b32_e32 v85, 7, v87
	v_lshrrev_b16 v103, 3, v87
	s_delay_alu instid0(VALU_DEP_2) | instskip(NEXT) | instid1(VALU_DEP_2)
	v_clz_i32_u32_e32 v101, v85
	v_and_b32_e32 v103, 15, v103
	s_delay_alu instid0(VALU_DEP_2) | instskip(NEXT) | instid1(VALU_DEP_2)
	v_min_u32_e32 v101, 32, v101
	v_cmp_eq_u32_e32 vcc_lo, 0, v103
	s_delay_alu instid0(VALU_DEP_2) | instskip(SKIP_1) | instid1(VALU_DEP_1)
	v_subrev_nc_u32_e32 v102, 28, v101
	v_sub_nc_u32_e32 v101, 29, v101
	v_dual_cndmask_b32 v101, v103, v101 :: v_dual_lshlrev_b32 v102, v102, v87
	v_lshlrev_b32_e32 v87, 24, v87
	s_delay_alu instid0(VALU_DEP_2) | instskip(NEXT) | instid1(VALU_DEP_3)
	v_and_b32_e32 v102, 7, v102
	v_lshl_add_u32 v101, v101, 23, 0x3b800000
	s_delay_alu instid0(VALU_DEP_3) | instskip(NEXT) | instid1(VALU_DEP_3)
	v_and_b32_e32 v87, 0x80000000, v87
	v_cndmask_b32_e32 v85, v85, v102, vcc_lo
	s_delay_alu instid0(VALU_DEP_1) | instskip(NEXT) | instid1(VALU_DEP_1)
	v_lshlrev_b32_e32 v85, 20, v85
	v_or3_b32 v85, v87, v101, v85
.LBB2_3540:                             ;   in Loop: Header=BB2_3330 Depth=2
	s_or_b32 exec_lo, exec_lo, s23
	s_delay_alu instid0(VALU_DEP_1) | instskip(NEXT) | instid1(VALU_DEP_1)
	v_add_f32_e32 v87, v100, v85
	v_and_b32_e32 v85, 0x7f800000, v87
	s_delay_alu instid0(VALU_DEP_1)
	v_cmp_ne_u32_e32 vcc_lo, 0x7f800000, v85
	v_mov_b32_e32 v85, 0x80
	s_and_saveexec_b32 s23, vcc_lo
	s_cbranch_execz .LBB2_3548
; %bb.3541:                             ;   in Loop: Header=BB2_3330 Depth=2
	v_mov_b32_e32 v85, 0
	s_mov_b32 s24, exec_lo
	v_cmpx_ne_u32_e32 0, v87
	s_cbranch_execz .LBB2_3547
; %bb.3542:                             ;   in Loop: Header=BB2_3330 Depth=2
	v_bfe_u32 v85, v87, 23, 8
	s_delay_alu instid0(VALU_DEP_1) | instskip(SKIP_1) | instid1(VALU_DEP_2)
	v_sub_nc_u32_e32 v101, 0x78, v85
	v_cmp_gt_u32_e32 vcc_lo, 0x79, v85
	v_dual_cndmask_b32 v101, 0, v101 :: v_dual_and_b32 v100, 0x7fffff, v87
	s_delay_alu instid0(VALU_DEP_1) | instskip(SKIP_2) | instid1(VALU_DEP_4)
	v_or_b32_e32 v102, 0x800000, v100
	v_cmp_eq_u32_e32 vcc_lo, 0, v85
	v_add_nc_u32_e32 v85, 0xffffff89, v85
	v_cndmask_b32_e64 v101, v101, 0x77, vcc_lo
	s_delay_alu instid0(VALU_DEP_4) | instskip(NEXT) | instid1(VALU_DEP_3)
	v_cndmask_b32_e32 v100, v102, v100, vcc_lo
	v_cndmask_b32_e64 v85, v85, 0xffffff8a, vcc_lo
	s_delay_alu instid0(VALU_DEP_3) | instskip(NEXT) | instid1(VALU_DEP_3)
	v_lshl_add_u32 v102, 0x100000, v101, -1
	v_lshrrev_b32_e32 v103, v101, v100
	v_lshlrev_b32_e64 v113, v101, 0x80000
	s_delay_alu instid0(VALU_DEP_4) | instskip(NEXT) | instid1(VALU_DEP_4)
	v_add_nc_u32_e32 v101, v101, v85
	v_and_b32_e32 v100, v102, v100
	s_delay_alu instid0(VALU_DEP_4) | instskip(NEXT) | instid1(VALU_DEP_2)
	v_bfe_u32 v112, v103, 20, 1
	v_cmp_eq_u32_e64 s7, v100, v113
	s_delay_alu instid0(VALU_DEP_2) | instskip(NEXT) | instid1(VALU_DEP_1)
	v_add_nc_u32_e32 v102, -1, v112
	v_cndmask_b32_e64 v100, 0, v102, s7
	v_lshrrev_b32_e32 v102, 23, v103
	s_mov_b32 s7, exec_lo
	s_delay_alu instid0(VALU_DEP_2) | instskip(NEXT) | instid1(VALU_DEP_2)
	v_add_nc_u32_e32 v100, v100, v103
	v_xor_b32_e32 v102, 1, v102
	s_delay_alu instid0(VALU_DEP_2) | instskip(NEXT) | instid1(VALU_DEP_1)
	v_and_b32_e32 v85, 0xfffff, v100
	v_add_nc_u32_e32 v100, v85, v103
                                        ; implicit-def: $vgpr85
	s_delay_alu instid0(VALU_DEP_3)
	v_cmpx_ne_u32_e64 v101, v102
	s_xor_b32 s7, exec_lo, s7
; %bb.3543:                             ;   in Loop: Header=BB2_3330 Depth=2
	s_delay_alu instid0(VALU_DEP_2) | instskip(SKIP_2) | instid1(VALU_DEP_2)
	v_cmp_lt_u32_e32 vcc_lo, 0xffffff, v100
	v_sub_nc_u32_e32 v85, v101, v102
	v_cndmask_b32_e64 v101, 0, 1, vcc_lo
	v_add_co_ci_u32_e32 v85, vcc_lo, 0, v85, vcc_lo
	s_delay_alu instid0(VALU_DEP_2)
	v_lshrrev_b32_e32 v100, v101, v100
; %bb.3544:                             ;   in Loop: Header=BB2_3330 Depth=2
	s_and_not1_saveexec_b32 s7, s7
; %bb.3545:                             ;   in Loop: Header=BB2_3330 Depth=2
	s_delay_alu instid0(VALU_DEP_1)
	v_bfe_u32 v85, v100, 23, 1
; %bb.3546:                             ;   in Loop: Header=BB2_3330 Depth=2
	s_or_b32 exec_lo, exec_lo, s7
	v_lshrrev_b32_e32 v100, 20, v100
	s_delay_alu instid0(VALU_DEP_2) | instskip(SKIP_2) | instid1(VALU_DEP_2)
	v_cmp_gt_i32_e32 vcc_lo, 16, v85
	v_lshrrev_b32_e32 v87, 24, v87
	v_min_i32_e32 v101, 15, v85
	v_dual_cndmask_b32 v100, 7, v100 :: v_dual_and_b32 v87, 0x80, v87
	s_delay_alu instid0(VALU_DEP_2) | instskip(NEXT) | instid1(VALU_DEP_2)
	v_lshlrev_b32_e32 v101, 3, v101
	v_or_b32_e32 v85, v85, v100
	s_delay_alu instid0(VALU_DEP_1) | instskip(SKIP_1) | instid1(VALU_DEP_1)
	v_cmp_ne_u32_e32 vcc_lo, 0, v85
	v_and_b32_e32 v102, 7, v100
	v_or3_b32 v87, v101, v87, v102
	s_delay_alu instid0(VALU_DEP_1)
	v_cndmask_b32_e32 v85, 0, v87, vcc_lo
.LBB2_3547:                             ;   in Loop: Header=BB2_3330 Depth=2
	s_or_b32 exec_lo, exec_lo, s24
.LBB2_3548:                             ;   in Loop: Header=BB2_3330 Depth=2
	s_delay_alu instid0(SALU_CYCLE_1) | instskip(SKIP_3) | instid1(VALU_DEP_1)
	s_or_b32 exec_lo, exec_lo, s23
	v_and_b32_e32 v100, 0xff, v38
	s_mov_b32 s7, 0
	s_mov_b32 s24, exec_lo
                                        ; implicit-def: $sgpr23
	v_cmpx_lt_i16_e32 0x7f, v100
	s_xor_b32 s24, exec_lo, s24
	s_cbranch_execnz .LBB2_3653
; %bb.3549:                             ;   in Loop: Header=BB2_3330 Depth=2
	s_or_saveexec_b32 s24, s24
	v_mov_b32_e32 v87, s23
	s_xor_b32 exec_lo, exec_lo, s24
	s_cbranch_execnz .LBB2_3656
.LBB2_3550:                             ;   in Loop: Header=BB2_3330 Depth=2
	s_or_b32 exec_lo, exec_lo, s24
	s_and_saveexec_b32 s23, s7
	s_cbranch_execz .LBB2_3552
.LBB2_3551:                             ;   in Loop: Header=BB2_3330 Depth=2
	v_lshrrev_b16 v102, 3, v38
	s_delay_alu instid0(VALU_DEP_1) | instskip(NEXT) | instid1(VALU_DEP_1)
	v_and_b32_e32 v102, 15, v102
	v_cmp_eq_u32_e32 vcc_lo, 0, v102
	v_and_b32_e32 v87, 7, v38
	s_delay_alu instid0(VALU_DEP_1) | instskip(NEXT) | instid1(VALU_DEP_1)
	v_clz_i32_u32_e32 v100, v87
	v_min_u32_e32 v100, 32, v100
	s_delay_alu instid0(VALU_DEP_1) | instskip(SKIP_1) | instid1(VALU_DEP_1)
	v_subrev_nc_u32_e32 v101, 28, v100
	v_sub_nc_u32_e32 v100, 29, v100
	v_dual_cndmask_b32 v100, v102, v100 :: v_dual_lshlrev_b32 v101, v101, v38
	v_lshlrev_b32_e32 v38, 24, v38
	s_delay_alu instid0(VALU_DEP_2) | instskip(NEXT) | instid1(VALU_DEP_3)
	v_and_b32_e32 v101, 7, v101
	v_lshl_add_u32 v100, v100, 23, 0x3b800000
	s_delay_alu instid0(VALU_DEP_2) | instskip(NEXT) | instid1(VALU_DEP_1)
	v_dual_cndmask_b32 v87, v87, v101 :: v_dual_and_b32 v38, 0x80000000, v38
	v_lshlrev_b32_e32 v87, 20, v87
	s_delay_alu instid0(VALU_DEP_1)
	v_or3_b32 v87, v38, v100, v87
.LBB2_3552:                             ;   in Loop: Header=BB2_3330 Depth=2
	s_or_b32 exec_lo, exec_lo, s23
	s_waitcnt vmcnt(0) lgkmcnt(0)
	v_and_b32_e32 v100, 0xff, v37
	s_mov_b32 s7, 0
	s_mov_b32 s24, exec_lo
                                        ; implicit-def: $sgpr23
	s_delay_alu instid0(VALU_DEP_1)
	v_cmpx_lt_i16_e32 0x7f, v100
	s_xor_b32 s24, exec_lo, s24
	s_cbranch_execnz .LBB2_3657
; %bb.3553:                             ;   in Loop: Header=BB2_3330 Depth=2
	s_or_saveexec_b32 s24, s24
	v_mov_b32_e32 v38, s23
	s_xor_b32 exec_lo, exec_lo, s24
	s_cbranch_execnz .LBB2_3660
.LBB2_3554:                             ;   in Loop: Header=BB2_3330 Depth=2
	s_or_b32 exec_lo, exec_lo, s24
	s_and_saveexec_b32 s23, s7
	s_cbranch_execz .LBB2_3556
.LBB2_3555:                             ;   in Loop: Header=BB2_3330 Depth=2
	v_and_b32_e32 v38, 7, v37
	v_lshrrev_b16 v102, 3, v37
	s_delay_alu instid0(VALU_DEP_2) | instskip(NEXT) | instid1(VALU_DEP_2)
	v_clz_i32_u32_e32 v100, v38
	v_and_b32_e32 v102, 15, v102
	s_delay_alu instid0(VALU_DEP_2) | instskip(NEXT) | instid1(VALU_DEP_2)
	v_min_u32_e32 v100, 32, v100
	v_cmp_eq_u32_e32 vcc_lo, 0, v102
	s_delay_alu instid0(VALU_DEP_2) | instskip(SKIP_1) | instid1(VALU_DEP_1)
	v_subrev_nc_u32_e32 v101, 28, v100
	v_sub_nc_u32_e32 v100, 29, v100
	v_dual_cndmask_b32 v100, v102, v100 :: v_dual_lshlrev_b32 v101, v101, v37
	v_lshlrev_b32_e32 v37, 24, v37
	s_delay_alu instid0(VALU_DEP_2) | instskip(NEXT) | instid1(VALU_DEP_3)
	v_and_b32_e32 v101, 7, v101
	v_lshl_add_u32 v100, v100, 23, 0x3b800000
	s_delay_alu instid0(VALU_DEP_3) | instskip(NEXT) | instid1(VALU_DEP_3)
	v_and_b32_e32 v37, 0x80000000, v37
	v_cndmask_b32_e32 v38, v38, v101, vcc_lo
	s_delay_alu instid0(VALU_DEP_1) | instskip(NEXT) | instid1(VALU_DEP_1)
	v_lshlrev_b32_e32 v38, 20, v38
	v_or3_b32 v38, v37, v100, v38
.LBB2_3556:                             ;   in Loop: Header=BB2_3330 Depth=2
	s_or_b32 exec_lo, exec_lo, s23
	s_delay_alu instid0(VALU_DEP_1) | instskip(NEXT) | instid1(VALU_DEP_1)
	v_add_f32_e32 v37, v87, v38
	v_and_b32_e32 v38, 0x7f800000, v37
	s_delay_alu instid0(VALU_DEP_1)
	v_cmp_ne_u32_e32 vcc_lo, 0x7f800000, v38
	v_mov_b32_e32 v38, 0x80
	s_and_saveexec_b32 s23, vcc_lo
	s_cbranch_execz .LBB2_3564
; %bb.3557:                             ;   in Loop: Header=BB2_3330 Depth=2
	v_mov_b32_e32 v38, 0
	s_mov_b32 s24, exec_lo
	v_cmpx_ne_u32_e32 0, v37
	s_cbranch_execz .LBB2_3563
; %bb.3558:                             ;   in Loop: Header=BB2_3330 Depth=2
	v_bfe_u32 v38, v37, 23, 8
	s_delay_alu instid0(VALU_DEP_1) | instskip(SKIP_1) | instid1(VALU_DEP_2)
	v_sub_nc_u32_e32 v100, 0x78, v38
	v_cmp_gt_u32_e32 vcc_lo, 0x79, v38
	v_dual_cndmask_b32 v100, 0, v100 :: v_dual_and_b32 v87, 0x7fffff, v37
	s_delay_alu instid0(VALU_DEP_1) | instskip(SKIP_2) | instid1(VALU_DEP_4)
	v_or_b32_e32 v101, 0x800000, v87
	v_cmp_eq_u32_e32 vcc_lo, 0, v38
	v_add_nc_u32_e32 v38, 0xffffff89, v38
	v_cndmask_b32_e64 v100, v100, 0x77, vcc_lo
	s_delay_alu instid0(VALU_DEP_4) | instskip(NEXT) | instid1(VALU_DEP_3)
	v_cndmask_b32_e32 v87, v101, v87, vcc_lo
	v_cndmask_b32_e64 v38, v38, 0xffffff8a, vcc_lo
	s_delay_alu instid0(VALU_DEP_3) | instskip(NEXT) | instid1(VALU_DEP_3)
	v_lshl_add_u32 v101, 0x100000, v100, -1
	v_lshrrev_b32_e32 v102, v100, v87
	v_lshlrev_b32_e64 v112, v100, 0x80000
	s_delay_alu instid0(VALU_DEP_4) | instskip(NEXT) | instid1(VALU_DEP_4)
	v_add_nc_u32_e32 v100, v100, v38
	v_and_b32_e32 v87, v101, v87
	s_delay_alu instid0(VALU_DEP_4) | instskip(NEXT) | instid1(VALU_DEP_2)
	v_bfe_u32 v103, v102, 20, 1
	v_cmp_eq_u32_e64 s7, v87, v112
	s_delay_alu instid0(VALU_DEP_2) | instskip(NEXT) | instid1(VALU_DEP_1)
	v_add_nc_u32_e32 v101, -1, v103
	v_cndmask_b32_e64 v87, 0, v101, s7
	v_lshrrev_b32_e32 v101, 23, v102
	s_mov_b32 s7, exec_lo
	s_delay_alu instid0(VALU_DEP_2) | instskip(NEXT) | instid1(VALU_DEP_2)
	v_add_nc_u32_e32 v87, v87, v102
	v_xor_b32_e32 v101, 1, v101
	s_delay_alu instid0(VALU_DEP_2) | instskip(NEXT) | instid1(VALU_DEP_1)
	v_and_b32_e32 v38, 0xfffff, v87
	v_add_nc_u32_e32 v87, v38, v102
                                        ; implicit-def: $vgpr38
	s_delay_alu instid0(VALU_DEP_3)
	v_cmpx_ne_u32_e64 v100, v101
	s_xor_b32 s7, exec_lo, s7
; %bb.3559:                             ;   in Loop: Header=BB2_3330 Depth=2
	s_delay_alu instid0(VALU_DEP_2) | instskip(SKIP_2) | instid1(VALU_DEP_2)
	v_cmp_lt_u32_e32 vcc_lo, 0xffffff, v87
	v_sub_nc_u32_e32 v38, v100, v101
	v_cndmask_b32_e64 v100, 0, 1, vcc_lo
	v_add_co_ci_u32_e32 v38, vcc_lo, 0, v38, vcc_lo
	s_delay_alu instid0(VALU_DEP_2)
	v_lshrrev_b32_e32 v87, v100, v87
; %bb.3560:                             ;   in Loop: Header=BB2_3330 Depth=2
	s_and_not1_saveexec_b32 s7, s7
; %bb.3561:                             ;   in Loop: Header=BB2_3330 Depth=2
	s_delay_alu instid0(VALU_DEP_1)
	v_bfe_u32 v38, v87, 23, 1
; %bb.3562:                             ;   in Loop: Header=BB2_3330 Depth=2
	s_or_b32 exec_lo, exec_lo, s7
	v_lshrrev_b32_e32 v87, 20, v87
	s_delay_alu instid0(VALU_DEP_2) | instskip(SKIP_2) | instid1(VALU_DEP_2)
	v_cmp_gt_i32_e32 vcc_lo, 16, v38
	v_min_i32_e32 v100, 15, v38
	v_lshrrev_b32_e32 v37, 24, v37
	v_dual_cndmask_b32 v87, 7, v87 :: v_dual_lshlrev_b32 v100, 3, v100
	s_delay_alu instid0(VALU_DEP_2) | instskip(NEXT) | instid1(VALU_DEP_2)
	v_and_b32_e32 v37, 0x80, v37
	v_or_b32_e32 v38, v38, v87
	s_delay_alu instid0(VALU_DEP_1) | instskip(SKIP_1) | instid1(VALU_DEP_1)
	v_cmp_ne_u32_e32 vcc_lo, 0, v38
	v_and_b32_e32 v101, 7, v87
	v_or3_b32 v37, v100, v37, v101
	s_delay_alu instid0(VALU_DEP_1)
	v_cndmask_b32_e32 v38, 0, v37, vcc_lo
.LBB2_3563:                             ;   in Loop: Header=BB2_3330 Depth=2
	s_or_b32 exec_lo, exec_lo, s24
.LBB2_3564:                             ;   in Loop: Header=BB2_3330 Depth=2
	s_delay_alu instid0(SALU_CYCLE_1)
	s_or_b32 exec_lo, exec_lo, s23
	v_add_co_u32 v100, vcc_lo, 0xffffff20, v35
	v_add_co_ci_u32_e32 v101, vcc_lo, -1, v36, vcc_lo
	v_add_co_u32 v102, vcc_lo, 0xffffff40, v35
	v_add_co_ci_u32_e32 v103, vcc_lo, -1, v36, vcc_lo
	v_sub_nc_u32_e32 v83, v83, v39
	flat_store_b8 v[100:101], v84 glc slc dlc
	flat_store_b8 v[102:103], v97 glc slc dlc
	v_add_co_u32 v100, vcc_lo, 0xffffff60, v35
	v_add_co_ci_u32_e32 v101, vcc_lo, -1, v36, vcc_lo
	v_add_co_u32 v102, vcc_lo, 0xffffff80, v35
	v_add_co_ci_u32_e32 v103, vcc_lo, -1, v36, vcc_lo
	;; [unrolled: 2-line block ×5, first 2 shown]
	v_add_co_u32 v10, vcc_lo, v10, v68
	v_add_co_ci_u32_e32 v11, vcc_lo, v11, v69, vcc_lo
	v_add_co_u32 v12, vcc_lo, v12, v68
	v_add_co_ci_u32_e32 v13, vcc_lo, v13, v69, vcc_lo
	flat_store_b8 v[100:101], v99 glc slc dlc
	flat_store_b8 v[102:103], v98 glc slc dlc
	;; [unrolled: 1-line block ×6, first 2 shown]
	v_cmp_gt_i32_e32 vcc_lo, 1, v83
	v_add_co_u32 v35, s7, v35, v68
	s_delay_alu instid0(VALU_DEP_1) | instskip(SKIP_1) | instid1(SALU_CYCLE_1)
	v_add_co_ci_u32_e64 v36, s7, v36, v69, s7
	s_or_b32 s22, vcc_lo, s22
	s_and_not1_b32 exec_lo, exec_lo, s22
	s_cbranch_execnz .LBB2_3330
	s_branch .LBB2_3661
.LBB2_3565:                             ;   in Loop: Header=BB2_3330 Depth=2
	s_mov_b32 s7, -1
	s_mov_b32 s25, exec_lo
                                        ; implicit-def: $sgpr23
	v_cmpx_eq_u16_e32 0x80, v37
; %bb.3566:                             ;   in Loop: Header=BB2_3330 Depth=2
	s_mov_b32 s23, 0x7f800001
	s_xor_b32 s7, exec_lo, -1
; %bb.3567:                             ;   in Loop: Header=BB2_3330 Depth=2
	s_or_b32 exec_lo, exec_lo, s25
	s_delay_alu instid0(SALU_CYCLE_1)
	s_and_b32 s7, s7, exec_lo
	s_or_saveexec_b32 s24, s24
	v_mov_b32_e32 v84, s23
	s_xor_b32 exec_lo, exec_lo, s24
	s_cbranch_execz .LBB2_3342
.LBB2_3568:                             ;   in Loop: Header=BB2_3330 Depth=2
	v_cmp_ne_u16_e32 vcc_lo, 0, v37
	v_mov_b32_e32 v84, 0
	s_and_not1_b32 s7, s7, exec_lo
	s_and_b32 s23, vcc_lo, exec_lo
	s_delay_alu instid0(SALU_CYCLE_1)
	s_or_b32 s7, s7, s23
	s_or_b32 exec_lo, exec_lo, s24
	s_and_saveexec_b32 s23, s7
	s_cbranch_execnz .LBB2_3343
	s_branch .LBB2_3344
.LBB2_3569:                             ;   in Loop: Header=BB2_3330 Depth=2
	s_mov_b32 s7, -1
	s_mov_b32 s25, exec_lo
                                        ; implicit-def: $sgpr23
	v_cmpx_eq_u16_e32 0x80, v37
; %bb.3570:                             ;   in Loop: Header=BB2_3330 Depth=2
	s_mov_b32 s23, 0x7f800001
	s_xor_b32 s7, exec_lo, -1
; %bb.3571:                             ;   in Loop: Header=BB2_3330 Depth=2
	s_or_b32 exec_lo, exec_lo, s25
	s_delay_alu instid0(SALU_CYCLE_1)
	s_and_b32 s7, s7, exec_lo
	s_or_saveexec_b32 s24, s24
	v_mov_b32_e32 v85, s23
	s_xor_b32 exec_lo, exec_lo, s24
	s_cbranch_execz .LBB2_3354
.LBB2_3572:                             ;   in Loop: Header=BB2_3330 Depth=2
	v_cmp_ne_u16_e32 vcc_lo, 0, v37
	v_mov_b32_e32 v85, 0
	s_and_not1_b32 s7, s7, exec_lo
	s_and_b32 s23, vcc_lo, exec_lo
	s_delay_alu instid0(SALU_CYCLE_1)
	s_or_b32 s7, s7, s23
	s_or_b32 exec_lo, exec_lo, s24
	s_and_saveexec_b32 s23, s7
	s_cbranch_execnz .LBB2_3355
	s_branch .LBB2_3356
.LBB2_3573:                             ;   in Loop: Header=BB2_3330 Depth=2
	s_mov_b32 s7, -1
	s_mov_b32 s25, exec_lo
                                        ; implicit-def: $sgpr23
	v_cmpx_eq_u16_e32 0x80, v37
; %bb.3574:                             ;   in Loop: Header=BB2_3330 Depth=2
	s_mov_b32 s23, 0x7f800001
	s_xor_b32 s7, exec_lo, -1
; %bb.3575:                             ;   in Loop: Header=BB2_3330 Depth=2
	s_or_b32 exec_lo, exec_lo, s25
	s_delay_alu instid0(SALU_CYCLE_1)
	s_and_b32 s7, s7, exec_lo
	s_or_saveexec_b32 s24, s24
	v_mov_b32_e32 v85, s23
	s_xor_b32 exec_lo, exec_lo, s24
	s_cbranch_execz .LBB2_3366
.LBB2_3576:                             ;   in Loop: Header=BB2_3330 Depth=2
	v_cmp_ne_u16_e32 vcc_lo, 0, v37
	v_mov_b32_e32 v85, 0
	s_and_not1_b32 s7, s7, exec_lo
	s_and_b32 s23, vcc_lo, exec_lo
	s_delay_alu instid0(SALU_CYCLE_1)
	s_or_b32 s7, s7, s23
	s_or_b32 exec_lo, exec_lo, s24
	s_and_saveexec_b32 s23, s7
	s_cbranch_execnz .LBB2_3367
	s_branch .LBB2_3368
.LBB2_3577:                             ;   in Loop: Header=BB2_3330 Depth=2
	s_mov_b32 s7, -1
	s_mov_b32 s25, exec_lo
                                        ; implicit-def: $sgpr23
	v_cmpx_eq_u16_e32 0x80, v37
; %bb.3578:                             ;   in Loop: Header=BB2_3330 Depth=2
	s_mov_b32 s23, 0x7f800001
	s_xor_b32 s7, exec_lo, -1
; %bb.3579:                             ;   in Loop: Header=BB2_3330 Depth=2
	s_or_b32 exec_lo, exec_lo, s25
	s_delay_alu instid0(SALU_CYCLE_1)
	s_and_b32 s7, s7, exec_lo
	s_or_saveexec_b32 s24, s24
	v_mov_b32_e32 v85, s23
	s_xor_b32 exec_lo, exec_lo, s24
	s_cbranch_execz .LBB2_3378
.LBB2_3580:                             ;   in Loop: Header=BB2_3330 Depth=2
	v_cmp_ne_u16_e32 vcc_lo, 0, v37
	v_mov_b32_e32 v85, 0
	s_and_not1_b32 s7, s7, exec_lo
	s_and_b32 s23, vcc_lo, exec_lo
	s_delay_alu instid0(SALU_CYCLE_1)
	s_or_b32 s7, s7, s23
	s_or_b32 exec_lo, exec_lo, s24
	s_and_saveexec_b32 s23, s7
	s_cbranch_execnz .LBB2_3379
	s_branch .LBB2_3380
.LBB2_3581:                             ;   in Loop: Header=BB2_3330 Depth=2
	s_mov_b32 s7, -1
	s_mov_b32 s25, exec_lo
                                        ; implicit-def: $sgpr23
	v_cmpx_eq_u16_e32 0x80, v37
; %bb.3582:                             ;   in Loop: Header=BB2_3330 Depth=2
	s_mov_b32 s23, 0x7f800001
	s_xor_b32 s7, exec_lo, -1
; %bb.3583:                             ;   in Loop: Header=BB2_3330 Depth=2
	s_or_b32 exec_lo, exec_lo, s25
	s_delay_alu instid0(SALU_CYCLE_1)
	s_and_b32 s7, s7, exec_lo
	s_or_saveexec_b32 s24, s24
	v_mov_b32_e32 v85, s23
	s_xor_b32 exec_lo, exec_lo, s24
	s_cbranch_execz .LBB2_3390
.LBB2_3584:                             ;   in Loop: Header=BB2_3330 Depth=2
	v_cmp_ne_u16_e32 vcc_lo, 0, v37
	v_mov_b32_e32 v85, 0
	s_and_not1_b32 s7, s7, exec_lo
	s_and_b32 s23, vcc_lo, exec_lo
	s_delay_alu instid0(SALU_CYCLE_1)
	s_or_b32 s7, s7, s23
	s_or_b32 exec_lo, exec_lo, s24
	s_and_saveexec_b32 s23, s7
	s_cbranch_execnz .LBB2_3391
	s_branch .LBB2_3392
.LBB2_3585:                             ;   in Loop: Header=BB2_3330 Depth=2
	s_mov_b32 s7, -1
	s_mov_b32 s25, exec_lo
                                        ; implicit-def: $sgpr23
	v_cmpx_eq_u16_e32 0x80, v37
; %bb.3586:                             ;   in Loop: Header=BB2_3330 Depth=2
	s_mov_b32 s23, 0x7f800001
	s_xor_b32 s7, exec_lo, -1
; %bb.3587:                             ;   in Loop: Header=BB2_3330 Depth=2
	s_or_b32 exec_lo, exec_lo, s25
	s_delay_alu instid0(SALU_CYCLE_1)
	s_and_b32 s7, s7, exec_lo
	s_or_saveexec_b32 s24, s24
	v_mov_b32_e32 v85, s23
	s_xor_b32 exec_lo, exec_lo, s24
	s_cbranch_execz .LBB2_3402
.LBB2_3588:                             ;   in Loop: Header=BB2_3330 Depth=2
	v_cmp_ne_u16_e32 vcc_lo, 0, v37
	v_mov_b32_e32 v85, 0
	s_and_not1_b32 s7, s7, exec_lo
	s_and_b32 s23, vcc_lo, exec_lo
	s_delay_alu instid0(SALU_CYCLE_1)
	s_or_b32 s7, s7, s23
	s_or_b32 exec_lo, exec_lo, s24
	s_and_saveexec_b32 s23, s7
	s_cbranch_execnz .LBB2_3403
	s_branch .LBB2_3404
.LBB2_3589:                             ;   in Loop: Header=BB2_3330 Depth=2
	s_mov_b32 s7, -1
	s_mov_b32 s25, exec_lo
                                        ; implicit-def: $sgpr23
	v_cmpx_eq_u16_e32 0x80, v37
; %bb.3590:                             ;   in Loop: Header=BB2_3330 Depth=2
	s_mov_b32 s23, 0x7f800001
	s_xor_b32 s7, exec_lo, -1
; %bb.3591:                             ;   in Loop: Header=BB2_3330 Depth=2
	s_or_b32 exec_lo, exec_lo, s25
	s_delay_alu instid0(SALU_CYCLE_1)
	s_and_b32 s7, s7, exec_lo
	s_or_saveexec_b32 s24, s24
	v_mov_b32_e32 v85, s23
	s_xor_b32 exec_lo, exec_lo, s24
	s_cbranch_execz .LBB2_3414
.LBB2_3592:                             ;   in Loop: Header=BB2_3330 Depth=2
	v_cmp_ne_u16_e32 vcc_lo, 0, v37
	v_mov_b32_e32 v85, 0
	s_and_not1_b32 s7, s7, exec_lo
	s_and_b32 s23, vcc_lo, exec_lo
	s_delay_alu instid0(SALU_CYCLE_1)
	s_or_b32 s7, s7, s23
	s_or_b32 exec_lo, exec_lo, s24
	s_and_saveexec_b32 s23, s7
	s_cbranch_execnz .LBB2_3415
	s_branch .LBB2_3416
.LBB2_3593:                             ;   in Loop: Header=BB2_3330 Depth=2
	s_mov_b32 s7, -1
	s_mov_b32 s25, exec_lo
                                        ; implicit-def: $sgpr23
	v_cmpx_eq_u16_e32 0x80, v37
; %bb.3594:                             ;   in Loop: Header=BB2_3330 Depth=2
	s_mov_b32 s23, 0x7f800001
	s_xor_b32 s7, exec_lo, -1
; %bb.3595:                             ;   in Loop: Header=BB2_3330 Depth=2
	s_or_b32 exec_lo, exec_lo, s25
	s_delay_alu instid0(SALU_CYCLE_1)
	s_and_b32 s7, s7, exec_lo
	s_or_saveexec_b32 s24, s24
	v_mov_b32_e32 v87, s23
	s_xor_b32 exec_lo, exec_lo, s24
	s_cbranch_execz .LBB2_3426
.LBB2_3596:                             ;   in Loop: Header=BB2_3330 Depth=2
	v_cmp_ne_u16_e32 vcc_lo, 0, v37
	v_mov_b32_e32 v87, 0
	s_and_not1_b32 s7, s7, exec_lo
	s_and_b32 s23, vcc_lo, exec_lo
	s_delay_alu instid0(SALU_CYCLE_1)
	s_or_b32 s7, s7, s23
	s_or_b32 exec_lo, exec_lo, s24
	s_and_saveexec_b32 s23, s7
	s_cbranch_execnz .LBB2_3427
	s_branch .LBB2_3428
.LBB2_3597:                             ;   in Loop: Header=BB2_3330 Depth=2
	s_mov_b32 s7, -1
	s_mov_b32 s25, exec_lo
                                        ; implicit-def: $sgpr23
	v_cmpx_eq_u16_e32 0x80, v115
; %bb.3598:                             ;   in Loop: Header=BB2_3330 Depth=2
	s_mov_b32 s23, 0x7f800001
	s_xor_b32 s7, exec_lo, -1
; %bb.3599:                             ;   in Loop: Header=BB2_3330 Depth=2
	s_or_b32 exec_lo, exec_lo, s25
	s_delay_alu instid0(SALU_CYCLE_1)
	s_and_b32 s7, s7, exec_lo
                                        ; implicit-def: $vgpr115
	s_or_saveexec_b32 s24, s24
	v_mov_b32_e32 v114, s23
	s_xor_b32 exec_lo, exec_lo, s24
	s_cbranch_execz .LBB2_3438
.LBB2_3600:                             ;   in Loop: Header=BB2_3330 Depth=2
	v_cmp_ne_u16_e32 vcc_lo, 0, v115
	v_mov_b32_e32 v114, 0
	s_and_not1_b32 s7, s7, exec_lo
	s_and_b32 s23, vcc_lo, exec_lo
	s_delay_alu instid0(SALU_CYCLE_1)
	s_or_b32 s7, s7, s23
	s_or_b32 exec_lo, exec_lo, s24
	s_and_saveexec_b32 s23, s7
	s_cbranch_execnz .LBB2_3439
	s_branch .LBB2_3440
.LBB2_3601:                             ;   in Loop: Header=BB2_3330 Depth=2
	s_mov_b32 s7, -1
	s_mov_b32 s25, exec_lo
                                        ; implicit-def: $sgpr23
	v_cmpx_eq_u16_e32 0x80, v115
; %bb.3602:                             ;   in Loop: Header=BB2_3330 Depth=2
	s_mov_b32 s23, 0x7f800001
	s_xor_b32 s7, exec_lo, -1
; %bb.3603:                             ;   in Loop: Header=BB2_3330 Depth=2
	s_or_b32 exec_lo, exec_lo, s25
	s_delay_alu instid0(SALU_CYCLE_1)
	s_and_b32 s7, s7, exec_lo
                                        ; implicit-def: $vgpr115
	s_or_saveexec_b32 s24, s24
	v_mov_b32_e32 v84, s23
	s_xor_b32 exec_lo, exec_lo, s24
	s_cbranch_execz .LBB2_3442
.LBB2_3604:                             ;   in Loop: Header=BB2_3330 Depth=2
	v_cmp_ne_u16_e32 vcc_lo, 0, v115
	v_mov_b32_e32 v84, 0
	s_and_not1_b32 s7, s7, exec_lo
	s_and_b32 s23, vcc_lo, exec_lo
	s_delay_alu instid0(SALU_CYCLE_1)
	s_or_b32 s7, s7, s23
	s_or_b32 exec_lo, exec_lo, s24
	s_and_saveexec_b32 s23, s7
	s_cbranch_execnz .LBB2_3443
	s_branch .LBB2_3444
.LBB2_3605:                             ;   in Loop: Header=BB2_3330 Depth=2
	s_mov_b32 s7, -1
	s_mov_b32 s25, exec_lo
                                        ; implicit-def: $sgpr23
	v_cmpx_eq_u16_e32 0x80, v114
; %bb.3606:                             ;   in Loop: Header=BB2_3330 Depth=2
	s_mov_b32 s23, 0x7f800001
	s_xor_b32 s7, exec_lo, -1
; %bb.3607:                             ;   in Loop: Header=BB2_3330 Depth=2
	s_or_b32 exec_lo, exec_lo, s25
	s_delay_alu instid0(SALU_CYCLE_1)
	s_and_b32 s7, s7, exec_lo
                                        ; implicit-def: $vgpr114
	s_or_saveexec_b32 s24, s24
	v_mov_b32_e32 v113, s23
	s_xor_b32 exec_lo, exec_lo, s24
	s_cbranch_execz .LBB2_3454
.LBB2_3608:                             ;   in Loop: Header=BB2_3330 Depth=2
	v_cmp_ne_u16_e32 vcc_lo, 0, v114
	v_mov_b32_e32 v113, 0
	s_and_not1_b32 s7, s7, exec_lo
	s_and_b32 s23, vcc_lo, exec_lo
	s_delay_alu instid0(SALU_CYCLE_1)
	s_or_b32 s7, s7, s23
	s_or_b32 exec_lo, exec_lo, s24
	s_and_saveexec_b32 s23, s7
	s_cbranch_execnz .LBB2_3455
	s_branch .LBB2_3456
.LBB2_3609:                             ;   in Loop: Header=BB2_3330 Depth=2
	s_mov_b32 s7, -1
	s_mov_b32 s25, exec_lo
                                        ; implicit-def: $sgpr23
	v_cmpx_eq_u16_e32 0x80, v114
; %bb.3610:                             ;   in Loop: Header=BB2_3330 Depth=2
	s_mov_b32 s23, 0x7f800001
	s_xor_b32 s7, exec_lo, -1
; %bb.3611:                             ;   in Loop: Header=BB2_3330 Depth=2
	s_or_b32 exec_lo, exec_lo, s25
	s_delay_alu instid0(SALU_CYCLE_1)
	s_and_b32 s7, s7, exec_lo
                                        ; implicit-def: $vgpr114
	s_or_saveexec_b32 s24, s24
	v_mov_b32_e32 v97, s23
	s_xor_b32 exec_lo, exec_lo, s24
	s_cbranch_execz .LBB2_3458
.LBB2_3612:                             ;   in Loop: Header=BB2_3330 Depth=2
	v_cmp_ne_u16_e32 vcc_lo, 0, v114
	v_mov_b32_e32 v97, 0
	s_and_not1_b32 s7, s7, exec_lo
	s_and_b32 s23, vcc_lo, exec_lo
	s_delay_alu instid0(SALU_CYCLE_1)
	s_or_b32 s7, s7, s23
	s_or_b32 exec_lo, exec_lo, s24
	s_and_saveexec_b32 s23, s7
	s_cbranch_execnz .LBB2_3459
	s_branch .LBB2_3460
.LBB2_3613:                             ;   in Loop: Header=BB2_3330 Depth=2
	s_mov_b32 s7, -1
	s_mov_b32 s25, exec_lo
                                        ; implicit-def: $sgpr23
	v_cmpx_eq_u16_e32 0x80, v113
; %bb.3614:                             ;   in Loop: Header=BB2_3330 Depth=2
	s_mov_b32 s23, 0x7f800001
	s_xor_b32 s7, exec_lo, -1
; %bb.3615:                             ;   in Loop: Header=BB2_3330 Depth=2
	s_or_b32 exec_lo, exec_lo, s25
	s_delay_alu instid0(SALU_CYCLE_1)
	s_and_b32 s7, s7, exec_lo
                                        ; implicit-def: $vgpr113
	s_or_saveexec_b32 s24, s24
	v_mov_b32_e32 v112, s23
	s_xor_b32 exec_lo, exec_lo, s24
	s_cbranch_execz .LBB2_3470
.LBB2_3616:                             ;   in Loop: Header=BB2_3330 Depth=2
	v_cmp_ne_u16_e32 vcc_lo, 0, v113
	v_mov_b32_e32 v112, 0
	s_and_not1_b32 s7, s7, exec_lo
	s_and_b32 s23, vcc_lo, exec_lo
	s_delay_alu instid0(SALU_CYCLE_1)
	s_or_b32 s7, s7, s23
	s_or_b32 exec_lo, exec_lo, s24
	s_and_saveexec_b32 s23, s7
	s_cbranch_execnz .LBB2_3471
	s_branch .LBB2_3472
.LBB2_3617:                             ;   in Loop: Header=BB2_3330 Depth=2
	s_mov_b32 s7, -1
	s_mov_b32 s25, exec_lo
                                        ; implicit-def: $sgpr23
	v_cmpx_eq_u16_e32 0x80, v113
; %bb.3618:                             ;   in Loop: Header=BB2_3330 Depth=2
	s_mov_b32 s23, 0x7f800001
	s_xor_b32 s7, exec_lo, -1
; %bb.3619:                             ;   in Loop: Header=BB2_3330 Depth=2
	s_or_b32 exec_lo, exec_lo, s25
	s_delay_alu instid0(SALU_CYCLE_1)
	s_and_b32 s7, s7, exec_lo
                                        ; implicit-def: $vgpr113
	s_or_saveexec_b32 s24, s24
	v_mov_b32_e32 v99, s23
	s_xor_b32 exec_lo, exec_lo, s24
	s_cbranch_execz .LBB2_3474
.LBB2_3620:                             ;   in Loop: Header=BB2_3330 Depth=2
	v_cmp_ne_u16_e32 vcc_lo, 0, v113
	v_mov_b32_e32 v99, 0
	s_and_not1_b32 s7, s7, exec_lo
	s_and_b32 s23, vcc_lo, exec_lo
	s_delay_alu instid0(SALU_CYCLE_1)
	s_or_b32 s7, s7, s23
	s_or_b32 exec_lo, exec_lo, s24
	s_and_saveexec_b32 s23, s7
	s_cbranch_execnz .LBB2_3475
	s_branch .LBB2_3476
.LBB2_3621:                             ;   in Loop: Header=BB2_3330 Depth=2
	s_mov_b32 s7, -1
	s_mov_b32 s25, exec_lo
                                        ; implicit-def: $sgpr23
	v_cmpx_eq_u16_e32 0x80, v112
; %bb.3622:                             ;   in Loop: Header=BB2_3330 Depth=2
	s_mov_b32 s23, 0x7f800001
	s_xor_b32 s7, exec_lo, -1
; %bb.3623:                             ;   in Loop: Header=BB2_3330 Depth=2
	s_or_b32 exec_lo, exec_lo, s25
	s_delay_alu instid0(SALU_CYCLE_1)
	s_and_b32 s7, s7, exec_lo
                                        ; implicit-def: $vgpr112
	s_or_saveexec_b32 s24, s24
	v_mov_b32_e32 v103, s23
	s_xor_b32 exec_lo, exec_lo, s24
	s_cbranch_execz .LBB2_3486
.LBB2_3624:                             ;   in Loop: Header=BB2_3330 Depth=2
	v_cmp_ne_u16_e32 vcc_lo, 0, v112
	v_mov_b32_e32 v103, 0
	s_and_not1_b32 s7, s7, exec_lo
	s_and_b32 s23, vcc_lo, exec_lo
	s_delay_alu instid0(SALU_CYCLE_1)
	s_or_b32 s7, s7, s23
	s_or_b32 exec_lo, exec_lo, s24
	s_and_saveexec_b32 s23, s7
	s_cbranch_execnz .LBB2_3487
	s_branch .LBB2_3488
.LBB2_3625:                             ;   in Loop: Header=BB2_3330 Depth=2
	s_mov_b32 s7, -1
	s_mov_b32 s25, exec_lo
                                        ; implicit-def: $sgpr23
	v_cmpx_eq_u16_e32 0x80, v112
; %bb.3626:                             ;   in Loop: Header=BB2_3330 Depth=2
	s_mov_b32 s23, 0x7f800001
	s_xor_b32 s7, exec_lo, -1
; %bb.3627:                             ;   in Loop: Header=BB2_3330 Depth=2
	s_or_b32 exec_lo, exec_lo, s25
	s_delay_alu instid0(SALU_CYCLE_1)
	s_and_b32 s7, s7, exec_lo
                                        ; implicit-def: $vgpr112
	s_or_saveexec_b32 s24, s24
	v_mov_b32_e32 v98, s23
	s_xor_b32 exec_lo, exec_lo, s24
	s_cbranch_execz .LBB2_3490
.LBB2_3628:                             ;   in Loop: Header=BB2_3330 Depth=2
	v_cmp_ne_u16_e32 vcc_lo, 0, v112
	v_mov_b32_e32 v98, 0
	s_and_not1_b32 s7, s7, exec_lo
	s_and_b32 s23, vcc_lo, exec_lo
	s_delay_alu instid0(SALU_CYCLE_1)
	s_or_b32 s7, s7, s23
	s_or_b32 exec_lo, exec_lo, s24
	s_and_saveexec_b32 s23, s7
	s_cbranch_execnz .LBB2_3491
	s_branch .LBB2_3492
.LBB2_3629:                             ;   in Loop: Header=BB2_3330 Depth=2
	s_mov_b32 s7, -1
	s_mov_b32 s25, exec_lo
                                        ; implicit-def: $sgpr23
	v_cmpx_eq_u16_e32 0x80, v103
; %bb.3630:                             ;   in Loop: Header=BB2_3330 Depth=2
	s_mov_b32 s23, 0x7f800001
	s_xor_b32 s7, exec_lo, -1
; %bb.3631:                             ;   in Loop: Header=BB2_3330 Depth=2
	s_or_b32 exec_lo, exec_lo, s25
	s_delay_alu instid0(SALU_CYCLE_1)
	s_and_b32 s7, s7, exec_lo
                                        ; implicit-def: $vgpr103
	s_or_saveexec_b32 s24, s24
	v_mov_b32_e32 v102, s23
	s_xor_b32 exec_lo, exec_lo, s24
	s_cbranch_execz .LBB2_3502
.LBB2_3632:                             ;   in Loop: Header=BB2_3330 Depth=2
	v_cmp_ne_u16_e32 vcc_lo, 0, v103
	v_mov_b32_e32 v102, 0
	s_and_not1_b32 s7, s7, exec_lo
	s_and_b32 s23, vcc_lo, exec_lo
	s_delay_alu instid0(SALU_CYCLE_1)
	s_or_b32 s7, s7, s23
	s_or_b32 exec_lo, exec_lo, s24
	s_and_saveexec_b32 s23, s7
	s_cbranch_execnz .LBB2_3503
	s_branch .LBB2_3504
.LBB2_3633:                             ;   in Loop: Header=BB2_3330 Depth=2
	s_mov_b32 s7, -1
	s_mov_b32 s25, exec_lo
                                        ; implicit-def: $sgpr23
	v_cmpx_eq_u16_e32 0x80, v103
; %bb.3634:                             ;   in Loop: Header=BB2_3330 Depth=2
	s_mov_b32 s23, 0x7f800001
	s_xor_b32 s7, exec_lo, -1
; %bb.3635:                             ;   in Loop: Header=BB2_3330 Depth=2
	s_or_b32 exec_lo, exec_lo, s25
	s_delay_alu instid0(SALU_CYCLE_1)
	s_and_b32 s7, s7, exec_lo
                                        ; implicit-def: $vgpr103
	s_or_saveexec_b32 s24, s24
	v_mov_b32_e32 v96, s23
	s_xor_b32 exec_lo, exec_lo, s24
	s_cbranch_execz .LBB2_3506
.LBB2_3636:                             ;   in Loop: Header=BB2_3330 Depth=2
	v_cmp_ne_u16_e32 vcc_lo, 0, v103
	v_mov_b32_e32 v96, 0
	s_and_not1_b32 s7, s7, exec_lo
	s_and_b32 s23, vcc_lo, exec_lo
	s_delay_alu instid0(SALU_CYCLE_1)
	s_or_b32 s7, s7, s23
	s_or_b32 exec_lo, exec_lo, s24
	s_and_saveexec_b32 s23, s7
	s_cbranch_execnz .LBB2_3507
	s_branch .LBB2_3508
.LBB2_3637:                             ;   in Loop: Header=BB2_3330 Depth=2
	s_mov_b32 s7, -1
	s_mov_b32 s25, exec_lo
                                        ; implicit-def: $sgpr23
	v_cmpx_eq_u16_e32 0x80, v102
; %bb.3638:                             ;   in Loop: Header=BB2_3330 Depth=2
	s_mov_b32 s23, 0x7f800001
	s_xor_b32 s7, exec_lo, -1
; %bb.3639:                             ;   in Loop: Header=BB2_3330 Depth=2
	s_or_b32 exec_lo, exec_lo, s25
	s_delay_alu instid0(SALU_CYCLE_1)
	s_and_b32 s7, s7, exec_lo
                                        ; implicit-def: $vgpr102
	s_or_saveexec_b32 s24, s24
	v_mov_b32_e32 v101, s23
	s_xor_b32 exec_lo, exec_lo, s24
	s_cbranch_execz .LBB2_3518
.LBB2_3640:                             ;   in Loop: Header=BB2_3330 Depth=2
	v_cmp_ne_u16_e32 vcc_lo, 0, v102
	v_mov_b32_e32 v101, 0
	s_and_not1_b32 s7, s7, exec_lo
	s_and_b32 s23, vcc_lo, exec_lo
	s_delay_alu instid0(SALU_CYCLE_1)
	s_or_b32 s7, s7, s23
	s_or_b32 exec_lo, exec_lo, s24
	s_and_saveexec_b32 s23, s7
	s_cbranch_execnz .LBB2_3519
	s_branch .LBB2_3520
.LBB2_3641:                             ;   in Loop: Header=BB2_3330 Depth=2
	s_mov_b32 s7, -1
	s_mov_b32 s25, exec_lo
                                        ; implicit-def: $sgpr23
	v_cmpx_eq_u16_e32 0x80, v102
; %bb.3642:                             ;   in Loop: Header=BB2_3330 Depth=2
	s_mov_b32 s23, 0x7f800001
	s_xor_b32 s7, exec_lo, -1
; %bb.3643:                             ;   in Loop: Header=BB2_3330 Depth=2
	s_or_b32 exec_lo, exec_lo, s25
	s_delay_alu instid0(SALU_CYCLE_1)
	s_and_b32 s7, s7, exec_lo
                                        ; implicit-def: $vgpr102
	s_or_saveexec_b32 s24, s24
	v_mov_b32_e32 v86, s23
	s_xor_b32 exec_lo, exec_lo, s24
	s_cbranch_execz .LBB2_3522
.LBB2_3644:                             ;   in Loop: Header=BB2_3330 Depth=2
	v_cmp_ne_u16_e32 vcc_lo, 0, v102
	v_mov_b32_e32 v86, 0
	s_and_not1_b32 s7, s7, exec_lo
	s_and_b32 s23, vcc_lo, exec_lo
	s_delay_alu instid0(SALU_CYCLE_1)
	s_or_b32 s7, s7, s23
	s_or_b32 exec_lo, exec_lo, s24
	s_and_saveexec_b32 s23, s7
	s_cbranch_execnz .LBB2_3523
	s_branch .LBB2_3524
.LBB2_3645:                             ;   in Loop: Header=BB2_3330 Depth=2
	s_mov_b32 s7, -1
	s_mov_b32 s25, exec_lo
                                        ; implicit-def: $sgpr23
	v_cmpx_eq_u16_e32 0x80, v101
; %bb.3646:                             ;   in Loop: Header=BB2_3330 Depth=2
	s_mov_b32 s23, 0x7f800001
	s_xor_b32 s7, exec_lo, -1
; %bb.3647:                             ;   in Loop: Header=BB2_3330 Depth=2
	s_or_b32 exec_lo, exec_lo, s25
	s_delay_alu instid0(SALU_CYCLE_1)
	s_and_b32 s7, s7, exec_lo
                                        ; implicit-def: $vgpr101
	s_or_saveexec_b32 s24, s24
	v_mov_b32_e32 v100, s23
	s_xor_b32 exec_lo, exec_lo, s24
	s_cbranch_execz .LBB2_3534
.LBB2_3648:                             ;   in Loop: Header=BB2_3330 Depth=2
	v_cmp_ne_u16_e32 vcc_lo, 0, v101
	v_mov_b32_e32 v100, 0
	s_and_not1_b32 s7, s7, exec_lo
	s_and_b32 s23, vcc_lo, exec_lo
	s_delay_alu instid0(SALU_CYCLE_1)
	s_or_b32 s7, s7, s23
	s_or_b32 exec_lo, exec_lo, s24
	s_and_saveexec_b32 s23, s7
	s_cbranch_execnz .LBB2_3535
	s_branch .LBB2_3536
.LBB2_3649:                             ;   in Loop: Header=BB2_3330 Depth=2
	s_mov_b32 s7, -1
	s_mov_b32 s25, exec_lo
                                        ; implicit-def: $sgpr23
	v_cmpx_eq_u16_e32 0x80, v101
; %bb.3650:                             ;   in Loop: Header=BB2_3330 Depth=2
	s_mov_b32 s23, 0x7f800001
	s_xor_b32 s7, exec_lo, -1
; %bb.3651:                             ;   in Loop: Header=BB2_3330 Depth=2
	s_or_b32 exec_lo, exec_lo, s25
	s_delay_alu instid0(SALU_CYCLE_1)
	s_and_b32 s7, s7, exec_lo
                                        ; implicit-def: $vgpr101
	s_or_saveexec_b32 s24, s24
	v_mov_b32_e32 v85, s23
	s_xor_b32 exec_lo, exec_lo, s24
	s_cbranch_execz .LBB2_3538
.LBB2_3652:                             ;   in Loop: Header=BB2_3330 Depth=2
	v_cmp_ne_u16_e32 vcc_lo, 0, v101
	v_mov_b32_e32 v85, 0
	s_and_not1_b32 s7, s7, exec_lo
	s_and_b32 s23, vcc_lo, exec_lo
	s_delay_alu instid0(SALU_CYCLE_1)
	s_or_b32 s7, s7, s23
	s_or_b32 exec_lo, exec_lo, s24
	s_and_saveexec_b32 s23, s7
	s_cbranch_execnz .LBB2_3539
	s_branch .LBB2_3540
.LBB2_3653:                             ;   in Loop: Header=BB2_3330 Depth=2
	s_mov_b32 s7, -1
	s_mov_b32 s25, exec_lo
                                        ; implicit-def: $sgpr23
	v_cmpx_eq_u16_e32 0x80, v100
; %bb.3654:                             ;   in Loop: Header=BB2_3330 Depth=2
	s_mov_b32 s23, 0x7f800001
	s_xor_b32 s7, exec_lo, -1
; %bb.3655:                             ;   in Loop: Header=BB2_3330 Depth=2
	s_or_b32 exec_lo, exec_lo, s25
	s_delay_alu instid0(SALU_CYCLE_1)
	s_and_b32 s7, s7, exec_lo
                                        ; implicit-def: $vgpr100
	s_or_saveexec_b32 s24, s24
	v_mov_b32_e32 v87, s23
	s_xor_b32 exec_lo, exec_lo, s24
	s_cbranch_execz .LBB2_3550
.LBB2_3656:                             ;   in Loop: Header=BB2_3330 Depth=2
	v_cmp_ne_u16_e32 vcc_lo, 0, v100
	v_mov_b32_e32 v87, 0
	s_and_not1_b32 s7, s7, exec_lo
	s_and_b32 s23, vcc_lo, exec_lo
	s_delay_alu instid0(SALU_CYCLE_1)
	s_or_b32 s7, s7, s23
	s_or_b32 exec_lo, exec_lo, s24
	s_and_saveexec_b32 s23, s7
	s_cbranch_execnz .LBB2_3551
	s_branch .LBB2_3552
.LBB2_3657:                             ;   in Loop: Header=BB2_3330 Depth=2
	s_mov_b32 s7, -1
	s_mov_b32 s25, exec_lo
                                        ; implicit-def: $sgpr23
	v_cmpx_eq_u16_e32 0x80, v100
; %bb.3658:                             ;   in Loop: Header=BB2_3330 Depth=2
	s_mov_b32 s23, 0x7f800001
	s_xor_b32 s7, exec_lo, -1
; %bb.3659:                             ;   in Loop: Header=BB2_3330 Depth=2
	s_or_b32 exec_lo, exec_lo, s25
	s_delay_alu instid0(SALU_CYCLE_1)
	s_and_b32 s7, s7, exec_lo
                                        ; implicit-def: $vgpr100
	s_or_saveexec_b32 s24, s24
	v_mov_b32_e32 v38, s23
	s_xor_b32 exec_lo, exec_lo, s24
	s_cbranch_execz .LBB2_3554
.LBB2_3660:                             ;   in Loop: Header=BB2_3330 Depth=2
	v_cmp_ne_u16_e32 vcc_lo, 0, v100
	v_mov_b32_e32 v38, 0
	s_and_not1_b32 s7, s7, exec_lo
	s_and_b32 s23, vcc_lo, exec_lo
	s_delay_alu instid0(SALU_CYCLE_1)
	s_or_b32 s7, s7, s23
	s_or_b32 exec_lo, exec_lo, s24
	s_and_saveexec_b32 s23, s7
	s_cbranch_execnz .LBB2_3555
	s_branch .LBB2_3556
.LBB2_3661:                             ;   in Loop: Header=BB2_1935 Depth=1
	s_or_b32 exec_lo, exec_lo, s22
.LBB2_3662:                             ;   in Loop: Header=BB2_1935 Depth=1
	s_delay_alu instid0(SALU_CYCLE_1) | instskip(SKIP_1) | instid1(VALU_DEP_1)
	s_or_b32 exec_lo, exec_lo, s21
	v_and_b32_e32 v10, 0xffffff00, v82
	v_cmp_ne_u32_e32 vcc_lo, v82, v10
	s_and_b32 exec_lo, exec_lo, vcc_lo
	s_cbranch_execz .LBB2_3717
; %bb.3663:                             ;   in Loop: Header=BB2_1935 Depth=1
	v_lshlrev_b32_e32 v11, 5, v49
	v_lshlrev_b32_e32 v12, 5, v83
	s_delay_alu instid0(VALU_DEP_2) | instskip(NEXT) | instid1(VALU_DEP_1)
	v_sub_nc_u32_e32 v11, v48, v11
	v_sub_nc_u32_e32 v11, v11, v12
	v_and_b32_e32 v12, 0xff, v82
	s_delay_alu instid0(VALU_DEP_1) | instskip(NEXT) | instid1(VALU_DEP_1)
	v_sub_nc_u32_e32 v48, v12, v11
	v_cmp_lt_i32_e32 vcc_lo, 0, v48
	s_and_b32 exec_lo, exec_lo, vcc_lo
	s_cbranch_execz .LBB2_3717
; %bb.3664:                             ;   in Loop: Header=BB2_1935 Depth=1
	s_cbranch_execnz .LBB2_5211
; %bb.3665:                             ;   in Loop: Header=BB2_1935 Depth=1
	ds_load_b128 v[35:38], v0
	ds_load_b64 v[82:83], v0
	v_add3_u32 v49, v10, v81, v11
	s_mov_b32 s21, 0
	s_delay_alu instid0(VALU_DEP_1) | instskip(SKIP_2) | instid1(VALU_DEP_2)
	v_ashrrev_i32_e32 v81, 31, v49
	s_waitcnt lgkmcnt(1)
	v_add_co_u32 v10, vcc_lo, v35, v49
	v_add_co_ci_u32_e32 v11, vcc_lo, v36, v81, vcc_lo
	v_add_co_u32 v12, vcc_lo, v37, v49
	v_add_co_ci_u32_e32 v13, vcc_lo, v38, v81, vcc_lo
	s_waitcnt lgkmcnt(0)
	v_add_co_u32 v35, vcc_lo, v82, v49
	v_add_co_ci_u32_e32 v36, vcc_lo, v83, v81, vcc_lo
.LBB2_3666:                             ;   Parent Loop BB2_1935 Depth=1
                                        ; =>  This Inner Loop Header: Depth=2
	s_cbranch_execnz .LBB2_5213
; %bb.3667:                             ;   in Loop: Header=BB2_3666 Depth=2
	ds_load_b64 v[37:38], v0
	s_waitcnt lgkmcnt(0)
	v_and_b32_e32 v38, 0xff, v37
	v_readfirstlane_b32 s7, v37
	s_delay_alu instid0(VALU_DEP_2)
	v_cmp_gt_i16_e32 vcc_lo, 0x80, v38
	s_cbranch_vccnz .LBB2_3671
; %bb.3668:                             ;   in Loop: Header=BB2_3666 Depth=2
	v_cmp_eq_u16_e32 vcc_lo, 0x80, v38
	s_mov_b32 s22, -1
                                        ; implicit-def: $sgpr23
	s_cbranch_vccz .LBB2_3670
; %bb.3669:                             ;   in Loop: Header=BB2_3666 Depth=2
	s_mov_b32 s22, 0
	s_mov_b32 s23, 0x7f800001
.LBB2_3670:                             ;   in Loop: Header=BB2_3666 Depth=2
	s_mov_b32 s24, 0
	s_branch .LBB2_3672
.LBB2_3671:                             ;   in Loop: Header=BB2_3666 Depth=2
	s_mov_b32 s24, -1
	s_mov_b32 s22, 0
                                        ; implicit-def: $sgpr23
.LBB2_3672:                             ;   in Loop: Header=BB2_3666 Depth=2
	s_and_b32 vcc_lo, exec_lo, s24
	s_cbranch_vccz .LBB2_3674
; %bb.3673:                             ;   in Loop: Header=BB2_3666 Depth=2
	v_cmp_ne_u16_e64 s22, 0, v38
	s_mov_b32 s23, 0
.LBB2_3674:                             ;   in Loop: Header=BB2_3666 Depth=2
	s_delay_alu instid0(SALU_CYCLE_1) | instskip(NEXT) | instid1(VALU_DEP_2)
	v_mov_b32_e32 v38, s23
	s_and_not1_b32 vcc_lo, exec_lo, s22
	s_cbranch_vccnz .LBB2_3676
; %bb.3675:                             ;   in Loop: Header=BB2_3666 Depth=2
	s_and_b32 s22, s7, 7
	s_bfe_u32 s24, s7, 0x40003
	s_clz_i32_u32 s23, s22
	v_lshlrev_b32_e32 v37, 24, v37
	s_min_u32 s23, s23, 32
	s_delay_alu instid0(SALU_CYCLE_1)
	s_sub_i32 s25, s23, 28
	s_sub_i32 s23, 29, s23
	s_lshl_b32 s7, s7, s25
	v_and_b32_e32 v37, 0x80000000, v37
	s_and_b32 s7, s7, 7
	s_cmp_eq_u32 s24, 0
	s_cselect_b32 s23, s23, s24
	s_cselect_b32 s7, s7, s22
	s_lshl_b32 s22, s23, 23
	s_lshl_b32 s7, s7, 20
	s_add_i32 s22, s22, 0x3b800000
	s_delay_alu instid0(SALU_CYCLE_1) | instskip(NEXT) | instid1(VALU_DEP_1)
	v_or_b32_e32 v37, s22, v37
	v_or_b32_e32 v38, s7, v37
.LBB2_3676:                             ;   in Loop: Header=BB2_3666 Depth=2
	flat_load_u8 v37, v[10:11] slc dlc
	s_mov_b32 s7, 0
	s_mov_b32 s23, exec_lo
                                        ; implicit-def: $sgpr22
	s_waitcnt vmcnt(0) lgkmcnt(0)
	v_cmpx_lt_i16_e32 0x7f, v37
	s_xor_b32 s23, exec_lo, s23
	s_cbranch_execnz .LBB2_3705
; %bb.3677:                             ;   in Loop: Header=BB2_3666 Depth=2
	s_or_saveexec_b32 s23, s23
	v_mov_b32_e32 v49, s22
	s_xor_b32 exec_lo, exec_lo, s23
	s_cbranch_execnz .LBB2_3708
.LBB2_3678:                             ;   in Loop: Header=BB2_3666 Depth=2
	s_or_b32 exec_lo, exec_lo, s23
	s_and_saveexec_b32 s22, s7
	s_cbranch_execz .LBB2_3680
.LBB2_3679:                             ;   in Loop: Header=BB2_3666 Depth=2
	v_and_b32_e32 v49, 0xffff, v37
	v_lshlrev_b32_e32 v37, 24, v37
	s_delay_alu instid0(VALU_DEP_2) | instskip(NEXT) | instid1(VALU_DEP_2)
	v_and_b32_e32 v81, 7, v49
	v_and_b32_e32 v37, 0x80000000, v37
	s_delay_alu instid0(VALU_DEP_2) | instskip(NEXT) | instid1(VALU_DEP_1)
	v_clz_i32_u32_e32 v82, v81
	v_min_u32_e32 v82, 32, v82
	s_delay_alu instid0(VALU_DEP_1) | instskip(SKIP_1) | instid1(VALU_DEP_2)
	v_subrev_nc_u32_e32 v83, 28, v82
	v_sub_nc_u32_e32 v82, 29, v82
	v_lshlrev_b32_e32 v83, v83, v49
	v_bfe_u32 v49, v49, 3, 4
	s_delay_alu instid0(VALU_DEP_2) | instskip(NEXT) | instid1(VALU_DEP_2)
	v_and_b32_e32 v83, 7, v83
	v_cmp_eq_u32_e32 vcc_lo, 0, v49
	v_cndmask_b32_e32 v49, v49, v82, vcc_lo
	s_delay_alu instid0(VALU_DEP_3) | instskip(NEXT) | instid1(VALU_DEP_2)
	v_cndmask_b32_e32 v81, v81, v83, vcc_lo
	v_lshl_add_u32 v49, v49, 23, 0x3b800000
	s_delay_alu instid0(VALU_DEP_2) | instskip(NEXT) | instid1(VALU_DEP_1)
	v_lshlrev_b32_e32 v81, 20, v81
	v_or3_b32 v49, v37, v49, v81
.LBB2_3680:                             ;   in Loop: Header=BB2_3666 Depth=2
	s_or_b32 exec_lo, exec_lo, s22
	s_delay_alu instid0(VALU_DEP_1) | instskip(SKIP_2) | instid1(VALU_DEP_2)
	v_mul_f32_e32 v37, v38, v49
	v_mov_b32_e32 v49, 0x80
	s_mov_b32 s22, exec_lo
	v_and_b32_e32 v38, 0x7f800000, v37
	s_delay_alu instid0(VALU_DEP_1)
	v_cmpx_ne_u32_e32 0x7f800000, v38
	s_cbranch_execz .LBB2_3688
; %bb.3681:                             ;   in Loop: Header=BB2_3666 Depth=2
	v_mov_b32_e32 v49, 0
	s_mov_b32 s23, exec_lo
	v_cmpx_ne_u32_e32 0, v37
	s_cbranch_execz .LBB2_3687
; %bb.3682:                             ;   in Loop: Header=BB2_3666 Depth=2
	v_bfe_u32 v38, v37, 23, 8
	v_and_b32_e32 v49, 0x7fffff, v37
	s_delay_alu instid0(VALU_DEP_2) | instskip(SKIP_1) | instid1(VALU_DEP_3)
	v_sub_nc_u32_e32 v81, 0x78, v38
	v_cmp_gt_u32_e32 vcc_lo, 0x79, v38
	v_or_b32_e32 v82, 0x800000, v49
	s_delay_alu instid0(VALU_DEP_3) | instskip(SKIP_2) | instid1(VALU_DEP_3)
	v_cndmask_b32_e32 v81, 0, v81, vcc_lo
	v_cmp_eq_u32_e32 vcc_lo, 0, v38
	v_add_nc_u32_e32 v38, 0xffffff89, v38
	v_cndmask_b32_e64 v81, v81, 0x77, vcc_lo
	v_cndmask_b32_e32 v49, v82, v49, vcc_lo
	s_delay_alu instid0(VALU_DEP_3) | instskip(NEXT) | instid1(VALU_DEP_3)
	v_cndmask_b32_e64 v38, v38, 0xffffff8a, vcc_lo
	v_lshl_add_u32 v82, 0x100000, v81, -1
	s_delay_alu instid0(VALU_DEP_3) | instskip(SKIP_1) | instid1(VALU_DEP_4)
	v_lshrrev_b32_e32 v83, v81, v49
	v_lshlrev_b32_e64 v85, v81, 0x80000
	v_add_nc_u32_e32 v81, v81, v38
	s_delay_alu instid0(VALU_DEP_4) | instskip(NEXT) | instid1(VALU_DEP_4)
	v_and_b32_e32 v49, v82, v49
	v_bfe_u32 v84, v83, 20, 1
	s_delay_alu instid0(VALU_DEP_2) | instskip(NEXT) | instid1(VALU_DEP_2)
	v_cmp_eq_u32_e64 s7, v49, v85
	v_add_nc_u32_e32 v82, -1, v84
	s_delay_alu instid0(VALU_DEP_1) | instskip(SKIP_2) | instid1(VALU_DEP_2)
	v_cndmask_b32_e64 v49, 0, v82, s7
	v_lshrrev_b32_e32 v82, 23, v83
	s_mov_b32 s7, exec_lo
	v_add_nc_u32_e32 v49, v49, v83
	s_delay_alu instid0(VALU_DEP_2) | instskip(NEXT) | instid1(VALU_DEP_2)
	v_xor_b32_e32 v82, 1, v82
	v_and_b32_e32 v38, 0xfffff, v49
	s_delay_alu instid0(VALU_DEP_1) | instskip(NEXT) | instid1(VALU_DEP_3)
	v_add_nc_u32_e32 v49, v38, v83
                                        ; implicit-def: $vgpr38
	v_cmpx_ne_u32_e64 v81, v82
	s_xor_b32 s7, exec_lo, s7
; %bb.3683:                             ;   in Loop: Header=BB2_3666 Depth=2
	s_delay_alu instid0(VALU_DEP_2) | instskip(SKIP_2) | instid1(VALU_DEP_2)
	v_cmp_lt_u32_e32 vcc_lo, 0xffffff, v49
	v_sub_nc_u32_e32 v38, v81, v82
	v_cndmask_b32_e64 v81, 0, 1, vcc_lo
	v_add_co_ci_u32_e32 v38, vcc_lo, 0, v38, vcc_lo
	s_delay_alu instid0(VALU_DEP_2)
	v_lshrrev_b32_e32 v49, v81, v49
; %bb.3684:                             ;   in Loop: Header=BB2_3666 Depth=2
	s_and_not1_saveexec_b32 s7, s7
; %bb.3685:                             ;   in Loop: Header=BB2_3666 Depth=2
	s_delay_alu instid0(VALU_DEP_1)
	v_bfe_u32 v38, v49, 23, 1
; %bb.3686:                             ;   in Loop: Header=BB2_3666 Depth=2
	s_or_b32 exec_lo, exec_lo, s7
	v_lshrrev_b32_e32 v49, 20, v49
	s_delay_alu instid0(VALU_DEP_2) | instskip(SKIP_2) | instid1(VALU_DEP_4)
	v_cmp_gt_i32_e32 vcc_lo, 16, v38
	v_lshrrev_b32_e32 v37, 24, v37
	v_min_i32_e32 v81, 15, v38
	v_cndmask_b32_e32 v49, 7, v49, vcc_lo
	s_delay_alu instid0(VALU_DEP_3) | instskip(NEXT) | instid1(VALU_DEP_3)
	v_and_b32_e32 v37, 0x80, v37
	v_lshlrev_b32_e32 v81, 3, v81
	s_delay_alu instid0(VALU_DEP_3) | instskip(SKIP_1) | instid1(VALU_DEP_2)
	v_and_b32_e32 v82, 7, v49
	v_or_b32_e32 v38, v38, v49
	v_or3_b32 v37, v81, v37, v82
	s_delay_alu instid0(VALU_DEP_2) | instskip(NEXT) | instid1(VALU_DEP_2)
	v_cmp_ne_u32_e32 vcc_lo, 0, v38
	v_cndmask_b32_e32 v49, 0, v37, vcc_lo
.LBB2_3687:                             ;   in Loop: Header=BB2_3666 Depth=2
	s_or_b32 exec_lo, exec_lo, s23
.LBB2_3688:                             ;   in Loop: Header=BB2_3666 Depth=2
	s_delay_alu instid0(SALU_CYCLE_1) | instskip(SKIP_4) | instid1(VALU_DEP_1)
	s_or_b32 exec_lo, exec_lo, s22
	flat_load_u8 v37, v[12:13] slc dlc
	v_and_b32_e32 v81, 0xff, v49
	s_mov_b32 s7, 0
	s_mov_b32 s23, exec_lo
                                        ; implicit-def: $sgpr22
	v_cmpx_lt_i16_e32 0x7f, v81
	s_xor_b32 s23, exec_lo, s23
	s_cbranch_execnz .LBB2_3709
; %bb.3689:                             ;   in Loop: Header=BB2_3666 Depth=2
	s_or_saveexec_b32 s23, s23
	v_mov_b32_e32 v38, s22
	s_xor_b32 exec_lo, exec_lo, s23
	s_cbranch_execnz .LBB2_3712
.LBB2_3690:                             ;   in Loop: Header=BB2_3666 Depth=2
	s_or_b32 exec_lo, exec_lo, s23
	s_and_saveexec_b32 s22, s7
	s_cbranch_execz .LBB2_3692
.LBB2_3691:                             ;   in Loop: Header=BB2_3666 Depth=2
	v_and_b32_e32 v38, 7, v49
	v_lshrrev_b16 v83, 3, v49
	s_delay_alu instid0(VALU_DEP_2) | instskip(NEXT) | instid1(VALU_DEP_1)
	v_clz_i32_u32_e32 v81, v38
	v_min_u32_e32 v81, 32, v81
	s_delay_alu instid0(VALU_DEP_1) | instskip(SKIP_1) | instid1(VALU_DEP_2)
	v_subrev_nc_u32_e32 v82, 28, v81
	v_sub_nc_u32_e32 v81, 29, v81
	v_lshlrev_b32_e32 v82, v82, v49
	v_lshlrev_b32_e32 v49, 24, v49
	s_delay_alu instid0(VALU_DEP_2) | instskip(SKIP_1) | instid1(VALU_DEP_3)
	v_and_b32_e32 v82, 7, v82
	v_and_b32_e32 v83, 15, v83
	;; [unrolled: 1-line block ×3, first 2 shown]
	s_delay_alu instid0(VALU_DEP_2) | instskip(NEXT) | instid1(VALU_DEP_4)
	v_cmp_eq_u32_e32 vcc_lo, 0, v83
	v_dual_cndmask_b32 v38, v38, v82 :: v_dual_cndmask_b32 v81, v83, v81
	s_delay_alu instid0(VALU_DEP_1) | instskip(NEXT) | instid1(VALU_DEP_2)
	v_lshlrev_b32_e32 v38, 20, v38
	v_lshl_add_u32 v81, v81, 23, 0x3b800000
	s_delay_alu instid0(VALU_DEP_1)
	v_or3_b32 v38, v49, v81, v38
.LBB2_3692:                             ;   in Loop: Header=BB2_3666 Depth=2
	s_or_b32 exec_lo, exec_lo, s22
	s_waitcnt vmcnt(0) lgkmcnt(0)
	v_and_b32_e32 v81, 0xff, v37
	s_mov_b32 s7, 0
	s_mov_b32 s23, exec_lo
                                        ; implicit-def: $sgpr22
	s_delay_alu instid0(VALU_DEP_1)
	v_cmpx_lt_i16_e32 0x7f, v81
	s_xor_b32 s23, exec_lo, s23
	s_cbranch_execnz .LBB2_3713
; %bb.3693:                             ;   in Loop: Header=BB2_3666 Depth=2
	s_or_saveexec_b32 s23, s23
	v_mov_b32_e32 v49, s22
	s_xor_b32 exec_lo, exec_lo, s23
	s_cbranch_execnz .LBB2_3716
.LBB2_3694:                             ;   in Loop: Header=BB2_3666 Depth=2
	s_or_b32 exec_lo, exec_lo, s23
	s_and_saveexec_b32 s22, s7
	s_cbranch_execz .LBB2_3696
.LBB2_3695:                             ;   in Loop: Header=BB2_3666 Depth=2
	v_and_b32_e32 v49, 7, v37
	v_lshrrev_b16 v83, 3, v37
	s_delay_alu instid0(VALU_DEP_2) | instskip(NEXT) | instid1(VALU_DEP_2)
	v_clz_i32_u32_e32 v81, v49
	v_and_b32_e32 v83, 15, v83
	s_delay_alu instid0(VALU_DEP_2) | instskip(NEXT) | instid1(VALU_DEP_2)
	v_min_u32_e32 v81, 32, v81
	v_cmp_eq_u32_e32 vcc_lo, 0, v83
	s_delay_alu instid0(VALU_DEP_2) | instskip(SKIP_1) | instid1(VALU_DEP_2)
	v_subrev_nc_u32_e32 v82, 28, v81
	v_sub_nc_u32_e32 v81, 29, v81
	v_lshlrev_b32_e32 v82, v82, v37
	v_lshlrev_b32_e32 v37, 24, v37
	s_delay_alu instid0(VALU_DEP_2) | instskip(NEXT) | instid1(VALU_DEP_2)
	v_dual_cndmask_b32 v81, v83, v81 :: v_dual_and_b32 v82, 7, v82
	v_and_b32_e32 v37, 0x80000000, v37
	s_delay_alu instid0(VALU_DEP_2) | instskip(NEXT) | instid1(VALU_DEP_3)
	v_lshl_add_u32 v81, v81, 23, 0x3b800000
	v_cndmask_b32_e32 v49, v49, v82, vcc_lo
	s_delay_alu instid0(VALU_DEP_1) | instskip(NEXT) | instid1(VALU_DEP_1)
	v_lshlrev_b32_e32 v49, 20, v49
	v_or3_b32 v49, v37, v81, v49
.LBB2_3696:                             ;   in Loop: Header=BB2_3666 Depth=2
	s_or_b32 exec_lo, exec_lo, s22
	s_delay_alu instid0(VALU_DEP_1) | instskip(NEXT) | instid1(VALU_DEP_1)
	v_add_f32_e32 v37, v38, v49
	v_and_b32_e32 v38, 0x7f800000, v37
	s_delay_alu instid0(VALU_DEP_1)
	v_cmp_ne_u32_e32 vcc_lo, 0x7f800000, v38
	v_mov_b32_e32 v38, 0x80
	s_and_saveexec_b32 s22, vcc_lo
	s_cbranch_execz .LBB2_3704
; %bb.3697:                             ;   in Loop: Header=BB2_3666 Depth=2
	v_mov_b32_e32 v38, 0
	s_mov_b32 s23, exec_lo
	v_cmpx_ne_u32_e32 0, v37
	s_cbranch_execz .LBB2_3703
; %bb.3698:                             ;   in Loop: Header=BB2_3666 Depth=2
	v_bfe_u32 v38, v37, 23, 8
	v_and_b32_e32 v49, 0x7fffff, v37
	s_delay_alu instid0(VALU_DEP_2) | instskip(SKIP_1) | instid1(VALU_DEP_3)
	v_sub_nc_u32_e32 v81, 0x78, v38
	v_cmp_gt_u32_e32 vcc_lo, 0x79, v38
	v_or_b32_e32 v82, 0x800000, v49
	s_delay_alu instid0(VALU_DEP_3) | instskip(SKIP_2) | instid1(VALU_DEP_3)
	v_cndmask_b32_e32 v81, 0, v81, vcc_lo
	v_cmp_eq_u32_e32 vcc_lo, 0, v38
	v_add_nc_u32_e32 v38, 0xffffff89, v38
	v_cndmask_b32_e64 v81, v81, 0x77, vcc_lo
	v_cndmask_b32_e32 v49, v82, v49, vcc_lo
	s_delay_alu instid0(VALU_DEP_3) | instskip(NEXT) | instid1(VALU_DEP_3)
	v_cndmask_b32_e64 v38, v38, 0xffffff8a, vcc_lo
	v_lshl_add_u32 v82, 0x100000, v81, -1
	s_delay_alu instid0(VALU_DEP_3) | instskip(SKIP_1) | instid1(VALU_DEP_4)
	v_lshrrev_b32_e32 v83, v81, v49
	v_lshlrev_b32_e64 v85, v81, 0x80000
	v_add_nc_u32_e32 v81, v81, v38
	s_delay_alu instid0(VALU_DEP_4) | instskip(NEXT) | instid1(VALU_DEP_4)
	v_and_b32_e32 v49, v82, v49
	v_bfe_u32 v84, v83, 20, 1
	s_delay_alu instid0(VALU_DEP_2) | instskip(NEXT) | instid1(VALU_DEP_2)
	v_cmp_eq_u32_e64 s7, v49, v85
	v_add_nc_u32_e32 v82, -1, v84
	s_delay_alu instid0(VALU_DEP_1) | instskip(SKIP_2) | instid1(VALU_DEP_2)
	v_cndmask_b32_e64 v49, 0, v82, s7
	v_lshrrev_b32_e32 v82, 23, v83
	s_mov_b32 s7, exec_lo
	v_add_nc_u32_e32 v49, v49, v83
	s_delay_alu instid0(VALU_DEP_2) | instskip(NEXT) | instid1(VALU_DEP_2)
	v_xor_b32_e32 v82, 1, v82
	v_and_b32_e32 v38, 0xfffff, v49
	s_delay_alu instid0(VALU_DEP_1) | instskip(NEXT) | instid1(VALU_DEP_3)
	v_add_nc_u32_e32 v49, v38, v83
                                        ; implicit-def: $vgpr38
	v_cmpx_ne_u32_e64 v81, v82
	s_xor_b32 s7, exec_lo, s7
; %bb.3699:                             ;   in Loop: Header=BB2_3666 Depth=2
	s_delay_alu instid0(VALU_DEP_2) | instskip(SKIP_2) | instid1(VALU_DEP_2)
	v_cmp_lt_u32_e32 vcc_lo, 0xffffff, v49
	v_sub_nc_u32_e32 v38, v81, v82
	v_cndmask_b32_e64 v81, 0, 1, vcc_lo
	v_add_co_ci_u32_e32 v38, vcc_lo, 0, v38, vcc_lo
	s_delay_alu instid0(VALU_DEP_2)
	v_lshrrev_b32_e32 v49, v81, v49
; %bb.3700:                             ;   in Loop: Header=BB2_3666 Depth=2
	s_and_not1_saveexec_b32 s7, s7
; %bb.3701:                             ;   in Loop: Header=BB2_3666 Depth=2
	s_delay_alu instid0(VALU_DEP_1)
	v_bfe_u32 v38, v49, 23, 1
; %bb.3702:                             ;   in Loop: Header=BB2_3666 Depth=2
	s_or_b32 exec_lo, exec_lo, s7
	v_lshrrev_b32_e32 v49, 20, v49
	s_delay_alu instid0(VALU_DEP_2) | instskip(SKIP_2) | instid1(VALU_DEP_4)
	v_cmp_gt_i32_e32 vcc_lo, 16, v38
	v_lshrrev_b32_e32 v37, 24, v37
	v_min_i32_e32 v81, 15, v38
	v_cndmask_b32_e32 v49, 7, v49, vcc_lo
	s_delay_alu instid0(VALU_DEP_3) | instskip(NEXT) | instid1(VALU_DEP_3)
	v_and_b32_e32 v37, 0x80, v37
	v_lshlrev_b32_e32 v81, 3, v81
	s_delay_alu instid0(VALU_DEP_3) | instskip(SKIP_1) | instid1(VALU_DEP_2)
	v_and_b32_e32 v82, 7, v49
	v_or_b32_e32 v38, v38, v49
	v_or3_b32 v37, v81, v37, v82
	s_delay_alu instid0(VALU_DEP_2) | instskip(NEXT) | instid1(VALU_DEP_2)
	v_cmp_ne_u32_e32 vcc_lo, 0, v38
	v_cndmask_b32_e32 v38, 0, v37, vcc_lo
.LBB2_3703:                             ;   in Loop: Header=BB2_3666 Depth=2
	s_or_b32 exec_lo, exec_lo, s23
.LBB2_3704:                             ;   in Loop: Header=BB2_3666 Depth=2
	s_delay_alu instid0(SALU_CYCLE_1)
	s_or_b32 exec_lo, exec_lo, s22
	v_add_co_u32 v10, vcc_lo, v10, v67
	v_sub_nc_u32_e32 v48, v48, v67
	v_add_co_ci_u32_e32 v11, vcc_lo, v11, v70, vcc_lo
	v_add_co_u32 v12, vcc_lo, v12, v67
	v_add_co_ci_u32_e32 v13, vcc_lo, v13, v70, vcc_lo
	flat_store_b8 v[35:36], v38 glc slc dlc
	v_cmp_gt_i32_e32 vcc_lo, 1, v48
	v_add_co_u32 v35, s7, v35, v67
	s_delay_alu instid0(VALU_DEP_1) | instskip(SKIP_1) | instid1(SALU_CYCLE_1)
	v_add_co_ci_u32_e64 v36, s7, v36, v70, s7
	s_or_b32 s21, vcc_lo, s21
	s_and_not1_b32 exec_lo, exec_lo, s21
	s_cbranch_execnz .LBB2_3666
	s_branch .LBB2_3717
.LBB2_3705:                             ;   in Loop: Header=BB2_3666 Depth=2
	s_mov_b32 s7, -1
	s_mov_b32 s24, exec_lo
                                        ; implicit-def: $sgpr22
	v_cmpx_eq_u16_e32 0x80, v37
; %bb.3706:                             ;   in Loop: Header=BB2_3666 Depth=2
	s_mov_b32 s22, 0x7f800001
	s_xor_b32 s7, exec_lo, -1
; %bb.3707:                             ;   in Loop: Header=BB2_3666 Depth=2
	s_or_b32 exec_lo, exec_lo, s24
	s_delay_alu instid0(SALU_CYCLE_1)
	s_and_b32 s7, s7, exec_lo
	s_or_saveexec_b32 s23, s23
	v_mov_b32_e32 v49, s22
	s_xor_b32 exec_lo, exec_lo, s23
	s_cbranch_execz .LBB2_3678
.LBB2_3708:                             ;   in Loop: Header=BB2_3666 Depth=2
	v_cmp_ne_u16_e32 vcc_lo, 0, v37
	v_mov_b32_e32 v49, 0
	s_and_not1_b32 s7, s7, exec_lo
	s_and_b32 s22, vcc_lo, exec_lo
	s_delay_alu instid0(SALU_CYCLE_1)
	s_or_b32 s7, s7, s22
	s_or_b32 exec_lo, exec_lo, s23
	s_and_saveexec_b32 s22, s7
	s_cbranch_execnz .LBB2_3679
	s_branch .LBB2_3680
.LBB2_3709:                             ;   in Loop: Header=BB2_3666 Depth=2
	s_mov_b32 s7, -1
	s_mov_b32 s24, exec_lo
                                        ; implicit-def: $sgpr22
	v_cmpx_eq_u16_e32 0x80, v81
; %bb.3710:                             ;   in Loop: Header=BB2_3666 Depth=2
	s_mov_b32 s22, 0x7f800001
	s_xor_b32 s7, exec_lo, -1
; %bb.3711:                             ;   in Loop: Header=BB2_3666 Depth=2
	s_or_b32 exec_lo, exec_lo, s24
	s_delay_alu instid0(SALU_CYCLE_1)
	s_and_b32 s7, s7, exec_lo
                                        ; implicit-def: $vgpr81
	s_or_saveexec_b32 s23, s23
	v_mov_b32_e32 v38, s22
	s_xor_b32 exec_lo, exec_lo, s23
	s_cbranch_execz .LBB2_3690
.LBB2_3712:                             ;   in Loop: Header=BB2_3666 Depth=2
	v_cmp_ne_u16_e32 vcc_lo, 0, v81
	v_mov_b32_e32 v38, 0
	s_and_not1_b32 s7, s7, exec_lo
	s_and_b32 s22, vcc_lo, exec_lo
	s_delay_alu instid0(SALU_CYCLE_1)
	s_or_b32 s7, s7, s22
	s_or_b32 exec_lo, exec_lo, s23
	s_and_saveexec_b32 s22, s7
	s_cbranch_execnz .LBB2_3691
	s_branch .LBB2_3692
.LBB2_3713:                             ;   in Loop: Header=BB2_3666 Depth=2
	s_mov_b32 s7, -1
	s_mov_b32 s24, exec_lo
                                        ; implicit-def: $sgpr22
	v_cmpx_eq_u16_e32 0x80, v81
; %bb.3714:                             ;   in Loop: Header=BB2_3666 Depth=2
	s_mov_b32 s22, 0x7f800001
	s_xor_b32 s7, exec_lo, -1
; %bb.3715:                             ;   in Loop: Header=BB2_3666 Depth=2
	s_or_b32 exec_lo, exec_lo, s24
	s_delay_alu instid0(SALU_CYCLE_1)
	s_and_b32 s7, s7, exec_lo
                                        ; implicit-def: $vgpr81
	s_or_saveexec_b32 s23, s23
	v_mov_b32_e32 v49, s22
	s_xor_b32 exec_lo, exec_lo, s23
	s_cbranch_execz .LBB2_3694
.LBB2_3716:                             ;   in Loop: Header=BB2_3666 Depth=2
	v_cmp_ne_u16_e32 vcc_lo, 0, v81
	v_mov_b32_e32 v49, 0
	s_and_not1_b32 s7, s7, exec_lo
	s_and_b32 s22, vcc_lo, exec_lo
	s_delay_alu instid0(SALU_CYCLE_1)
	s_or_b32 s7, s7, s22
	s_or_b32 exec_lo, exec_lo, s23
	s_and_saveexec_b32 s22, s7
	s_cbranch_execnz .LBB2_3695
	s_branch .LBB2_3696
.LBB2_3717:                             ;   in Loop: Header=BB2_1935 Depth=1
	s_or_b32 exec_lo, exec_lo, s10
	v_cmp_ne_u32_e64 s7, 0, v28
.LBB2_3718:                             ;   in Loop: Header=BB2_1935 Depth=1
	s_and_saveexec_b32 s10, s2
	s_cbranch_execz .LBB2_3740
; %bb.3719:                             ;   in Loop: Header=BB2_1935 Depth=1
	s_and_saveexec_b32 s21, s3
	s_delay_alu instid0(SALU_CYCLE_1)
	s_xor_b32 s21, exec_lo, s21
	s_cbranch_execz .LBB2_3737
; %bb.3720:                             ;   in Loop: Header=BB2_1935 Depth=1
	s_and_saveexec_b32 s22, s4
	s_cbranch_execz .LBB2_3736
; %bb.3721:                             ;   in Loop: Header=BB2_1935 Depth=1
	s_mov_b32 s24, exec_lo
	s_mov_b32 s23, exec_lo
	v_mbcnt_lo_u32_b32 v10, s24, 0
	s_waitcnt lgkmcnt(0)
	s_waitcnt_vscnt null, 0x0
	buffer_gl1_inv
	buffer_gl0_inv
	v_cmpx_eq_u32_e32 0, v10
	s_cbranch_execz .LBB2_3723
; %bb.3722:                             ;   in Loop: Header=BB2_1935 Depth=1
	s_bcnt1_i32_b32 s24, s24
	s_delay_alu instid0(SALU_CYCLE_1)
	v_mov_b32_e32 v28, s24
	ds_add_u64 v0, v[28:29]
	s_cbranch_execnz .LBB2_5195
.LBB2_3723:                             ;   in Loop: Header=BB2_1935 Depth=1
	s_or_b32 exec_lo, exec_lo, s23
	s_cbranch_execnz .LBB2_5167
; %bb.3724:                             ;   in Loop: Header=BB2_1935 Depth=1
	ds_load_b64 v[10:11], v0
	v_add_co_u32 v24, vcc_lo, v24, v39
	v_add_co_ci_u32_e32 v25, vcc_lo, 0, v25, vcc_lo
	s_mov_b32 s23, exec_lo
	s_waitcnt lgkmcnt(0)
	s_delay_alu instid0(VALU_DEP_1)
	v_cmpx_lt_u64_e64 v[10:11], v[24:25]
	s_cbranch_execz .LBB2_3735
; %bb.3725:                             ;   in Loop: Header=BB2_1935 Depth=1
	s_mov_b32 s24, 0
	s_mov_b32 s27, 0
                                        ; implicit-def: $sgpr25
                                        ; implicit-def: $sgpr26
	s_branch .LBB2_3727
.LBB2_3726:                             ;   in Loop: Header=BB2_3727 Depth=2
	s_or_b32 exec_lo, exec_lo, vcc_hi
	s_delay_alu instid0(SALU_CYCLE_1) | instskip(NEXT) | instid1(SALU_CYCLE_1)
	s_and_b32 s28, exec_lo, s29
	s_or_b32 s24, s28, s24
	s_and_not1_b32 s25, s25, exec_lo
	s_and_b32 s28, s26, exec_lo
	s_delay_alu instid0(SALU_CYCLE_1)
	s_or_b32 s25, s25, s28
	s_and_not1_b32 exec_lo, exec_lo, s24
	s_cbranch_execz .LBB2_3733
.LBB2_3727:                             ;   Parent Loop BB2_1935 Depth=1
                                        ; =>  This Inner Loop Header: Depth=2
	s_add_i32 s27, s27, 1
                                        ; implicit-def: $sgpr29
	s_delay_alu instid0(SALU_CYCLE_1) | instskip(SKIP_1) | instid1(SALU_CYCLE_1)
	s_cmpk_lg_i32 s27, 0x2710
	s_cselect_b32 s28, -1, 0
	s_and_b32 vcc_lo, exec_lo, s28
	s_cbranch_vccz .LBB2_3731
.LBB2_3728:                             ;   in Loop: Header=BB2_3727 Depth=2
	s_and_not1_b32 s26, s26, exec_lo
	s_and_b32 vcc_lo, s29, exec_lo
	s_mov_b32 s29, -1
	s_or_b32 s26, s26, vcc_lo
	s_and_saveexec_b32 vcc_hi, s28
	s_cbranch_execz .LBB2_3726
; %bb.3729:                             ;   in Loop: Header=BB2_3727 Depth=2
	s_sleep 1
	s_cbranch_execnz .LBB2_5219
; %bb.3730:                             ;   in Loop: Header=BB2_3727 Depth=2
	ds_load_b64 v[10:11], v0
	s_and_not1_b32 s26, s26, exec_lo
	s_waitcnt lgkmcnt(0)
	v_cmp_ge_u64_e32 vcc_lo, v[10:11], v[24:25]
	s_or_not1_b32 s29, vcc_lo, exec_lo
	s_branch .LBB2_3726
.LBB2_3731:                             ;   in Loop: Header=BB2_3727 Depth=2
	s_cbranch_execnz .LBB2_5225
; %bb.3732:                             ;   in Loop: Header=BB2_3727 Depth=2
	ds_load_b64 v[10:11], v0
	s_and_not1_b32 s28, s28, exec_lo
	s_mov_b32 s27, 0
	s_mov_b32 s29, -1
	s_waitcnt lgkmcnt(0)
	flat_load_b32 v10, v[10:11] glc
	s_waitcnt vmcnt(0) lgkmcnt(0)
	buffer_gl1_inv
	buffer_gl0_inv
	v_cmp_eq_u32_e32 vcc_lo, 0, v10
	s_and_b32 vcc_lo, vcc_lo, exec_lo
	s_delay_alu instid0(SALU_CYCLE_1)
	s_or_b32 s28, s28, vcc_lo
	s_branch .LBB2_3728
.LBB2_3733:                             ;   in Loop: Header=BB2_1935 Depth=1
	s_or_b32 exec_lo, exec_lo, s24
	s_and_saveexec_b32 s24, s25
	s_delay_alu instid0(SALU_CYCLE_1)
	s_xor_b32 s24, exec_lo, s24
	s_cbranch_execz .LBB2_3735
; %bb.3734:                             ;   in Loop: Header=BB2_1935 Depth=1
	ds_store_b32 v0, v71
	s_cbranch_execnz .LBB2_5249
.LBB2_3735:                             ;   in Loop: Header=BB2_1935 Depth=1
	s_or_b32 exec_lo, exec_lo, s23
	;;#ASMSTART
	s_wakeup
	;;#ASMEND
.LBB2_3736:                             ;   in Loop: Header=BB2_1935 Depth=1
	s_or_b32 exec_lo, exec_lo, s22
.LBB2_3737:                             ;   in Loop: Header=BB2_1935 Depth=1
	s_and_not1_saveexec_b32 s21, s21
	s_cbranch_execz .LBB2_3739
; %bb.3738:                             ;   in Loop: Header=BB2_1935 Depth=1
	s_waitcnt lgkmcnt(0)
	s_waitcnt_vscnt null, 0x0
	buffer_gl1_inv
	buffer_gl0_inv
	s_barrier
.LBB2_3739:                             ;   in Loop: Header=BB2_1935 Depth=1
	s_or_b32 exec_lo, exec_lo, s21
.LBB2_3740:                             ;   in Loop: Header=BB2_1935 Depth=1
	s_delay_alu instid0(SALU_CYCLE_1) | instskip(SKIP_1) | instid1(VALU_DEP_1)
	s_or_b32 exec_lo, exec_lo, s10
	v_and_b32_e32 v10, 16, v30
	v_cmp_ne_u32_e32 vcc_lo, 0, v10
	s_and_b32 s10, vcc_lo, s7
	s_delay_alu instid0(SALU_CYCLE_1)
	s_and_saveexec_b32 s7, s10
	s_cbranch_execz .LBB2_3742
; %bb.3741:                             ;   in Loop: Header=BB2_1935 Depth=1
	s_waitcnt lgkmcnt(0)
	s_waitcnt_vscnt null, 0x0
	buffer_gl1_inv
	buffer_gl0_inv
.LBB2_3742:                             ;   in Loop: Header=BB2_1935 Depth=1
	s_or_b32 exec_lo, exec_lo, s7
	v_and_b32_e32 v10, 32, v30
	s_mov_b32 s7, exec_lo
	s_delay_alu instid0(VALU_DEP_1)
	v_cmpx_ne_u32_e32 0, v10
	s_cbranch_execz .LBB2_3744
; %bb.3743:                             ;   in Loop: Header=BB2_1935 Depth=1
	v_add_co_u32 v8, vcc_lo, v8, 1
	v_add_co_ci_u32_e32 v9, vcc_lo, 0, v9, vcc_lo
	s_waitcnt lgkmcnt(0)
	s_waitcnt_vscnt null, 0x0
	flat_store_b64 v[18:19], v[8:9]
.LBB2_3744:                             ;   in Loop: Header=BB2_1935 Depth=1
	s_or_b32 exec_lo, exec_lo, s7
	v_mov_b32_e32 v35, v80
.LBB2_3745:                             ;   in Loop: Header=BB2_1935 Depth=1
	s_or_b32 exec_lo, exec_lo, s20
	s_and_saveexec_b32 s10, s19
	s_cbranch_execz .LBB2_3798
; %bb.3746:                             ;   in Loop: Header=BB2_1935 Depth=1
	v_and_b32_e32 v10, 4, v30
	s_mov_b32 s19, -1
	s_mov_b32 s7, exec_lo
	s_delay_alu instid0(VALU_DEP_1)
	v_cmpx_ne_u32_e32 0, v10
	s_cbranch_execz .LBB2_3760
; %bb.3747:                             ;   in Loop: Header=BB2_1935 Depth=1
	v_add_co_u32 v10, vcc_lo, v8, 1
	v_add_co_ci_u32_e32 v11, vcc_lo, 0, v9, vcc_lo
	v_mov_b32_e32 v12, 1
	s_mov_b32 s19, exec_lo
	s_delay_alu instid0(VALU_DEP_2)
	v_cmpx_lt_u64_e64 v[22:23], v[10:11]
	s_cbranch_execz .LBB2_3759
; %bb.3748:                             ;   in Loop: Header=BB2_1935 Depth=1
	v_mov_b32_e32 v12, 0
	s_mov_b32 s20, 0
                                        ; implicit-def: $sgpr21
	s_branch .LBB2_3752
.LBB2_3749:                             ;   in Loop: Header=BB2_3752 Depth=2
	s_or_b32 exec_lo, exec_lo, s25
	v_mov_b32_e32 v13, 0
	s_or_not1_b32 s24, s24, exec_lo
.LBB2_3750:                             ;   in Loop: Header=BB2_3752 Depth=2
	s_or_b32 exec_lo, exec_lo, s23
	s_delay_alu instid0(VALU_DEP_1) | instskip(SKIP_2) | instid1(SALU_CYCLE_1)
	v_mov_b32_e32 v12, v13
	s_and_not1_b32 s21, s21, exec_lo
	s_and_b32 s23, s24, exec_lo
	s_or_b32 s21, s21, s23
.LBB2_3751:                             ;   in Loop: Header=BB2_3752 Depth=2
	s_or_b32 exec_lo, exec_lo, s22
	s_waitcnt vmcnt(0) lgkmcnt(0)
	v_cmp_ge_u64_e32 vcc_lo, v[22:23], v[10:11]
	s_xor_b32 s22, s21, -1
	s_delay_alu instid0(SALU_CYCLE_1) | instskip(NEXT) | instid1(SALU_CYCLE_1)
	s_or_b32 s22, s22, vcc_lo
	s_and_b32 s22, exec_lo, s22
	s_delay_alu instid0(SALU_CYCLE_1) | instskip(NEXT) | instid1(SALU_CYCLE_1)
	s_or_b32 s20, s22, s20
	s_and_not1_b32 exec_lo, exec_lo, s20
	s_cbranch_execz .LBB2_3758
.LBB2_3752:                             ;   Parent Loop BB2_1935 Depth=1
                                        ; =>  This Inner Loop Header: Depth=2
	s_sleep 1
	flat_load_b64 v[22:23], v[18:19] glc
	v_and_b32_e32 v13, 64, v30
	s_and_not1_b32 s21, s21, exec_lo
	s_mov_b32 s22, exec_lo
	s_delay_alu instid0(VALU_DEP_1)
	v_cmpx_eq_u32_e32 0, v13
	s_cbranch_execz .LBB2_3751
; %bb.3753:                             ;   in Loop: Header=BB2_3752 Depth=2
	v_add_nc_u32_e32 v13, 1, v12
	s_mov_b32 s24, -1
	s_mov_b32 s23, exec_lo
	v_cmpx_lt_i32_e32 0x270e, v12
	s_cbranch_execz .LBB2_3750
; %bb.3754:                             ;   in Loop: Header=BB2_3752 Depth=2
	s_cbranch_execnz .LBB2_5067
; %bb.3755:                             ;   in Loop: Header=BB2_3752 Depth=2
	ds_load_b64 v[12:13], v0
	s_mov_b32 s25, exec_lo
	s_waitcnt vmcnt(0) lgkmcnt(0)
	s_waitcnt_vscnt null, 0x0
	flat_load_b32 v12, v[12:13] glc
	s_waitcnt vmcnt(0) lgkmcnt(0)
	buffer_gl1_inv
	buffer_gl0_inv
	v_cmpx_ne_u32_e32 0, v12
	s_cbranch_execz .LBB2_3749
; %bb.3756:                             ;   in Loop: Header=BB2_3752 Depth=2
	ds_store_b32 v0, v12
	s_cbranch_execnz .LBB2_5097
; %bb.3757:                             ;   in Loop: Header=BB2_3752 Depth=2
	v_or_b32_e32 v30, 64, v30
	s_xor_b32 s24, exec_lo, -1
	s_branch .LBB2_3749
.LBB2_3758:                             ;   in Loop: Header=BB2_1935 Depth=1
	s_or_b32 exec_lo, exec_lo, s20
	v_and_b32_e32 v12, 4, v30
.LBB2_3759:                             ;   in Loop: Header=BB2_1935 Depth=1
	s_or_b32 exec_lo, exec_lo, s19
	s_delay_alu instid0(VALU_DEP_1)
	v_cmp_eq_u32_e32 vcc_lo, 0, v12
	;;#ASMSTART
	s_wakeup
	;;#ASMEND
	s_or_not1_b32 s19, vcc_lo, exec_lo
.LBB2_3760:                             ;   in Loop: Header=BB2_1935 Depth=1
	s_or_b32 exec_lo, exec_lo, s7
	s_xor_b32 s7, s19, -1
	s_delay_alu instid0(SALU_CYCLE_1)
	s_and_saveexec_b32 s19, s7
	s_cbranch_execz .LBB2_3770
; %bb.3761:                             ;   in Loop: Header=BB2_1935 Depth=1
	v_and_b32_e32 v10, 0x100, v30
	v_and_b32_e32 v28, 7, v8
	s_mov_b32 s7, -1
	s_delay_alu instid0(VALU_DEP_2)
	v_cmp_ne_u32_e32 vcc_lo, 0, v10
                                        ; implicit-def: $vgpr10_vgpr11
	s_and_saveexec_b32 s20, vcc_lo
	s_cbranch_execz .LBB2_3765
; %bb.3762:                             ;   in Loop: Header=BB2_1935 Depth=1
	v_mad_u64_u32 v[12:13], null, v28, 24, v[6:7]
	flat_load_b32 v10, v[12:13]
	s_waitcnt vmcnt(0) lgkmcnt(0)
	v_cmp_ne_u32_e32 vcc_lo, 1, v10
	v_cmp_eq_u32_e64 s7, 1, v10
                                        ; implicit-def: $vgpr10_vgpr11
	s_delay_alu instid0(VALU_DEP_1)
	s_and_saveexec_b32 s21, s7
	s_cbranch_execz .LBB2_3764
; %bb.3763:                             ;   in Loop: Header=BB2_1935 Depth=1
	flat_load_b32 v10, v[12:13] offset:4 glc
	s_waitcnt vmcnt(0) lgkmcnt(0)
	v_ashrrev_i32_e32 v11, 31, v10
.LBB2_3764:                             ;   in Loop: Header=BB2_1935 Depth=1
	s_or_b32 exec_lo, exec_lo, s21
	s_delay_alu instid0(SALU_CYCLE_1)
	s_or_not1_b32 s7, vcc_lo, exec_lo
.LBB2_3765:                             ;   in Loop: Header=BB2_1935 Depth=1
	s_or_b32 exec_lo, exec_lo, s20
	s_and_saveexec_b32 s20, s7
; %bb.3766:                             ;   in Loop: Header=BB2_1935 Depth=1
	v_mad_i64_i32 v[10:11], null, v28, v55, 0
; %bb.3767:                             ;   in Loop: Header=BB2_1935 Depth=1
	s_or_b32 exec_lo, exec_lo, s20
	s_delay_alu instid0(VALU_DEP_1) | instskip(SKIP_1) | instid1(VALU_DEP_3)
	v_add_co_u32 v10, vcc_lo, v20, v10
	v_and_b32_e32 v12, 0x2000, v30
	v_add_co_ci_u32_e32 v11, vcc_lo, v21, v11, vcc_lo
	s_mov_b32 s7, exec_lo
	ds_store_b64 v0, v[10:11] offset:728
	v_cmpx_ne_u32_e32 0, v12
	s_cbranch_execz .LBB2_3769
; %bb.3768:                             ;   in Loop: Header=BB2_1935 Depth=1
	ds_load_b64 v[10:11], v0 offset:584
	s_waitcnt lgkmcnt(0)
	v_add_co_u32 v10, vcc_lo, v10, 1
	v_add_co_ci_u32_e32 v11, vcc_lo, 0, v11, vcc_lo
	ds_store_b64 v0, v[10:11] offset:584
.LBB2_3769:                             ;   in Loop: Header=BB2_1935 Depth=1
	s_or_b32 exec_lo, exec_lo, s7
	v_add_co_u32 v8, vcc_lo, v8, 1
	v_add_co_ci_u32_e32 v9, vcc_lo, 0, v9, vcc_lo
.LBB2_3770:                             ;   in Loop: Header=BB2_1935 Depth=1
	s_or_b32 exec_lo, exec_lo, s19
	s_and_saveexec_b32 s7, s2
	s_cbranch_execz .LBB2_3792
; %bb.3771:                             ;   in Loop: Header=BB2_1935 Depth=1
	s_and_saveexec_b32 s19, s3
	s_delay_alu instid0(SALU_CYCLE_1)
	s_xor_b32 s19, exec_lo, s19
	s_cbranch_execz .LBB2_3789
; %bb.3772:                             ;   in Loop: Header=BB2_1935 Depth=1
	s_and_saveexec_b32 s20, s4
	s_cbranch_execz .LBB2_3788
; %bb.3773:                             ;   in Loop: Header=BB2_1935 Depth=1
	s_mov_b32 s22, exec_lo
	s_mov_b32 s21, exec_lo
	v_mbcnt_lo_u32_b32 v10, s22, 0
	s_waitcnt lgkmcnt(0)
	s_waitcnt_vscnt null, 0x0
	buffer_gl1_inv
	buffer_gl0_inv
	v_cmpx_eq_u32_e32 0, v10
	s_cbranch_execz .LBB2_3775
; %bb.3774:                             ;   in Loop: Header=BB2_1935 Depth=1
	s_bcnt1_i32_b32 s22, s22
	s_delay_alu instid0(SALU_CYCLE_1)
	v_mov_b32_e32 v28, s22
	ds_add_u64 v0, v[28:29]
	s_cbranch_execnz .LBB2_5113
.LBB2_3775:                             ;   in Loop: Header=BB2_1935 Depth=1
	s_or_b32 exec_lo, exec_lo, s21
	s_cbranch_execnz .LBB2_5099
; %bb.3776:                             ;   in Loop: Header=BB2_1935 Depth=1
	ds_load_b64 v[10:11], v0
	v_add_co_u32 v24, vcc_lo, v24, v39
	v_add_co_ci_u32_e32 v25, vcc_lo, 0, v25, vcc_lo
	s_mov_b32 s21, exec_lo
	s_waitcnt lgkmcnt(0)
	s_delay_alu instid0(VALU_DEP_1)
	v_cmpx_lt_u64_e64 v[10:11], v[24:25]
	s_cbranch_execz .LBB2_3787
; %bb.3777:                             ;   in Loop: Header=BB2_1935 Depth=1
	s_mov_b32 s22, 0
	s_mov_b32 s25, 0
                                        ; implicit-def: $sgpr23
                                        ; implicit-def: $sgpr24
	s_branch .LBB2_3779
.LBB2_3778:                             ;   in Loop: Header=BB2_3779 Depth=2
	s_or_b32 exec_lo, exec_lo, s28
	s_delay_alu instid0(SALU_CYCLE_1) | instskip(NEXT) | instid1(SALU_CYCLE_1)
	s_and_b32 s26, exec_lo, s27
	s_or_b32 s22, s26, s22
	s_and_not1_b32 s23, s23, exec_lo
	s_and_b32 s26, s24, exec_lo
	s_delay_alu instid0(SALU_CYCLE_1)
	s_or_b32 s23, s23, s26
	s_and_not1_b32 exec_lo, exec_lo, s22
	s_cbranch_execz .LBB2_3785
.LBB2_3779:                             ;   Parent Loop BB2_1935 Depth=1
                                        ; =>  This Inner Loop Header: Depth=2
	s_add_i32 s25, s25, 1
                                        ; implicit-def: $sgpr27
	s_delay_alu instid0(SALU_CYCLE_1) | instskip(SKIP_1) | instid1(SALU_CYCLE_1)
	s_cmpk_lg_i32 s25, 0x2710
	s_cselect_b32 s26, -1, 0
	s_and_b32 vcc_lo, exec_lo, s26
	s_cbranch_vccz .LBB2_3783
.LBB2_3780:                             ;   in Loop: Header=BB2_3779 Depth=2
	s_and_not1_b32 s24, s24, exec_lo
	s_and_b32 s28, s27, exec_lo
	s_mov_b32 s27, -1
	s_or_b32 s24, s24, s28
	s_and_saveexec_b32 s28, s26
	s_cbranch_execz .LBB2_3778
; %bb.3781:                             ;   in Loop: Header=BB2_3779 Depth=2
	s_sleep 1
	s_cbranch_execnz .LBB2_5163
; %bb.3782:                             ;   in Loop: Header=BB2_3779 Depth=2
	ds_load_b64 v[10:11], v0
	s_and_not1_b32 s24, s24, exec_lo
	s_waitcnt lgkmcnt(0)
	v_cmp_ge_u64_e32 vcc_lo, v[10:11], v[24:25]
	s_or_not1_b32 s27, vcc_lo, exec_lo
	s_branch .LBB2_3778
.LBB2_3783:                             ;   in Loop: Header=BB2_3779 Depth=2
	s_cbranch_execnz .LBB2_5183
; %bb.3784:                             ;   in Loop: Header=BB2_3779 Depth=2
	ds_load_b64 v[10:11], v0
	s_and_not1_b32 s26, s26, exec_lo
	s_mov_b32 s25, 0
	s_mov_b32 s27, -1
	s_waitcnt lgkmcnt(0)
	flat_load_b32 v10, v[10:11] glc
	s_waitcnt vmcnt(0) lgkmcnt(0)
	buffer_gl1_inv
	buffer_gl0_inv
	v_cmp_eq_u32_e32 vcc_lo, 0, v10
	s_and_b32 s28, vcc_lo, exec_lo
	s_delay_alu instid0(SALU_CYCLE_1)
	s_or_b32 s26, s26, s28
	s_branch .LBB2_3780
.LBB2_3785:                             ;   in Loop: Header=BB2_1935 Depth=1
	s_or_b32 exec_lo, exec_lo, s22
	s_and_saveexec_b32 s22, s23
	s_delay_alu instid0(SALU_CYCLE_1)
	s_xor_b32 s22, exec_lo, s22
	s_cbranch_execz .LBB2_3787
; %bb.3786:                             ;   in Loop: Header=BB2_1935 Depth=1
	ds_store_b32 v0, v71
	s_cbranch_execnz .LBB2_5239
.LBB2_3787:                             ;   in Loop: Header=BB2_1935 Depth=1
	s_or_b32 exec_lo, exec_lo, s21
	;;#ASMSTART
	s_wakeup
	;;#ASMEND
.LBB2_3788:                             ;   in Loop: Header=BB2_1935 Depth=1
	s_or_b32 exec_lo, exec_lo, s20
.LBB2_3789:                             ;   in Loop: Header=BB2_1935 Depth=1
	s_and_not1_saveexec_b32 s19, s19
	s_cbranch_execz .LBB2_3791
; %bb.3790:                             ;   in Loop: Header=BB2_1935 Depth=1
	s_waitcnt lgkmcnt(0)
	s_waitcnt_vscnt null, 0x0
	buffer_gl1_inv
	buffer_gl0_inv
	s_barrier
.LBB2_3791:                             ;   in Loop: Header=BB2_1935 Depth=1
	s_or_b32 exec_lo, exec_lo, s19
.LBB2_3792:                             ;   in Loop: Header=BB2_1935 Depth=1
	s_delay_alu instid0(SALU_CYCLE_1)
	s_or_b32 exec_lo, exec_lo, s7
	s_cbranch_execnz .LBB2_5038
; %bb.3793:                             ;   in Loop: Header=BB2_1935 Depth=1
	ds_load_b32 v10, v0
	v_sub_nc_u32_e32 v11, v34, v35
	s_delay_alu instid0(VALU_DEP_1) | instskip(NEXT) | instid1(VALU_DEP_1)
	v_min_i32_e32 v11, v80, v11
	v_cmp_lt_i32_e32 vcc_lo, 0, v11
	s_waitcnt lgkmcnt(0)
	v_readfirstlane_b32 s7, v10
	v_and_b32_e32 v10, 16, v30
	s_delay_alu instid0(VALU_DEP_2) | instskip(NEXT) | instid1(VALU_DEP_1)
	s_cmp_eq_u32 s7, 0
	v_cmp_ne_u32_e64 s7, 0, v10
	s_cselect_b32 s19, -1, 0
	s_delay_alu instid0(SALU_CYCLE_1)
	s_and_b32 s19, vcc_lo, s19
	s_delay_alu instid0(VALU_DEP_1) | instid1(SALU_CYCLE_1)
	s_and_b32 s19, s7, s19
	s_delay_alu instid0(SALU_CYCLE_1)
	s_and_saveexec_b32 s7, s19
	s_cbranch_execz .LBB2_3795
; %bb.3794:                             ;   in Loop: Header=BB2_1935 Depth=1
	s_waitcnt_vscnt null, 0x0
	buffer_gl1_inv
	buffer_gl0_inv
.LBB2_3795:                             ;   in Loop: Header=BB2_1935 Depth=1
	s_or_b32 exec_lo, exec_lo, s7
	v_and_b32_e32 v10, 32, v30
	s_mov_b32 s7, exec_lo
	s_delay_alu instid0(VALU_DEP_1)
	v_cmpx_ne_u32_e32 0, v10
	s_cbranch_execz .LBB2_3797
; %bb.3796:                             ;   in Loop: Header=BB2_1935 Depth=1
	v_add_co_u32 v8, vcc_lo, v8, 1
	v_add_co_ci_u32_e32 v9, vcc_lo, 0, v9, vcc_lo
	s_waitcnt_vscnt null, 0x0
	flat_store_b64 v[18:19], v[8:9]
.LBB2_3797:                             ;   in Loop: Header=BB2_1935 Depth=1
	s_or_b32 exec_lo, exec_lo, s7
.LBB2_3798:                             ;   in Loop: Header=BB2_1935 Depth=1
	s_delay_alu instid0(SALU_CYCLE_1) | instskip(SKIP_2) | instid1(VALU_DEP_1)
	s_or_b32 exec_lo, exec_lo, s10
	v_add_co_u32 v32, vcc_lo, v32, v26
	v_add_co_ci_u32_e32 v33, vcc_lo, 0, v33, vcc_lo
	v_cmp_ge_u64_e32 vcc_lo, v[32:33], v[4:5]
	s_or_b32 s16, vcc_lo, s16
	s_delay_alu instid0(SALU_CYCLE_1)
	s_and_not1_b32 exec_lo, exec_lo, s16
	s_cbranch_execnz .LBB2_1935
; %bb.3799:
	s_or_b32 exec_lo, exec_lo, s16
.LBB2_3800:
	s_delay_alu instid0(SALU_CYCLE_1)
	s_or_b32 exec_lo, exec_lo, s12
.LBB2_3801:
	s_delay_alu instid0(SALU_CYCLE_1)
	s_or_b32 exec_lo, exec_lo, s11
                                        ; implicit-def: $vgpr14_vgpr15
                                        ; implicit-def: $vgpr4_vgpr5
                                        ; implicit-def: $vgpr28_vgpr29
                                        ; implicit-def: $vgpr55
                                        ; implicit-def: $vgpr22_vgpr23
                                        ; implicit-def: $vgpr20_vgpr21
                                        ; implicit-def: $vgpr18_vgpr19
                                        ; implicit-def: $vgpr0
                                        ; implicit-def: $vgpr35
                                        ; implicit-def: $vgpr26_vgpr27
.LBB2_3802:
	s_and_not1_saveexec_b32 s12, s15
	s_cbranch_execz .LBB2_4950
; %bb.3803:
	v_mov_b32_e32 v24, 0
	v_mov_b32_e32 v25, 0
	s_mov_b32 s15, exec_lo
	v_cmpx_ne_u64_e32 0, v[4:5]
	s_cbranch_execz .LBB2_4949
; %bb.3804:
	v_cmp_ge_i32_e64 s1, v0, v1
	s_cbranch_execnz .LBB2_4979
; %bb.3805:
	v_ashrrev_i32_e32 v10, 31, v0
	v_lshrrev_b32_e32 v64, 5, v1
	v_dual_mov_b32 v36, 0 :: v_dual_and_b32 v11, 31, v31
	s_ashr_i32 s4, s14, 31
	s_delay_alu instid0(VALU_DEP_3)
	v_lshrrev_b32_e32 v10, 27, v10
	s_lshr_b32 s4, s4, 24
	v_and_b32_e32 v80, 0xffffffe0, v1
	s_add_i32 s14, s14, s4
	v_cmp_eq_u32_e64 s4, 0, v11
	v_dual_mov_b32 v33, 0 :: v_dual_add_nc_u32 v10, v0, v10
	v_lshl_add_u32 v11, v64, 8, 0xffffff00
	v_cmp_eq_u32_e32 vcc_lo, 32, v1
	v_cmp_ne_u32_e64 s2, 32, v1
	s_delay_alu instid0(VALU_DEP_4) | instskip(SKIP_3) | instid1(VALU_DEP_4)
	v_dual_mov_b32 v37, 0 :: v_dual_and_b32 v12, 0xffffffe0, v10
	v_lshlrev_b32_e32 v66, 9, v64
	v_ashrrev_i32_e32 v65, 5, v10
	v_lshl_add_u32 v10, v64, 10, 0xfffffc00
	v_sub_nc_u32_e32 v67, v0, v12
	v_cmp_ne_u32_e64 s3, v54, v1
	v_add_nc_u32_e32 v24, 0xfffffe00, v66
	v_lshlrev_b32_e32 v12, 10, v65
	v_ashrrev_i32_e32 v13, 31, v10
	v_add_co_u32 v68, s5, 0x400, v10
	s_delay_alu instid0(VALU_DEP_4) | instskip(SKIP_3) | instid1(VALU_DEP_4)
	v_ashrrev_i32_e32 v10, 31, v24
	v_add_co_u32 v70, s7, 0x200, v24
	v_lshl_add_u32 v34, v67, 4, v12
	v_add_co_ci_u32_e64 v69, s5, 0, v13, s5
	v_add_co_ci_u32_e64 v71, s7, 0, v10, s7
	v_ashrrev_i32_e32 v10, 31, v11
	v_add_co_u32 v81, s7, 0x100, v11
	v_dual_mov_b32 v24, v36 :: v_dual_mov_b32 v25, v37
	s_delay_alu instid0(VALU_DEP_3)
	v_add_co_ci_u32_e64 v82, s7, 0, v10, s7
	v_cmp_ne_u64_e64 s7, 0, v[28:29]
	v_cmp_gt_i32_e64 s5, 1, v67
	v_cmp_lt_i32_e64 s6, v67, v35
	v_ashrrev_i32_e32 v35, 31, v34
	v_ashrrev_i32_e32 v83, 31, v80
	v_mov_b32_e32 v84, 1
	s_ashr_i32 s16, s14, 8
	s_mov_b32 s14, 0
	s_xor_b32 s17, vcc_lo, -1
.LBB2_3806:                             ; =>This Loop Header: Depth=1
                                        ;     Child Loop BB2_3816 Depth 2
                                        ;     Child Loop BB2_3843 Depth 2
	;; [unrolled: 1-line block ×10, first 2 shown]
	v_sub_co_u32 v10, vcc_lo, v4, v36
	v_sub_co_ci_u32_e32 v11, vcc_lo, v5, v37, vcc_lo
	v_mov_b32_e32 v12, 0
	s_delay_alu instid0(VALU_DEP_2) | instskip(SKIP_2) | instid1(VALU_DEP_2)
	v_cmp_lt_u64_e32 vcc_lo, v[26:27], v[10:11]
	v_cndmask_b32_e32 v38, v10, v26, vcc_lo
	v_cndmask_b32_e64 v39, v11, 0, vcc_lo
	v_add_nc_u32_e32 v10, 15, v38
	s_delay_alu instid0(VALU_DEP_2) | instskip(NEXT) | instid1(VALU_DEP_2)
	v_cmp_eq_u64_e32 vcc_lo, 0, v[38:39]
	v_and_b32_e32 v10, 0x7ffffff0, v10
	s_or_b32 s18, s1, vcc_lo
	s_delay_alu instid0(SALU_CYCLE_1) | instskip(NEXT) | instid1(VALU_DEP_1)
	s_xor_b32 s10, s18, -1
	v_max_i32_e32 v32, s16, v10
	s_and_saveexec_b32 s19, s10
	s_cbranch_execz .LBB2_4892
; %bb.3807:                             ;   in Loop: Header=BB2_3806 Depth=1
	s_and_saveexec_b32 s10, s0
	s_cbranch_execz .LBB2_3810
; %bb.3808:                             ;   in Loop: Header=BB2_3806 Depth=1
	s_cbranch_execnz .LBB2_5020
; %bb.3809:                             ;   in Loop: Header=BB2_3806 Depth=1
	ds_load_b64 v[10:11], v0
	s_waitcnt lgkmcnt(0)
	v_add_co_u32 v12, vcc_lo, v10, v14
	v_add_co_ci_u32_e32 v11, vcc_lo, v11, v15, vcc_lo
	v_mov_b32_e32 v10, v33
	s_delay_alu instid0(VALU_DEP_3) | instskip(NEXT) | instid1(VALU_DEP_3)
	v_add_co_u32 v12, vcc_lo, v12, v36
	v_add_co_ci_u32_e32 v13, vcc_lo, v11, v37, vcc_lo
	v_mov_b32_e32 v11, v33
	ds_store_b64 v0, v[12:13]
	ds_store_b64 v0, v[10:11]
.LBB2_3810:                             ;   in Loop: Header=BB2_3806 Depth=1
	s_or_b32 exec_lo, exec_lo, s10
	v_and_b32_e32 v10, 8, v30
	s_mov_b32 s11, -1
	s_mov_b32 s10, exec_lo
	s_delay_alu instid0(VALU_DEP_1)
	v_cmpx_ne_u32_e32 0, v10
	s_cbranch_execz .LBB2_3824
; %bb.3811:                             ;   in Loop: Header=BB2_3806 Depth=1
	v_add_co_u32 v12, vcc_lo, v22, 8
	v_add_co_ci_u32_e32 v13, vcc_lo, 0, v23, vcc_lo
	v_add_co_u32 v10, vcc_lo, v8, 1
	v_add_co_ci_u32_e32 v11, vcc_lo, 0, v9, vcc_lo
	s_delay_alu instid0(VALU_DEP_1)
	v_cmp_lt_u64_e32 vcc_lo, v[12:13], v[10:11]
	v_mov_b32_e32 v12, 1
	s_and_saveexec_b32 s11, vcc_lo
	s_cbranch_execz .LBB2_3823
; %bb.3812:                             ;   in Loop: Header=BB2_3806 Depth=1
	v_mov_b32_e32 v12, 0
	s_mov_b32 s20, 0
                                        ; implicit-def: $sgpr21
	s_branch .LBB2_3816
.LBB2_3813:                             ;   in Loop: Header=BB2_3816 Depth=2
	s_or_b32 exec_lo, exec_lo, s25
	v_mov_b32_e32 v13, 0
	s_or_not1_b32 s24, s24, exec_lo
.LBB2_3814:                             ;   in Loop: Header=BB2_3816 Depth=2
	s_or_b32 exec_lo, exec_lo, s23
	s_delay_alu instid0(VALU_DEP_1) | instskip(SKIP_2) | instid1(SALU_CYCLE_1)
	v_mov_b32_e32 v12, v13
	s_and_not1_b32 s21, s21, exec_lo
	s_and_b32 s23, s24, exec_lo
	s_or_b32 s21, s21, s23
.LBB2_3815:                             ;   in Loop: Header=BB2_3816 Depth=2
	s_or_b32 exec_lo, exec_lo, s22
	s_waitcnt vmcnt(0) lgkmcnt(0)
	v_add_co_u32 v48, vcc_lo, v22, 8
	v_add_co_ci_u32_e32 v49, vcc_lo, 0, v23, vcc_lo
	s_xor_b32 s22, s21, -1
	s_delay_alu instid0(VALU_DEP_1) | instskip(SKIP_1) | instid1(SALU_CYCLE_1)
	v_cmp_ge_u64_e32 vcc_lo, v[48:49], v[10:11]
	s_or_b32 s22, s22, vcc_lo
	s_and_b32 s22, exec_lo, s22
	s_delay_alu instid0(SALU_CYCLE_1) | instskip(NEXT) | instid1(SALU_CYCLE_1)
	s_or_b32 s20, s22, s20
	s_and_not1_b32 exec_lo, exec_lo, s20
	s_cbranch_execz .LBB2_3822
.LBB2_3816:                             ;   Parent Loop BB2_3806 Depth=1
                                        ; =>  This Inner Loop Header: Depth=2
	s_sleep 1
	flat_load_b64 v[22:23], v[18:19] glc
	v_and_b32_e32 v13, 64, v30
	s_and_not1_b32 s21, s21, exec_lo
	s_mov_b32 s22, exec_lo
	s_delay_alu instid0(VALU_DEP_1)
	v_cmpx_eq_u32_e32 0, v13
	s_cbranch_execz .LBB2_3815
; %bb.3817:                             ;   in Loop: Header=BB2_3816 Depth=2
	v_add_nc_u32_e32 v13, 1, v12
	s_mov_b32 s24, -1
	s_mov_b32 s23, exec_lo
	v_cmpx_lt_i32_e32 0x270e, v12
	s_cbranch_execz .LBB2_3814
; %bb.3818:                             ;   in Loop: Header=BB2_3816 Depth=2
	s_cbranch_execnz .LBB2_5026
; %bb.3819:                             ;   in Loop: Header=BB2_3816 Depth=2
	ds_load_b64 v[12:13], v0
	s_mov_b32 s25, exec_lo
	s_waitcnt vmcnt(0) lgkmcnt(0)
	s_waitcnt_vscnt null, 0x0
	flat_load_b32 v12, v[12:13] glc
	s_waitcnt vmcnt(0) lgkmcnt(0)
	buffer_gl1_inv
	buffer_gl0_inv
	v_cmpx_ne_u32_e32 0, v12
	s_cbranch_execz .LBB2_3813
; %bb.3820:                             ;   in Loop: Header=BB2_3816 Depth=2
	ds_store_b32 v0, v12
	s_cbranch_execnz .LBB2_5069
; %bb.3821:                             ;   in Loop: Header=BB2_3816 Depth=2
	v_or_b32_e32 v30, 64, v30
	s_xor_b32 s24, exec_lo, -1
	s_branch .LBB2_3813
.LBB2_3822:                             ;   in Loop: Header=BB2_3806 Depth=1
	s_or_b32 exec_lo, exec_lo, s20
	v_and_b32_e32 v12, 8, v30
.LBB2_3823:                             ;   in Loop: Header=BB2_3806 Depth=1
	s_or_b32 exec_lo, exec_lo, s11
	s_delay_alu instid0(VALU_DEP_1)
	v_cmp_eq_u32_e32 vcc_lo, 0, v12
	;;#ASMSTART
	s_wakeup
	;;#ASMEND
	s_or_not1_b32 s11, vcc_lo, exec_lo
.LBB2_3824:                             ;   in Loop: Header=BB2_3806 Depth=1
	s_or_b32 exec_lo, exec_lo, s10
	v_min_u32_e32 v32, v32, v38
	s_xor_b32 s10, s11, -1
	s_delay_alu instid0(SALU_CYCLE_1)
	s_and_saveexec_b32 s11, s10
	s_cbranch_execz .LBB2_3834
; %bb.3825:                             ;   in Loop: Header=BB2_3806 Depth=1
	v_and_b32_e32 v10, 0x100, v30
	v_and_b32_e32 v39, 7, v8
	s_mov_b32 s10, -1
	s_delay_alu instid0(VALU_DEP_2)
	v_cmp_ne_u32_e32 vcc_lo, 0, v10
                                        ; implicit-def: $vgpr10_vgpr11
	s_and_saveexec_b32 s20, vcc_lo
	s_cbranch_execz .LBB2_3829
; %bb.3826:                             ;   in Loop: Header=BB2_3806 Depth=1
	v_mad_u64_u32 v[12:13], null, v39, 24, v[6:7]
	flat_load_b32 v10, v[12:13]
	flat_store_b64 v[12:13], v[32:33] offset:8
	s_waitcnt vmcnt(0) lgkmcnt(1)
	v_cmp_ne_u32_e32 vcc_lo, 1, v10
	v_cmp_eq_u32_e64 s10, 1, v10
                                        ; implicit-def: $vgpr10_vgpr11
	s_delay_alu instid0(VALU_DEP_1)
	s_and_saveexec_b32 s21, s10
	s_cbranch_execz .LBB2_3828
; %bb.3827:                             ;   in Loop: Header=BB2_3806 Depth=1
	flat_load_b32 v10, v[12:13] offset:4 glc
	s_waitcnt vmcnt(0) lgkmcnt(0)
	v_ashrrev_i32_e32 v11, 31, v10
.LBB2_3828:                             ;   in Loop: Header=BB2_3806 Depth=1
	s_or_b32 exec_lo, exec_lo, s21
	s_delay_alu instid0(SALU_CYCLE_1)
	s_or_not1_b32 s10, vcc_lo, exec_lo
.LBB2_3829:                             ;   in Loop: Header=BB2_3806 Depth=1
	s_or_b32 exec_lo, exec_lo, s20
	s_and_saveexec_b32 s20, s10
; %bb.3830:                             ;   in Loop: Header=BB2_3806 Depth=1
	v_mad_i64_i32 v[10:11], null, v39, v55, 0
; %bb.3831:                             ;   in Loop: Header=BB2_3806 Depth=1
	s_or_b32 exec_lo, exec_lo, s20
	s_delay_alu instid0(VALU_DEP_1) | instskip(SKIP_1) | instid1(VALU_DEP_3)
	v_add_co_u32 v10, vcc_lo, v20, v10
	v_and_b32_e32 v12, 0x2000, v30
	v_add_co_ci_u32_e32 v11, vcc_lo, v21, v11, vcc_lo
	s_mov_b32 s10, exec_lo
	ds_store_b64 v0, v[10:11] offset:784
	v_cmpx_ne_u32_e32 0, v12
	s_cbranch_execz .LBB2_3833
; %bb.3832:                             ;   in Loop: Header=BB2_3806 Depth=1
	ds_load_b64 v[10:11], v0 offset:584
	s_waitcnt lgkmcnt(0)
	v_add_co_u32 v10, vcc_lo, v10, 1
	v_add_co_ci_u32_e32 v11, vcc_lo, 0, v11, vcc_lo
	ds_store_b64 v0, v[10:11] offset:584
.LBB2_3833:                             ;   in Loop: Header=BB2_3806 Depth=1
	s_or_b32 exec_lo, exec_lo, s10
	v_add_co_u32 v8, vcc_lo, v8, 1
	v_add_co_ci_u32_e32 v9, vcc_lo, 0, v9, vcc_lo
.LBB2_3834:                             ;   in Loop: Header=BB2_3806 Depth=1
	s_or_b32 exec_lo, exec_lo, s11
	s_and_saveexec_b32 s10, s2
	s_cbranch_execz .LBB2_3856
; %bb.3835:                             ;   in Loop: Header=BB2_3806 Depth=1
	s_and_saveexec_b32 s11, s3
	s_delay_alu instid0(SALU_CYCLE_1)
	s_xor_b32 s11, exec_lo, s11
	s_cbranch_execz .LBB2_3853
; %bb.3836:                             ;   in Loop: Header=BB2_3806 Depth=1
	s_and_saveexec_b32 s20, s4
	s_cbranch_execz .LBB2_3852
; %bb.3837:                             ;   in Loop: Header=BB2_3806 Depth=1
	s_mov_b32 s22, exec_lo
	s_mov_b32 s21, exec_lo
	v_mbcnt_lo_u32_b32 v10, s22, 0
	s_waitcnt lgkmcnt(0)
	s_waitcnt_vscnt null, 0x0
	buffer_gl1_inv
	buffer_gl0_inv
	v_cmpx_eq_u32_e32 0, v10
	s_cbranch_execz .LBB2_3839
; %bb.3838:                             ;   in Loop: Header=BB2_3806 Depth=1
	s_bcnt1_i32_b32 s22, s22
	s_delay_alu instid0(SALU_CYCLE_1)
	v_dual_mov_b32 v11, v33 :: v_dual_mov_b32 v10, s22
	ds_add_u64 v0, v[10:11]
	s_cbranch_execnz .LBB2_5081
.LBB2_3839:                             ;   in Loop: Header=BB2_3806 Depth=1
	s_or_b32 exec_lo, exec_lo, s21
	s_cbranch_execnz .LBB2_5071
; %bb.3840:                             ;   in Loop: Header=BB2_3806 Depth=1
	ds_load_b64 v[10:11], v0
	v_add_co_u32 v24, vcc_lo, v24, v64
	v_add_co_ci_u32_e32 v25, vcc_lo, 0, v25, vcc_lo
	s_mov_b32 s21, exec_lo
	s_waitcnt lgkmcnt(0)
	s_delay_alu instid0(VALU_DEP_1)
	v_cmpx_lt_u64_e64 v[10:11], v[24:25]
	s_cbranch_execz .LBB2_3851
; %bb.3841:                             ;   in Loop: Header=BB2_3806 Depth=1
	s_mov_b32 s22, 0
	s_mov_b32 s25, 0
                                        ; implicit-def: $sgpr23
                                        ; implicit-def: $sgpr24
	s_branch .LBB2_3843
.LBB2_3842:                             ;   in Loop: Header=BB2_3843 Depth=2
	s_or_b32 exec_lo, exec_lo, s28
	s_delay_alu instid0(SALU_CYCLE_1) | instskip(NEXT) | instid1(SALU_CYCLE_1)
	s_and_b32 s26, exec_lo, s27
	s_or_b32 s22, s26, s22
	s_and_not1_b32 s23, s23, exec_lo
	s_and_b32 s26, s24, exec_lo
	s_delay_alu instid0(SALU_CYCLE_1)
	s_or_b32 s23, s23, s26
	s_and_not1_b32 exec_lo, exec_lo, s22
	s_cbranch_execz .LBB2_3849
.LBB2_3843:                             ;   Parent Loop BB2_3806 Depth=1
                                        ; =>  This Inner Loop Header: Depth=2
	s_add_i32 s25, s25, 1
                                        ; implicit-def: $sgpr27
	s_delay_alu instid0(SALU_CYCLE_1) | instskip(SKIP_1) | instid1(SALU_CYCLE_1)
	s_cmpk_lg_i32 s25, 0x2710
	s_cselect_b32 s26, -1, 0
	s_and_b32 vcc_lo, exec_lo, s26
	s_cbranch_vccz .LBB2_3847
.LBB2_3844:                             ;   in Loop: Header=BB2_3843 Depth=2
	s_and_not1_b32 s24, s24, exec_lo
	s_and_b32 s28, s27, exec_lo
	s_mov_b32 s27, -1
	s_or_b32 s24, s24, s28
	s_and_saveexec_b32 s28, s26
	s_cbranch_execz .LBB2_3842
; %bb.3845:                             ;   in Loop: Header=BB2_3843 Depth=2
	s_sleep 1
	s_cbranch_execnz .LBB2_5109
; %bb.3846:                             ;   in Loop: Header=BB2_3843 Depth=2
	ds_load_b64 v[10:11], v0
	s_and_not1_b32 s24, s24, exec_lo
	s_waitcnt lgkmcnt(0)
	v_cmp_ge_u64_e32 vcc_lo, v[10:11], v[24:25]
	s_or_not1_b32 s27, vcc_lo, exec_lo
	s_branch .LBB2_3842
.LBB2_3847:                             ;   in Loop: Header=BB2_3843 Depth=2
	s_cbranch_execnz .LBB2_5121
; %bb.3848:                             ;   in Loop: Header=BB2_3843 Depth=2
	ds_load_b64 v[10:11], v0
	s_and_not1_b32 s26, s26, exec_lo
	s_mov_b32 s25, 0
	s_mov_b32 s27, -1
	s_waitcnt lgkmcnt(0)
	flat_load_b32 v10, v[10:11] glc
	s_waitcnt vmcnt(0) lgkmcnt(0)
	buffer_gl1_inv
	buffer_gl0_inv
	v_cmp_eq_u32_e32 vcc_lo, 0, v10
	s_and_b32 s28, vcc_lo, exec_lo
	s_delay_alu instid0(SALU_CYCLE_1)
	s_or_b32 s26, s26, s28
	s_branch .LBB2_3844
.LBB2_3849:                             ;   in Loop: Header=BB2_3806 Depth=1
	s_or_b32 exec_lo, exec_lo, s22
	s_and_saveexec_b32 s22, s23
	s_delay_alu instid0(SALU_CYCLE_1)
	s_xor_b32 s22, exec_lo, s22
	s_cbranch_execz .LBB2_3851
; %bb.3850:                             ;   in Loop: Header=BB2_3806 Depth=1
	ds_store_b32 v0, v84
	s_cbranch_execnz .LBB2_5229
.LBB2_3851:                             ;   in Loop: Header=BB2_3806 Depth=1
	s_or_b32 exec_lo, exec_lo, s21
	;;#ASMSTART
	s_wakeup
	;;#ASMEND
.LBB2_3852:                             ;   in Loop: Header=BB2_3806 Depth=1
	s_or_b32 exec_lo, exec_lo, s20
.LBB2_3853:                             ;   in Loop: Header=BB2_3806 Depth=1
	s_and_not1_saveexec_b32 s11, s11
	s_cbranch_execz .LBB2_3855
; %bb.3854:                             ;   in Loop: Header=BB2_3806 Depth=1
	s_waitcnt lgkmcnt(0)
	s_waitcnt_vscnt null, 0x0
	buffer_gl1_inv
	buffer_gl0_inv
	s_barrier
.LBB2_3855:                             ;   in Loop: Header=BB2_3806 Depth=1
	s_or_b32 exec_lo, exec_lo, s11
.LBB2_3856:                             ;   in Loop: Header=BB2_3806 Depth=1
	s_delay_alu instid0(SALU_CYCLE_1)
	s_or_b32 exec_lo, exec_lo, s10
	s_cbranch_execnz .LBB2_5018
; %bb.3857:                             ;   in Loop: Header=BB2_3806 Depth=1
	ds_load_b32 v10, v0
	v_and_b32_e32 v11, 0x4000, v30
	s_delay_alu instid0(VALU_DEP_1) | instskip(SKIP_1) | instid1(SALU_CYCLE_1)
	v_cmp_ne_u32_e32 vcc_lo, 0, v11
	s_and_b32 s11, s17, vcc_lo
	s_and_saveexec_b32 s10, s11
	s_cbranch_execz .LBB2_3879
; %bb.3858:                             ;   in Loop: Header=BB2_3806 Depth=1
	s_and_saveexec_b32 s11, s3
	s_delay_alu instid0(SALU_CYCLE_1)
	s_xor_b32 s11, exec_lo, s11
	s_cbranch_execz .LBB2_3876
; %bb.3859:                             ;   in Loop: Header=BB2_3806 Depth=1
	s_and_saveexec_b32 s20, s4
	s_cbranch_execz .LBB2_3875
; %bb.3860:                             ;   in Loop: Header=BB2_3806 Depth=1
	s_mov_b32 s22, exec_lo
	s_mov_b32 s21, exec_lo
	v_mbcnt_lo_u32_b32 v11, s22, 0
	s_waitcnt lgkmcnt(0)
	s_waitcnt_vscnt null, 0x0
	buffer_gl1_inv
	buffer_gl0_inv
	v_cmpx_eq_u32_e32 0, v11
	s_cbranch_execz .LBB2_3862
; %bb.3861:                             ;   in Loop: Header=BB2_3806 Depth=1
	s_bcnt1_i32_b32 s22, s22
	s_delay_alu instid0(SALU_CYCLE_1)
	v_dual_mov_b32 v12, v33 :: v_dual_mov_b32 v11, s22
	ds_add_u64 v0, v[11:12]
	s_cbranch_execnz .LBB2_5107
.LBB2_3862:                             ;   in Loop: Header=BB2_3806 Depth=1
	s_or_b32 exec_lo, exec_lo, s21
	s_cbranch_execnz .LBB2_5095
; %bb.3863:                             ;   in Loop: Header=BB2_3806 Depth=1
	ds_load_b64 v[11:12], v0
	v_add_co_u32 v24, vcc_lo, v24, v64
	v_add_co_ci_u32_e32 v25, vcc_lo, 0, v25, vcc_lo
	s_mov_b32 s21, exec_lo
	s_waitcnt lgkmcnt(0)
	s_delay_alu instid0(VALU_DEP_1)
	v_cmpx_lt_u64_e64 v[11:12], v[24:25]
	s_cbranch_execz .LBB2_3874
; %bb.3864:                             ;   in Loop: Header=BB2_3806 Depth=1
	s_mov_b32 s22, 0
	s_mov_b32 s25, 0
                                        ; implicit-def: $sgpr23
                                        ; implicit-def: $sgpr24
	s_branch .LBB2_3866
.LBB2_3865:                             ;   in Loop: Header=BB2_3866 Depth=2
	s_or_b32 exec_lo, exec_lo, s28
	s_delay_alu instid0(SALU_CYCLE_1) | instskip(NEXT) | instid1(SALU_CYCLE_1)
	s_and_b32 s26, exec_lo, s27
	s_or_b32 s22, s26, s22
	s_and_not1_b32 s23, s23, exec_lo
	s_and_b32 s26, s24, exec_lo
	s_delay_alu instid0(SALU_CYCLE_1)
	s_or_b32 s23, s23, s26
	s_and_not1_b32 exec_lo, exec_lo, s22
	s_cbranch_execz .LBB2_3872
.LBB2_3866:                             ;   Parent Loop BB2_3806 Depth=1
                                        ; =>  This Inner Loop Header: Depth=2
	s_add_i32 s25, s25, 1
                                        ; implicit-def: $sgpr27
	s_delay_alu instid0(SALU_CYCLE_1) | instskip(SKIP_1) | instid1(SALU_CYCLE_1)
	s_cmpk_lg_i32 s25, 0x2710
	s_cselect_b32 s26, -1, 0
	s_and_b32 vcc_lo, exec_lo, s26
	s_cbranch_vccz .LBB2_3870
.LBB2_3867:                             ;   in Loop: Header=BB2_3866 Depth=2
	s_and_not1_b32 s24, s24, exec_lo
	s_and_b32 s28, s27, exec_lo
	s_mov_b32 s27, -1
	s_or_b32 s24, s24, s28
	s_and_saveexec_b32 s28, s26
	s_cbranch_execz .LBB2_3865
; %bb.3868:                             ;   in Loop: Header=BB2_3866 Depth=2
	s_sleep 1
	s_cbranch_execnz .LBB2_5141
; %bb.3869:                             ;   in Loop: Header=BB2_3866 Depth=2
	ds_load_b64 v[11:12], v0
	s_and_not1_b32 s24, s24, exec_lo
	s_waitcnt lgkmcnt(0)
	v_cmp_ge_u64_e32 vcc_lo, v[11:12], v[24:25]
	s_or_not1_b32 s27, vcc_lo, exec_lo
	s_branch .LBB2_3865
.LBB2_3870:                             ;   in Loop: Header=BB2_3866 Depth=2
	s_cbranch_execnz .LBB2_5159
; %bb.3871:                             ;   in Loop: Header=BB2_3866 Depth=2
	ds_load_b64 v[11:12], v0
	s_and_not1_b32 s26, s26, exec_lo
	s_mov_b32 s25, 0
	s_mov_b32 s27, -1
	s_waitcnt lgkmcnt(0)
	flat_load_b32 v11, v[11:12] glc
	s_waitcnt vmcnt(0) lgkmcnt(0)
	buffer_gl1_inv
	buffer_gl0_inv
	v_cmp_eq_u32_e32 vcc_lo, 0, v11
	s_and_b32 s28, vcc_lo, exec_lo
	s_delay_alu instid0(SALU_CYCLE_1)
	s_or_b32 s26, s26, s28
	s_branch .LBB2_3867
.LBB2_3872:                             ;   in Loop: Header=BB2_3806 Depth=1
	s_or_b32 exec_lo, exec_lo, s22
	s_and_saveexec_b32 s22, s23
	s_delay_alu instid0(SALU_CYCLE_1)
	s_xor_b32 s22, exec_lo, s22
	s_cbranch_execz .LBB2_3874
; %bb.3873:                             ;   in Loop: Header=BB2_3806 Depth=1
	ds_store_b32 v0, v84
	s_cbranch_execnz .LBB2_5237
.LBB2_3874:                             ;   in Loop: Header=BB2_3806 Depth=1
	s_or_b32 exec_lo, exec_lo, s21
	;;#ASMSTART
	s_wakeup
	;;#ASMEND
.LBB2_3875:                             ;   in Loop: Header=BB2_3806 Depth=1
	s_or_b32 exec_lo, exec_lo, s20
.LBB2_3876:                             ;   in Loop: Header=BB2_3806 Depth=1
	s_and_not1_saveexec_b32 s11, s11
	s_cbranch_execz .LBB2_3878
; %bb.3877:                             ;   in Loop: Header=BB2_3806 Depth=1
	s_waitcnt lgkmcnt(0)
	s_waitcnt_vscnt null, 0x0
	buffer_gl1_inv
	buffer_gl0_inv
	s_barrier
.LBB2_3878:                             ;   in Loop: Header=BB2_3806 Depth=1
	s_or_b32 exec_lo, exec_lo, s11
.LBB2_3879:                             ;   in Loop: Header=BB2_3806 Depth=1
	s_delay_alu instid0(SALU_CYCLE_1)
	s_or_b32 exec_lo, exec_lo, s10
	s_cbranch_execnz .LBB2_5034
; %bb.3880:                             ;   in Loop: Header=BB2_3806 Depth=1
	ds_load_b64 v[11:12], v0
	s_waitcnt lgkmcnt(0)
	v_cmp_eq_u64_e32 vcc_lo, 0, v[11:12]
	s_or_b32 s10, vcc_lo, vcc_lo
	s_delay_alu instid0(SALU_CYCLE_1)
	s_and_b32 vcc_lo, exec_lo, s10
	s_mov_b32 s10, 0
	s_cbranch_vccnz .LBB2_4863
; %bb.3881:                             ;   in Loop: Header=BB2_3806 Depth=1
	s_mov_b32 s10, -1
	s_and_saveexec_b32 s11, s5
	s_cbranch_execz .LBB2_3883
; %bb.3882:                             ;   in Loop: Header=BB2_3806 Depth=1
	ds_load_b32 v11, v0 offset:720
	s_waitcnt lgkmcnt(0)
	v_and_b32_e32 v11, 15, v11
	s_delay_alu instid0(VALU_DEP_1)
	v_cmp_eq_u32_e32 vcc_lo, 0, v11
	s_or_not1_b32 s10, vcc_lo, exec_lo
.LBB2_3883:                             ;   in Loop: Header=BB2_3806 Depth=1
	s_or_b32 exec_lo, exec_lo, s11
	s_and_saveexec_b32 s11, s6
	s_cbranch_execz .LBB2_3885
; %bb.3884:                             ;   in Loop: Header=BB2_3806 Depth=1
	ds_load_b32 v11, v0 offset:784
	s_waitcnt lgkmcnt(0)
	v_and_b32_e32 v11, 15, v11
	s_delay_alu instid0(VALU_DEP_1) | instskip(SKIP_3) | instid1(SALU_CYCLE_1)
	v_cmp_eq_u32_e32 vcc_lo, 0, v11
	s_and_b32 s20, s10, vcc_lo
	s_and_not1_b32 s10, s10, exec_lo
	s_and_b32 s20, s20, exec_lo
	s_or_b32 s10, s10, s20
.LBB2_3885:                             ;   in Loop: Header=BB2_3806 Depth=1
	s_or_b32 exec_lo, exec_lo, s11
	v_cmp_eq_u32_e32 vcc_lo, 0, v10
	s_xor_b32 s10, s10, -1
	v_mov_b32_e32 v12, v65
	v_cndmask_b32_e64 v11, 0, 1, s10
	;;#ASMSTART
	;;#ASMEND
	v_dual_cndmask_b32 v39, 0, v32 :: v_dual_mov_b32 v86, v0
	s_delay_alu instid0(VALU_DEP_2) | instskip(SKIP_2) | instid1(VALU_DEP_3)
	v_cmp_ne_u32_e32 vcc_lo, 0, v11
	v_mov_b32_e32 v51, 0
	s_mov_b32 s10, -1
	v_mov_b32_e32 v50, v39
	s_cbranch_vccnz .LBB2_4687
; %bb.3886:                             ;   in Loop: Header=BB2_3806 Depth=1
	v_lshrrev_b32_e32 v10, 10, v39
	s_mov_b32 s11, exec_lo
	s_delay_alu instid0(VALU_DEP_1) | instskip(NEXT) | instid1(VALU_DEP_1)
	v_sub_nc_u32_e32 v85, v10, v65
	v_cmpx_lt_i32_e32 0, v85
	s_cbranch_execz .LBB2_4412
; %bb.3887:                             ;   in Loop: Header=BB2_3806 Depth=1
	s_cbranch_execnz .LBB2_5125
; %bb.3888:                             ;   in Loop: Header=BB2_3806 Depth=1
	ds_load_b64 v[48:49], v0
	v_dual_mov_b32 v51, v35 :: v_dual_mov_b32 v50, v34
	s_waitcnt lgkmcnt(0)
	v_readfirstlane_b32 s10, v48
	v_and_b32_e32 v86, 0xff, v48
	s_delay_alu instid0(VALU_DEP_2) | instskip(SKIP_2) | instid1(SALU_CYCLE_1)
	s_and_b32 s20, s10, 7
	s_bfe_u32 s23, s10, 0x40003
	s_clz_i32_u32 s21, s20
	s_min_u32 s21, s21, 32
	s_delay_alu instid0(SALU_CYCLE_1) | instskip(SKIP_2) | instid1(SALU_CYCLE_1)
	s_sub_i32 s22, s21, 28
	s_sub_i32 s21, 29, s21
	s_lshl_b32 s22, s10, s22
	s_and_b32 s22, s22, 7
	s_cmp_eq_u32 s23, 0
	s_cselect_b32 s21, s21, s23
	s_cselect_b32 s20, s22, s20
	s_lshl_b32 s10, s10, 24
	s_lshl_b32 s22, s20, 20
	;; [unrolled: 1-line block ×3, first 2 shown]
	s_and_b32 s10, s10, 0x80000000
	s_add_i32 s20, s20, 0x3b800000
	s_delay_alu instid0(SALU_CYCLE_1)
	s_or_b32 s10, s10, s20
	s_mov_b32 s20, 0
	s_or_b32 s21, s10, s22
	s_branch .LBB2_3892
.LBB2_3889:                             ;   in Loop: Header=BB2_3892 Depth=2
	s_or_b32 exec_lo, exec_lo, s10
	s_delay_alu instid0(VALU_DEP_1) | instskip(NEXT) | instid1(VALU_DEP_2)
	v_lshrrev_b32_e32 v148, 20, v148
	v_cmp_gt_i32_e32 vcc_lo, 16, v147
	v_min_i32_e32 v149, 15, v147
	v_lshrrev_b32_e32 v13, 24, v13
	s_delay_alu instid0(VALU_DEP_2) | instskip(NEXT) | instid1(VALU_DEP_2)
	v_dual_cndmask_b32 v148, 7, v148 :: v_dual_lshlrev_b32 v149, 3, v149
	v_and_b32_e32 v13, 0x80, v13
	s_delay_alu instid0(VALU_DEP_2) | instskip(NEXT) | instid1(VALU_DEP_3)
	v_or_b32_e32 v147, v147, v148
	v_and_b32_e32 v149, 0xf8, v149
	s_delay_alu instid0(VALU_DEP_2) | instskip(SKIP_1) | instid1(VALU_DEP_1)
	v_cmp_ne_u32_e32 vcc_lo, 0, v147
	v_and_b32_e32 v150, 7, v148
	v_or3_b32 v13, v13, v149, v150
	s_delay_alu instid0(VALU_DEP_1) | instskip(NEXT) | instid1(VALU_DEP_1)
	v_lshlrev_b32_e32 v13, 8, v13
	v_cndmask_b32_e32 v147, 0, v13, vcc_lo
.LBB2_3890:                             ;   in Loop: Header=BB2_3892 Depth=2
	s_or_b32 exec_lo, exec_lo, s23
.LBB2_3891:                             ;   in Loop: Header=BB2_3892 Depth=2
	s_delay_alu instid0(SALU_CYCLE_1)
	s_or_b32 exec_lo, exec_lo, s22
	v_or_b32_e32 v13, v102, v101
	v_and_b32_e32 v97, 0xff, v97
	v_lshlrev_b32_e32 v96, 8, v96
	v_lshlrev_b32_e32 v102, 8, v112
	;; [unrolled: 1-line block ×5, first 2 shown]
	v_and_b32_e32 v97, 0xff, v113
	v_perm_b32 v87, v96, v87, 0xc0c0500
	v_or_b32_e32 v96, v118, v117
	v_lshlrev_b32_e32 v112, 24, v114
	v_perm_b32 v102, v102, v103, 0xc0c0500
	v_lshlrev_b32_e32 v113, 16, v97
	v_or3_b32 v97, v100, v99, v13
	v_lshlrev_b32_e32 v13, 16, v96
	v_or_b32_e32 v11, v11, v132
	v_or3_b32 v96, v98, v101, v87
	v_or3_b32 v98, v112, v113, v102
	v_and_b32_e32 v87, 0xff, v129
	v_or3_b32 v99, v116, v115, v13
	v_lshlrev_b32_e32 v13, 8, v128
	v_and_b32_e32 v100, 0xff, v135
	v_lshlrev_b32_e32 v101, 8, v134
	v_or_b32_e32 v102, v147, v146
	v_sub_nc_u32_e32 v85, v85, v64
	v_lshlrev_b32_e32 v11, 16, v11
	v_lshlrev_b32_e32 v10, 24, v10
	v_lshlrev_b32_e32 v87, 16, v87
	v_perm_b32 v13, v13, v119, 0xc0c0500
	v_lshlrev_b32_e32 v12, 24, v12
	v_lshlrev_b32_e32 v100, 16, v100
	v_perm_b32 v101, v101, v133, 0xc0c0500
	v_lshlrev_b32_e32 v102, 16, v102
	v_cmp_gt_i32_e32 vcc_lo, 1, v85
	v_add_co_u32 v50, s10, v50, v68
	s_delay_alu instid0(VALU_DEP_1)
	v_add_co_ci_u32_e64 v51, s10, v51, v69, s10
	v_or3_b32 v11, v131, v130, v11
	v_or3_b32 v10, v10, v87, v13
	;; [unrolled: 1-line block ×4, first 2 shown]
	s_or_b32 s20, vcc_lo, s20
	s_clause 0x1
	global_store_b128 v[52:53], v[96:99], off glc slc dlc
	global_store_b128 v[52:53], v[10:13], off offset:512 glc slc dlc
	s_and_not1_b32 exec_lo, exec_lo, s20
	s_cbranch_execz .LBB2_4411
.LBB2_3892:                             ;   Parent Loop BB2_3806 Depth=1
                                        ; =>  This Inner Loop Header: Depth=2
	v_cmp_gt_i16_e32 vcc_lo, 0x80, v86
	s_cbranch_vccnz .LBB2_3896
; %bb.3893:                             ;   in Loop: Header=BB2_3892 Depth=2
	v_cmp_eq_u16_e32 vcc_lo, 0x80, v86
	s_mov_b32 s10, -1
                                        ; implicit-def: $sgpr22
	s_cbranch_vccz .LBB2_3895
; %bb.3894:                             ;   in Loop: Header=BB2_3892 Depth=2
	s_mov_b32 s10, 0
	s_mov_b32 s22, 0x7f800001
.LBB2_3895:                             ;   in Loop: Header=BB2_3892 Depth=2
	s_mov_b32 s23, 0
	s_branch .LBB2_3897
.LBB2_3896:                             ;   in Loop: Header=BB2_3892 Depth=2
	s_mov_b32 s23, -1
	s_mov_b32 s10, 0
                                        ; implicit-def: $sgpr22
.LBB2_3897:                             ;   in Loop: Header=BB2_3892 Depth=2
	s_and_b32 vcc_lo, exec_lo, s23
	s_cbranch_vccz .LBB2_3899
; %bb.3898:                             ;   in Loop: Header=BB2_3892 Depth=2
	v_cmp_ne_u16_e64 s10, 0, v86
	s_mov_b32 s22, 0
.LBB2_3899:                             ;   in Loop: Header=BB2_3892 Depth=2
	s_delay_alu instid0(VALU_DEP_1)
	s_and_not1_b32 vcc_lo, exec_lo, s10
	s_cbranch_vccnz .LBB2_3901
; %bb.3900:                             ;   in Loop: Header=BB2_3892 Depth=2
	s_mov_b32 s22, s21
.LBB2_3901:                             ;   in Loop: Header=BB2_3892 Depth=2
	v_add_co_u32 v52, vcc_lo, v48, v50
	v_add_co_ci_u32_e32 v53, vcc_lo, v49, v51, vcc_lo
	s_mov_b32 s10, 0
	s_mov_b32 s24, exec_lo
                                        ; implicit-def: $sgpr23
	global_load_b128 v[10:13], v[52:53], off slc dlc
	s_waitcnt vmcnt(0)
	v_and_b32_e32 v96, 0xff, v10
	s_delay_alu instid0(VALU_DEP_1)
	v_cmpx_lt_i16_e32 0x7f, v96
	s_xor_b32 s24, exec_lo, s24
	s_cbranch_execnz .LBB2_4283
; %bb.3902:                             ;   in Loop: Header=BB2_3892 Depth=2
	s_or_saveexec_b32 s24, s24
	v_mov_b32_e32 v87, s23
	s_xor_b32 exec_lo, exec_lo, s24
	s_cbranch_execnz .LBB2_4286
.LBB2_3903:                             ;   in Loop: Header=BB2_3892 Depth=2
	s_or_b32 exec_lo, exec_lo, s24
	s_and_saveexec_b32 s23, s10
	s_cbranch_execz .LBB2_3905
.LBB2_3904:                             ;   in Loop: Header=BB2_3892 Depth=2
	v_bfe_u32 v98, v10, 3, 4
	v_lshlrev_b32_e32 v99, 24, v10
	s_delay_alu instid0(VALU_DEP_2) | instskip(SKIP_1) | instid1(VALU_DEP_1)
	v_cmp_eq_u32_e32 vcc_lo, 0, v98
	v_and_b32_e32 v87, 7, v10
	v_clz_i32_u32_e32 v96, v87
	s_delay_alu instid0(VALU_DEP_1) | instskip(NEXT) | instid1(VALU_DEP_1)
	v_min_u32_e32 v96, 32, v96
	v_subrev_nc_u32_e32 v97, 28, v96
	v_sub_nc_u32_e32 v96, 29, v96
	s_delay_alu instid0(VALU_DEP_1) | instskip(NEXT) | instid1(VALU_DEP_1)
	v_dual_cndmask_b32 v96, v98, v96 :: v_dual_lshlrev_b32 v97, v97, v10
	v_and_b32_e32 v97, 7, v97
	s_delay_alu instid0(VALU_DEP_2) | instskip(NEXT) | instid1(VALU_DEP_2)
	v_lshl_add_u32 v96, v96, 23, 0x3b800000
	v_cndmask_b32_e32 v87, v87, v97, vcc_lo
	v_and_b32_e32 v97, 0x80000000, v99
	s_delay_alu instid0(VALU_DEP_2) | instskip(NEXT) | instid1(VALU_DEP_1)
	v_lshlrev_b32_e32 v87, 20, v87
	v_or3_b32 v87, v97, v96, v87
.LBB2_3905:                             ;   in Loop: Header=BB2_3892 Depth=2
	s_or_b32 exec_lo, exec_lo, s23
	s_delay_alu instid0(VALU_DEP_1) | instskip(NEXT) | instid1(VALU_DEP_1)
	v_mul_f32_e32 v96, s22, v87
	v_and_b32_e32 v87, 0x7f800000, v96
	s_delay_alu instid0(VALU_DEP_1)
	v_cmp_ne_u32_e32 vcc_lo, 0x7f800000, v87
	v_mov_b32_e32 v87, 0x80
	s_and_saveexec_b32 s23, vcc_lo
	s_cbranch_execz .LBB2_3913
; %bb.3906:                             ;   in Loop: Header=BB2_3892 Depth=2
	v_mov_b32_e32 v87, 0
	s_mov_b32 s24, exec_lo
	v_cmpx_ne_u32_e32 0, v96
	s_cbranch_execz .LBB2_3912
; %bb.3907:                             ;   in Loop: Header=BB2_3892 Depth=2
	v_bfe_u32 v87, v96, 23, 8
	s_delay_alu instid0(VALU_DEP_1) | instskip(SKIP_1) | instid1(VALU_DEP_2)
	v_sub_nc_u32_e32 v98, 0x78, v87
	v_cmp_gt_u32_e32 vcc_lo, 0x79, v87
	v_dual_cndmask_b32 v98, 0, v98 :: v_dual_and_b32 v97, 0x7fffff, v96
	s_delay_alu instid0(VALU_DEP_1) | instskip(SKIP_2) | instid1(VALU_DEP_4)
	v_or_b32_e32 v99, 0x800000, v97
	v_cmp_eq_u32_e32 vcc_lo, 0, v87
	v_add_nc_u32_e32 v87, 0xffffff89, v87
	v_cndmask_b32_e64 v98, v98, 0x77, vcc_lo
	s_delay_alu instid0(VALU_DEP_2) | instskip(SKIP_1) | instid1(VALU_DEP_3)
	v_cndmask_b32_e64 v87, v87, 0xffffff8a, vcc_lo
	v_cndmask_b32_e32 v97, v99, v97, vcc_lo
	v_lshl_add_u32 v99, 0x100000, v98, -1
	v_lshlrev_b32_e64 v102, v98, 0x80000
	s_delay_alu instid0(VALU_DEP_3) | instskip(SKIP_1) | instid1(VALU_DEP_4)
	v_lshrrev_b32_e32 v100, v98, v97
	v_add_nc_u32_e32 v98, v98, v87
	v_and_b32_e32 v97, v99, v97
	s_delay_alu instid0(VALU_DEP_3) | instskip(NEXT) | instid1(VALU_DEP_2)
	v_bfe_u32 v101, v100, 20, 1
	v_cmp_eq_u32_e64 s10, v97, v102
	s_delay_alu instid0(VALU_DEP_2) | instskip(NEXT) | instid1(VALU_DEP_1)
	v_add_nc_u32_e32 v99, -1, v101
	v_cndmask_b32_e64 v97, 0, v99, s10
	v_lshrrev_b32_e32 v99, 23, v100
	s_mov_b32 s10, exec_lo
	s_delay_alu instid0(VALU_DEP_2) | instskip(NEXT) | instid1(VALU_DEP_2)
	v_add_nc_u32_e32 v97, v97, v100
	v_xor_b32_e32 v99, 1, v99
	s_delay_alu instid0(VALU_DEP_2) | instskip(NEXT) | instid1(VALU_DEP_1)
	v_and_b32_e32 v87, 0xfffff, v97
	v_add_nc_u32_e32 v97, v87, v100
                                        ; implicit-def: $vgpr87
	s_delay_alu instid0(VALU_DEP_3)
	v_cmpx_ne_u32_e64 v98, v99
	s_xor_b32 s10, exec_lo, s10
; %bb.3908:                             ;   in Loop: Header=BB2_3892 Depth=2
	s_delay_alu instid0(VALU_DEP_2) | instskip(SKIP_2) | instid1(VALU_DEP_2)
	v_cmp_lt_u32_e32 vcc_lo, 0xffffff, v97
	v_sub_nc_u32_e32 v87, v98, v99
	v_cndmask_b32_e64 v98, 0, 1, vcc_lo
	v_add_co_ci_u32_e32 v87, vcc_lo, 0, v87, vcc_lo
	s_delay_alu instid0(VALU_DEP_2)
	v_lshrrev_b32_e32 v97, v98, v97
; %bb.3909:                             ;   in Loop: Header=BB2_3892 Depth=2
	s_and_not1_saveexec_b32 s10, s10
; %bb.3910:                             ;   in Loop: Header=BB2_3892 Depth=2
	s_delay_alu instid0(VALU_DEP_1)
	v_bfe_u32 v87, v97, 23, 1
; %bb.3911:                             ;   in Loop: Header=BB2_3892 Depth=2
	s_or_b32 exec_lo, exec_lo, s10
	v_lshrrev_b32_e32 v97, 20, v97
	s_delay_alu instid0(VALU_DEP_2) | instskip(SKIP_2) | instid1(VALU_DEP_2)
	v_cmp_gt_i32_e32 vcc_lo, 16, v87
	v_lshrrev_b32_e32 v96, 24, v96
	v_min_i32_e32 v98, 15, v87
	v_dual_cndmask_b32 v97, 7, v97 :: v_dual_and_b32 v96, 0x80, v96
	s_delay_alu instid0(VALU_DEP_1) | instskip(SKIP_1) | instid1(VALU_DEP_2)
	v_or_b32_e32 v87, v87, v97
	v_and_b32_e32 v99, 7, v97
	v_cmp_ne_u32_e32 vcc_lo, 0, v87
	v_lshlrev_b32_e32 v98, 3, v98
	s_delay_alu instid0(VALU_DEP_1) | instskip(NEXT) | instid1(VALU_DEP_1)
	v_or3_b32 v96, v98, v96, v99
	v_cndmask_b32_e32 v87, 0, v96, vcc_lo
.LBB2_3912:                             ;   in Loop: Header=BB2_3892 Depth=2
	s_or_b32 exec_lo, exec_lo, s24
.LBB2_3913:                             ;   in Loop: Header=BB2_3892 Depth=2
	s_delay_alu instid0(SALU_CYCLE_1) | instskip(SKIP_3) | instid1(VALU_DEP_1)
	s_or_b32 exec_lo, exec_lo, s23
	v_lshrrev_b16 v96, 8, v10
	s_mov_b32 s10, 0
	s_mov_b32 s24, exec_lo
                                        ; implicit-def: $sgpr23
	v_cmpx_lt_i16_e32 0x7f, v96
	s_xor_b32 s24, exec_lo, s24
	s_cbranch_execnz .LBB2_4287
; %bb.3914:                             ;   in Loop: Header=BB2_3892 Depth=2
	s_or_saveexec_b32 s24, s24
	v_mov_b32_e32 v97, s23
	s_xor_b32 exec_lo, exec_lo, s24
	s_cbranch_execnz .LBB2_4290
.LBB2_3915:                             ;   in Loop: Header=BB2_3892 Depth=2
	s_or_b32 exec_lo, exec_lo, s24
	s_and_saveexec_b32 s23, s10
	s_cbranch_execz .LBB2_3917
.LBB2_3916:                             ;   in Loop: Header=BB2_3892 Depth=2
	v_and_b32_e32 v97, 0xffff, v96
	v_lshlrev_b32_e32 v96, 24, v96
	s_delay_alu instid0(VALU_DEP_2) | instskip(NEXT) | instid1(VALU_DEP_2)
	v_and_b32_e32 v98, 7, v97
	v_and_b32_e32 v96, 0x80000000, v96
	s_delay_alu instid0(VALU_DEP_2) | instskip(NEXT) | instid1(VALU_DEP_1)
	v_clz_i32_u32_e32 v99, v98
	v_min_u32_e32 v99, 32, v99
	s_delay_alu instid0(VALU_DEP_1) | instskip(SKIP_1) | instid1(VALU_DEP_2)
	v_subrev_nc_u32_e32 v100, 28, v99
	v_sub_nc_u32_e32 v99, 29, v99
	v_lshlrev_b32_e32 v100, v100, v97
	v_bfe_u32 v97, v97, 3, 4
	s_delay_alu instid0(VALU_DEP_2) | instskip(NEXT) | instid1(VALU_DEP_2)
	v_and_b32_e32 v100, 7, v100
	v_cmp_eq_u32_e32 vcc_lo, 0, v97
	s_delay_alu instid0(VALU_DEP_2) | instskip(NEXT) | instid1(VALU_DEP_1)
	v_dual_cndmask_b32 v97, v97, v99 :: v_dual_cndmask_b32 v98, v98, v100
	v_lshl_add_u32 v97, v97, 23, 0x3b800000
	s_delay_alu instid0(VALU_DEP_2) | instskip(NEXT) | instid1(VALU_DEP_1)
	v_lshlrev_b32_e32 v98, 20, v98
	v_or3_b32 v97, v96, v97, v98
.LBB2_3917:                             ;   in Loop: Header=BB2_3892 Depth=2
	s_or_b32 exec_lo, exec_lo, s23
	s_delay_alu instid0(VALU_DEP_1) | instskip(NEXT) | instid1(VALU_DEP_1)
	v_mul_f32_e32 v97, s22, v97
	v_and_b32_e32 v96, 0x7f800000, v97
	s_delay_alu instid0(VALU_DEP_1)
	v_cmp_ne_u32_e32 vcc_lo, 0x7f800000, v96
	v_mov_b32_e32 v96, 0x80
	s_and_saveexec_b32 s23, vcc_lo
	s_cbranch_execz .LBB2_3925
; %bb.3918:                             ;   in Loop: Header=BB2_3892 Depth=2
	v_mov_b32_e32 v96, 0
	s_mov_b32 s24, exec_lo
	v_cmpx_ne_u32_e32 0, v97
	s_cbranch_execz .LBB2_3924
; %bb.3919:                             ;   in Loop: Header=BB2_3892 Depth=2
	v_bfe_u32 v96, v97, 23, 8
	s_delay_alu instid0(VALU_DEP_1) | instskip(SKIP_1) | instid1(VALU_DEP_2)
	v_sub_nc_u32_e32 v99, 0x78, v96
	v_cmp_gt_u32_e32 vcc_lo, 0x79, v96
	v_dual_cndmask_b32 v99, 0, v99 :: v_dual_and_b32 v98, 0x7fffff, v97
	s_delay_alu instid0(VALU_DEP_1) | instskip(SKIP_2) | instid1(VALU_DEP_4)
	v_or_b32_e32 v100, 0x800000, v98
	v_cmp_eq_u32_e32 vcc_lo, 0, v96
	v_add_nc_u32_e32 v96, 0xffffff89, v96
	v_cndmask_b32_e64 v99, v99, 0x77, vcc_lo
	s_delay_alu instid0(VALU_DEP_2) | instskip(SKIP_1) | instid1(VALU_DEP_3)
	v_cndmask_b32_e64 v96, v96, 0xffffff8a, vcc_lo
	v_cndmask_b32_e32 v98, v100, v98, vcc_lo
	v_lshl_add_u32 v100, 0x100000, v99, -1
	v_lshlrev_b32_e64 v103, v99, 0x80000
	s_delay_alu instid0(VALU_DEP_3) | instskip(SKIP_1) | instid1(VALU_DEP_4)
	v_lshrrev_b32_e32 v101, v99, v98
	v_add_nc_u32_e32 v99, v99, v96
	v_and_b32_e32 v98, v100, v98
	s_delay_alu instid0(VALU_DEP_3) | instskip(NEXT) | instid1(VALU_DEP_2)
	v_bfe_u32 v102, v101, 20, 1
	v_cmp_eq_u32_e64 s10, v98, v103
	s_delay_alu instid0(VALU_DEP_2) | instskip(NEXT) | instid1(VALU_DEP_1)
	v_add_nc_u32_e32 v100, -1, v102
	v_cndmask_b32_e64 v98, 0, v100, s10
	v_lshrrev_b32_e32 v100, 23, v101
	s_mov_b32 s10, exec_lo
	s_delay_alu instid0(VALU_DEP_2) | instskip(NEXT) | instid1(VALU_DEP_2)
	v_add_nc_u32_e32 v98, v98, v101
	v_xor_b32_e32 v100, 1, v100
	s_delay_alu instid0(VALU_DEP_2) | instskip(NEXT) | instid1(VALU_DEP_1)
	v_and_b32_e32 v96, 0xfffff, v98
	v_add_nc_u32_e32 v98, v96, v101
                                        ; implicit-def: $vgpr96
	s_delay_alu instid0(VALU_DEP_3)
	v_cmpx_ne_u32_e64 v99, v100
	s_xor_b32 s10, exec_lo, s10
; %bb.3920:                             ;   in Loop: Header=BB2_3892 Depth=2
	s_delay_alu instid0(VALU_DEP_2) | instskip(SKIP_2) | instid1(VALU_DEP_2)
	v_cmp_lt_u32_e32 vcc_lo, 0xffffff, v98
	v_sub_nc_u32_e32 v96, v99, v100
	v_cndmask_b32_e64 v99, 0, 1, vcc_lo
	v_add_co_ci_u32_e32 v96, vcc_lo, 0, v96, vcc_lo
	s_delay_alu instid0(VALU_DEP_2)
	v_lshrrev_b32_e32 v98, v99, v98
; %bb.3921:                             ;   in Loop: Header=BB2_3892 Depth=2
	s_and_not1_saveexec_b32 s10, s10
; %bb.3922:                             ;   in Loop: Header=BB2_3892 Depth=2
	s_delay_alu instid0(VALU_DEP_1)
	v_bfe_u32 v96, v98, 23, 1
; %bb.3923:                             ;   in Loop: Header=BB2_3892 Depth=2
	s_or_b32 exec_lo, exec_lo, s10
	v_lshrrev_b32_e32 v98, 20, v98
	s_delay_alu instid0(VALU_DEP_2) | instskip(SKIP_2) | instid1(VALU_DEP_2)
	v_cmp_gt_i32_e32 vcc_lo, 16, v96
	v_lshrrev_b32_e32 v97, 24, v97
	v_min_i32_e32 v99, 15, v96
	v_dual_cndmask_b32 v98, 7, v98 :: v_dual_and_b32 v97, 0x80, v97
	s_delay_alu instid0(VALU_DEP_1) | instskip(SKIP_1) | instid1(VALU_DEP_2)
	v_or_b32_e32 v96, v96, v98
	v_and_b32_e32 v100, 7, v98
	v_cmp_ne_u32_e32 vcc_lo, 0, v96
	v_lshlrev_b32_e32 v99, 3, v99
	s_delay_alu instid0(VALU_DEP_1) | instskip(NEXT) | instid1(VALU_DEP_1)
	v_or3_b32 v97, v99, v97, v100
	v_cndmask_b32_e32 v96, 0, v97, vcc_lo
.LBB2_3924:                             ;   in Loop: Header=BB2_3892 Depth=2
	s_or_b32 exec_lo, exec_lo, s24
.LBB2_3925:                             ;   in Loop: Header=BB2_3892 Depth=2
	s_delay_alu instid0(SALU_CYCLE_1) | instskip(SKIP_3) | instid1(VALU_DEP_1)
	s_or_b32 exec_lo, exec_lo, s23
	v_lshrrev_b32_e32 v97, 16, v10
	s_mov_b32 s10, 0
	s_mov_b32 s24, exec_lo
                                        ; implicit-def: $sgpr23
	v_and_b32_e32 v99, 0xff, v97
	s_delay_alu instid0(VALU_DEP_1)
	v_cmpx_lt_i16_e32 0x7f, v99
	s_xor_b32 s24, exec_lo, s24
	s_cbranch_execnz .LBB2_4291
; %bb.3926:                             ;   in Loop: Header=BB2_3892 Depth=2
	s_or_saveexec_b32 s24, s24
	v_mov_b32_e32 v98, s23
	s_xor_b32 exec_lo, exec_lo, s24
	s_cbranch_execnz .LBB2_4294
.LBB2_3927:                             ;   in Loop: Header=BB2_3892 Depth=2
	s_or_b32 exec_lo, exec_lo, s24
	s_and_saveexec_b32 s23, s10
	s_cbranch_execz .LBB2_3929
.LBB2_3928:                             ;   in Loop: Header=BB2_3892 Depth=2
	v_bfe_u32 v98, v10, 16, 3
	v_lshlrev_b32_e32 v101, 8, v10
	s_delay_alu instid0(VALU_DEP_2) | instskip(NEXT) | instid1(VALU_DEP_1)
	v_clz_i32_u32_e32 v99, v98
	v_min_u32_e32 v99, 32, v99
	s_delay_alu instid0(VALU_DEP_1) | instskip(SKIP_1) | instid1(VALU_DEP_2)
	v_subrev_nc_u32_e32 v100, 28, v99
	v_sub_nc_u32_e32 v99, 29, v99
	v_lshlrev_b32_e32 v97, v100, v97
	v_bfe_u32 v100, v10, 19, 4
	s_delay_alu instid0(VALU_DEP_2) | instskip(NEXT) | instid1(VALU_DEP_2)
	v_and_b32_e32 v97, 7, v97
	v_cmp_eq_u32_e32 vcc_lo, 0, v100
	v_cndmask_b32_e32 v99, v100, v99, vcc_lo
	s_delay_alu instid0(VALU_DEP_3) | instskip(SKIP_1) | instid1(VALU_DEP_3)
	v_cndmask_b32_e32 v97, v98, v97, vcc_lo
	v_and_b32_e32 v98, 0x80000000, v101
	v_lshl_add_u32 v99, v99, 23, 0x3b800000
	s_delay_alu instid0(VALU_DEP_3) | instskip(NEXT) | instid1(VALU_DEP_1)
	v_lshlrev_b32_e32 v97, 20, v97
	v_or3_b32 v98, v98, v99, v97
.LBB2_3929:                             ;   in Loop: Header=BB2_3892 Depth=2
	s_or_b32 exec_lo, exec_lo, s23
	s_delay_alu instid0(VALU_DEP_1) | instskip(NEXT) | instid1(VALU_DEP_1)
	v_mul_f32_e32 v98, s22, v98
	v_and_b32_e32 v97, 0x7f800000, v98
	s_delay_alu instid0(VALU_DEP_1)
	v_cmp_ne_u32_e32 vcc_lo, 0x7f800000, v97
	v_mov_b32_e32 v97, 0x80
	s_and_saveexec_b32 s23, vcc_lo
	s_cbranch_execz .LBB2_3937
; %bb.3930:                             ;   in Loop: Header=BB2_3892 Depth=2
	v_mov_b32_e32 v97, 0
	s_mov_b32 s24, exec_lo
	v_cmpx_ne_u32_e32 0, v98
	s_cbranch_execz .LBB2_3936
; %bb.3931:                             ;   in Loop: Header=BB2_3892 Depth=2
	v_bfe_u32 v97, v98, 23, 8
	s_delay_alu instid0(VALU_DEP_1) | instskip(SKIP_1) | instid1(VALU_DEP_2)
	v_sub_nc_u32_e32 v100, 0x78, v97
	v_cmp_gt_u32_e32 vcc_lo, 0x79, v97
	v_dual_cndmask_b32 v100, 0, v100 :: v_dual_and_b32 v99, 0x7fffff, v98
	s_delay_alu instid0(VALU_DEP_1) | instskip(SKIP_2) | instid1(VALU_DEP_4)
	v_or_b32_e32 v101, 0x800000, v99
	v_cmp_eq_u32_e32 vcc_lo, 0, v97
	v_add_nc_u32_e32 v97, 0xffffff89, v97
	v_cndmask_b32_e64 v100, v100, 0x77, vcc_lo
	s_delay_alu instid0(VALU_DEP_2) | instskip(SKIP_1) | instid1(VALU_DEP_3)
	v_cndmask_b32_e64 v97, v97, 0xffffff8a, vcc_lo
	v_cndmask_b32_e32 v99, v101, v99, vcc_lo
	v_lshl_add_u32 v101, 0x100000, v100, -1
	v_lshlrev_b32_e64 v112, v100, 0x80000
	s_delay_alu instid0(VALU_DEP_3) | instskip(SKIP_1) | instid1(VALU_DEP_4)
	v_lshrrev_b32_e32 v102, v100, v99
	v_add_nc_u32_e32 v100, v100, v97
	v_and_b32_e32 v99, v101, v99
	s_delay_alu instid0(VALU_DEP_3) | instskip(NEXT) | instid1(VALU_DEP_2)
	v_bfe_u32 v103, v102, 20, 1
	v_cmp_eq_u32_e64 s10, v99, v112
	s_delay_alu instid0(VALU_DEP_2) | instskip(NEXT) | instid1(VALU_DEP_1)
	v_add_nc_u32_e32 v101, -1, v103
	v_cndmask_b32_e64 v99, 0, v101, s10
	v_lshrrev_b32_e32 v101, 23, v102
	s_mov_b32 s10, exec_lo
	s_delay_alu instid0(VALU_DEP_2) | instskip(NEXT) | instid1(VALU_DEP_2)
	v_add_nc_u32_e32 v99, v99, v102
	v_xor_b32_e32 v101, 1, v101
	s_delay_alu instid0(VALU_DEP_2) | instskip(NEXT) | instid1(VALU_DEP_1)
	v_and_b32_e32 v97, 0xfffff, v99
	v_add_nc_u32_e32 v99, v97, v102
                                        ; implicit-def: $vgpr97
	s_delay_alu instid0(VALU_DEP_3)
	v_cmpx_ne_u32_e64 v100, v101
	s_xor_b32 s10, exec_lo, s10
; %bb.3932:                             ;   in Loop: Header=BB2_3892 Depth=2
	s_delay_alu instid0(VALU_DEP_2) | instskip(SKIP_2) | instid1(VALU_DEP_2)
	v_cmp_lt_u32_e32 vcc_lo, 0xffffff, v99
	v_sub_nc_u32_e32 v97, v100, v101
	v_cndmask_b32_e64 v100, 0, 1, vcc_lo
	v_add_co_ci_u32_e32 v97, vcc_lo, 0, v97, vcc_lo
	s_delay_alu instid0(VALU_DEP_2)
	v_lshrrev_b32_e32 v99, v100, v99
; %bb.3933:                             ;   in Loop: Header=BB2_3892 Depth=2
	s_and_not1_saveexec_b32 s10, s10
; %bb.3934:                             ;   in Loop: Header=BB2_3892 Depth=2
	s_delay_alu instid0(VALU_DEP_1)
	v_bfe_u32 v97, v99, 23, 1
; %bb.3935:                             ;   in Loop: Header=BB2_3892 Depth=2
	s_or_b32 exec_lo, exec_lo, s10
	v_lshrrev_b32_e32 v99, 20, v99
	s_delay_alu instid0(VALU_DEP_2) | instskip(SKIP_2) | instid1(VALU_DEP_2)
	v_cmp_gt_i32_e32 vcc_lo, 16, v97
	v_lshrrev_b32_e32 v98, 24, v98
	v_min_i32_e32 v100, 15, v97
	v_dual_cndmask_b32 v99, 7, v99 :: v_dual_and_b32 v98, 0x80, v98
	s_delay_alu instid0(VALU_DEP_1) | instskip(SKIP_1) | instid1(VALU_DEP_2)
	v_or_b32_e32 v97, v97, v99
	v_and_b32_e32 v101, 7, v99
	v_cmp_ne_u32_e32 vcc_lo, 0, v97
	v_lshlrev_b32_e32 v100, 3, v100
	s_delay_alu instid0(VALU_DEP_1) | instskip(NEXT) | instid1(VALU_DEP_1)
	v_or3_b32 v98, v100, v98, v101
	v_cndmask_b32_e32 v97, 0, v98, vcc_lo
.LBB2_3936:                             ;   in Loop: Header=BB2_3892 Depth=2
	s_or_b32 exec_lo, exec_lo, s24
.LBB2_3937:                             ;   in Loop: Header=BB2_3892 Depth=2
	s_delay_alu instid0(SALU_CYCLE_1) | instskip(SKIP_3) | instid1(VALU_DEP_1)
	s_or_b32 exec_lo, exec_lo, s23
	v_lshrrev_b32_e32 v98, 24, v10
	s_mov_b32 s10, 0
	s_mov_b32 s24, exec_lo
                                        ; implicit-def: $sgpr23
	v_cmpx_lt_i16_e32 0x7f, v98
	s_xor_b32 s24, exec_lo, s24
	s_cbranch_execnz .LBB2_4295
; %bb.3938:                             ;   in Loop: Header=BB2_3892 Depth=2
	s_or_saveexec_b32 s24, s24
	v_mov_b32_e32 v99, s23
	s_xor_b32 exec_lo, exec_lo, s24
	s_cbranch_execnz .LBB2_4298
.LBB2_3939:                             ;   in Loop: Header=BB2_3892 Depth=2
	s_or_b32 exec_lo, exec_lo, s24
	s_and_saveexec_b32 s23, s10
	s_cbranch_execz .LBB2_3941
.LBB2_3940:                             ;   in Loop: Header=BB2_3892 Depth=2
	v_bfe_u32 v99, v10, 24, 3
	s_delay_alu instid0(VALU_DEP_1) | instskip(NEXT) | instid1(VALU_DEP_1)
	v_clz_i32_u32_e32 v100, v99
	v_min_u32_e32 v100, 32, v100
	s_delay_alu instid0(VALU_DEP_1) | instskip(SKIP_1) | instid1(VALU_DEP_2)
	v_subrev_nc_u32_e32 v101, 28, v100
	v_sub_nc_u32_e32 v100, 29, v100
	v_lshlrev_b32_e32 v98, v101, v98
	v_bfe_u32 v101, v10, 27, 4
	v_and_b32_e32 v10, 0x80000000, v10
	s_delay_alu instid0(VALU_DEP_3) | instskip(NEXT) | instid1(VALU_DEP_3)
	v_and_b32_e32 v98, 7, v98
	v_cmp_eq_u32_e32 vcc_lo, 0, v101
	v_cndmask_b32_e32 v100, v101, v100, vcc_lo
	s_delay_alu instid0(VALU_DEP_3) | instskip(NEXT) | instid1(VALU_DEP_2)
	v_cndmask_b32_e32 v98, v99, v98, vcc_lo
	v_lshl_add_u32 v99, v100, 23, 0x3b800000
	s_delay_alu instid0(VALU_DEP_2) | instskip(NEXT) | instid1(VALU_DEP_1)
	v_lshlrev_b32_e32 v98, 20, v98
	v_or3_b32 v99, v10, v99, v98
.LBB2_3941:                             ;   in Loop: Header=BB2_3892 Depth=2
	s_or_b32 exec_lo, exec_lo, s23
	s_delay_alu instid0(VALU_DEP_1) | instskip(NEXT) | instid1(VALU_DEP_1)
	v_mul_f32_e32 v10, s22, v99
	v_and_b32_e32 v98, 0x7f800000, v10
	s_delay_alu instid0(VALU_DEP_1)
	v_cmp_ne_u32_e32 vcc_lo, 0x7f800000, v98
	v_mov_b32_e32 v98, 0x80
	s_and_saveexec_b32 s23, vcc_lo
	s_cbranch_execz .LBB2_3949
; %bb.3942:                             ;   in Loop: Header=BB2_3892 Depth=2
	v_mov_b32_e32 v98, 0
	s_mov_b32 s24, exec_lo
	v_cmpx_ne_u32_e32 0, v10
	s_cbranch_execz .LBB2_3948
; %bb.3943:                             ;   in Loop: Header=BB2_3892 Depth=2
	v_bfe_u32 v98, v10, 23, 8
	s_delay_alu instid0(VALU_DEP_1) | instskip(SKIP_1) | instid1(VALU_DEP_2)
	v_sub_nc_u32_e32 v100, 0x78, v98
	v_cmp_gt_u32_e32 vcc_lo, 0x79, v98
	v_dual_cndmask_b32 v100, 0, v100 :: v_dual_and_b32 v99, 0x7fffff, v10
	s_delay_alu instid0(VALU_DEP_1) | instskip(SKIP_2) | instid1(VALU_DEP_4)
	v_or_b32_e32 v101, 0x800000, v99
	v_cmp_eq_u32_e32 vcc_lo, 0, v98
	v_add_nc_u32_e32 v98, 0xffffff89, v98
	v_cndmask_b32_e64 v100, v100, 0x77, vcc_lo
	s_delay_alu instid0(VALU_DEP_4) | instskip(NEXT) | instid1(VALU_DEP_3)
	v_cndmask_b32_e32 v99, v101, v99, vcc_lo
	v_cndmask_b32_e64 v98, v98, 0xffffff8a, vcc_lo
	s_delay_alu instid0(VALU_DEP_3) | instskip(NEXT) | instid1(VALU_DEP_3)
	v_lshl_add_u32 v101, 0x100000, v100, -1
	v_lshrrev_b32_e32 v102, v100, v99
	v_lshlrev_b32_e64 v112, v100, 0x80000
	s_delay_alu instid0(VALU_DEP_4) | instskip(NEXT) | instid1(VALU_DEP_4)
	v_add_nc_u32_e32 v100, v100, v98
	v_and_b32_e32 v99, v101, v99
	s_delay_alu instid0(VALU_DEP_4) | instskip(NEXT) | instid1(VALU_DEP_2)
	v_bfe_u32 v103, v102, 20, 1
	v_cmp_eq_u32_e64 s10, v99, v112
	s_delay_alu instid0(VALU_DEP_2) | instskip(NEXT) | instid1(VALU_DEP_1)
	v_add_nc_u32_e32 v101, -1, v103
	v_cndmask_b32_e64 v99, 0, v101, s10
	v_lshrrev_b32_e32 v101, 23, v102
	s_mov_b32 s10, exec_lo
	s_delay_alu instid0(VALU_DEP_2) | instskip(NEXT) | instid1(VALU_DEP_2)
	v_add_nc_u32_e32 v99, v99, v102
	v_xor_b32_e32 v101, 1, v101
	s_delay_alu instid0(VALU_DEP_2) | instskip(NEXT) | instid1(VALU_DEP_1)
	v_and_b32_e32 v98, 0xfffff, v99
	v_add_nc_u32_e32 v99, v98, v102
                                        ; implicit-def: $vgpr98
	s_delay_alu instid0(VALU_DEP_3)
	v_cmpx_ne_u32_e64 v100, v101
	s_xor_b32 s10, exec_lo, s10
; %bb.3944:                             ;   in Loop: Header=BB2_3892 Depth=2
	s_delay_alu instid0(VALU_DEP_2) | instskip(SKIP_2) | instid1(VALU_DEP_2)
	v_cmp_lt_u32_e32 vcc_lo, 0xffffff, v99
	v_sub_nc_u32_e32 v98, v100, v101
	v_cndmask_b32_e64 v100, 0, 1, vcc_lo
	v_add_co_ci_u32_e32 v98, vcc_lo, 0, v98, vcc_lo
	s_delay_alu instid0(VALU_DEP_2)
	v_lshrrev_b32_e32 v99, v100, v99
; %bb.3945:                             ;   in Loop: Header=BB2_3892 Depth=2
	s_and_not1_saveexec_b32 s10, s10
; %bb.3946:                             ;   in Loop: Header=BB2_3892 Depth=2
	s_delay_alu instid0(VALU_DEP_1)
	v_bfe_u32 v98, v99, 23, 1
; %bb.3947:                             ;   in Loop: Header=BB2_3892 Depth=2
	s_or_b32 exec_lo, exec_lo, s10
	v_lshrrev_b32_e32 v99, 20, v99
	s_delay_alu instid0(VALU_DEP_2) | instskip(SKIP_2) | instid1(VALU_DEP_2)
	v_cmp_gt_i32_e32 vcc_lo, 16, v98
	v_lshrrev_b32_e32 v10, 24, v10
	v_min_i32_e32 v100, 15, v98
	v_dual_cndmask_b32 v99, 7, v99 :: v_dual_and_b32 v10, 0x80, v10
	s_delay_alu instid0(VALU_DEP_2) | instskip(NEXT) | instid1(VALU_DEP_2)
	v_lshlrev_b32_e32 v100, 3, v100
	v_or_b32_e32 v98, v98, v99
	s_delay_alu instid0(VALU_DEP_1) | instskip(SKIP_1) | instid1(VALU_DEP_1)
	v_cmp_ne_u32_e32 vcc_lo, 0, v98
	v_and_b32_e32 v101, 7, v99
	v_or3_b32 v10, v100, v10, v101
	s_delay_alu instid0(VALU_DEP_1)
	v_cndmask_b32_e32 v98, 0, v10, vcc_lo
.LBB2_3948:                             ;   in Loop: Header=BB2_3892 Depth=2
	s_or_b32 exec_lo, exec_lo, s24
.LBB2_3949:                             ;   in Loop: Header=BB2_3892 Depth=2
	s_delay_alu instid0(SALU_CYCLE_1) | instskip(SKIP_3) | instid1(VALU_DEP_1)
	s_or_b32 exec_lo, exec_lo, s23
	v_and_b32_e32 v99, 0xff, v11
	s_mov_b32 s10, 0
	s_mov_b32 s24, exec_lo
                                        ; implicit-def: $sgpr23
	v_cmpx_lt_i16_e32 0x7f, v99
	s_xor_b32 s24, exec_lo, s24
	s_cbranch_execnz .LBB2_4299
; %bb.3950:                             ;   in Loop: Header=BB2_3892 Depth=2
	s_or_saveexec_b32 s24, s24
	v_mov_b32_e32 v10, s23
	s_xor_b32 exec_lo, exec_lo, s24
	s_cbranch_execnz .LBB2_4302
.LBB2_3951:                             ;   in Loop: Header=BB2_3892 Depth=2
	s_or_b32 exec_lo, exec_lo, s24
	s_and_saveexec_b32 s23, s10
	s_cbranch_execz .LBB2_3953
.LBB2_3952:                             ;   in Loop: Header=BB2_3892 Depth=2
	v_and_b32_e32 v10, 7, v11
	v_bfe_u32 v101, v11, 3, 4
	v_lshlrev_b32_e32 v102, 24, v11
	s_delay_alu instid0(VALU_DEP_3) | instskip(NEXT) | instid1(VALU_DEP_3)
	v_clz_i32_u32_e32 v99, v10
	v_cmp_eq_u32_e32 vcc_lo, 0, v101
	s_delay_alu instid0(VALU_DEP_2) | instskip(NEXT) | instid1(VALU_DEP_1)
	v_min_u32_e32 v99, 32, v99
	v_subrev_nc_u32_e32 v100, 28, v99
	v_sub_nc_u32_e32 v99, 29, v99
	s_delay_alu instid0(VALU_DEP_2) | instskip(NEXT) | instid1(VALU_DEP_1)
	v_lshlrev_b32_e32 v100, v100, v11
	v_dual_cndmask_b32 v99, v101, v99 :: v_dual_and_b32 v100, 7, v100
	s_delay_alu instid0(VALU_DEP_1) | instskip(NEXT) | instid1(VALU_DEP_2)
	v_lshl_add_u32 v99, v99, 23, 0x3b800000
	v_cndmask_b32_e32 v10, v10, v100, vcc_lo
	v_and_b32_e32 v100, 0x80000000, v102
	s_delay_alu instid0(VALU_DEP_2) | instskip(NEXT) | instid1(VALU_DEP_1)
	v_lshlrev_b32_e32 v10, 20, v10
	v_or3_b32 v10, v100, v99, v10
.LBB2_3953:                             ;   in Loop: Header=BB2_3892 Depth=2
	s_or_b32 exec_lo, exec_lo, s23
	s_delay_alu instid0(VALU_DEP_1) | instskip(NEXT) | instid1(VALU_DEP_1)
	v_mul_f32_e32 v10, s22, v10
	v_and_b32_e32 v99, 0x7f800000, v10
	s_delay_alu instid0(VALU_DEP_1)
	v_cmp_ne_u32_e32 vcc_lo, 0x7f800000, v99
	v_mov_b32_e32 v99, 0x80
	s_and_saveexec_b32 s23, vcc_lo
	s_cbranch_execz .LBB2_3961
; %bb.3954:                             ;   in Loop: Header=BB2_3892 Depth=2
	v_mov_b32_e32 v99, 0
	s_mov_b32 s24, exec_lo
	v_cmpx_ne_u32_e32 0, v10
	s_cbranch_execz .LBB2_3960
; %bb.3955:                             ;   in Loop: Header=BB2_3892 Depth=2
	v_bfe_u32 v99, v10, 23, 8
	s_delay_alu instid0(VALU_DEP_1) | instskip(SKIP_1) | instid1(VALU_DEP_2)
	v_sub_nc_u32_e32 v101, 0x78, v99
	v_cmp_gt_u32_e32 vcc_lo, 0x79, v99
	v_dual_cndmask_b32 v101, 0, v101 :: v_dual_and_b32 v100, 0x7fffff, v10
	s_delay_alu instid0(VALU_DEP_1) | instskip(SKIP_2) | instid1(VALU_DEP_4)
	v_or_b32_e32 v102, 0x800000, v100
	v_cmp_eq_u32_e32 vcc_lo, 0, v99
	v_add_nc_u32_e32 v99, 0xffffff89, v99
	v_cndmask_b32_e64 v101, v101, 0x77, vcc_lo
	s_delay_alu instid0(VALU_DEP_4) | instskip(NEXT) | instid1(VALU_DEP_3)
	v_cndmask_b32_e32 v100, v102, v100, vcc_lo
	v_cndmask_b32_e64 v99, v99, 0xffffff8a, vcc_lo
	s_delay_alu instid0(VALU_DEP_3) | instskip(NEXT) | instid1(VALU_DEP_3)
	v_lshl_add_u32 v102, 0x100000, v101, -1
	v_lshrrev_b32_e32 v103, v101, v100
	v_lshlrev_b32_e64 v113, v101, 0x80000
	s_delay_alu instid0(VALU_DEP_4) | instskip(NEXT) | instid1(VALU_DEP_4)
	v_add_nc_u32_e32 v101, v101, v99
	v_and_b32_e32 v100, v102, v100
	s_delay_alu instid0(VALU_DEP_4) | instskip(NEXT) | instid1(VALU_DEP_2)
	v_bfe_u32 v112, v103, 20, 1
	v_cmp_eq_u32_e64 s10, v100, v113
	s_delay_alu instid0(VALU_DEP_2) | instskip(NEXT) | instid1(VALU_DEP_1)
	v_add_nc_u32_e32 v102, -1, v112
	v_cndmask_b32_e64 v100, 0, v102, s10
	v_lshrrev_b32_e32 v102, 23, v103
	s_mov_b32 s10, exec_lo
	s_delay_alu instid0(VALU_DEP_2) | instskip(NEXT) | instid1(VALU_DEP_2)
	v_add_nc_u32_e32 v100, v100, v103
	v_xor_b32_e32 v102, 1, v102
	s_delay_alu instid0(VALU_DEP_2) | instskip(NEXT) | instid1(VALU_DEP_1)
	v_and_b32_e32 v99, 0xfffff, v100
	v_add_nc_u32_e32 v100, v99, v103
                                        ; implicit-def: $vgpr99
	s_delay_alu instid0(VALU_DEP_3)
	v_cmpx_ne_u32_e64 v101, v102
	s_xor_b32 s10, exec_lo, s10
; %bb.3956:                             ;   in Loop: Header=BB2_3892 Depth=2
	s_delay_alu instid0(VALU_DEP_2) | instskip(SKIP_2) | instid1(VALU_DEP_2)
	v_cmp_lt_u32_e32 vcc_lo, 0xffffff, v100
	v_sub_nc_u32_e32 v99, v101, v102
	v_cndmask_b32_e64 v101, 0, 1, vcc_lo
	v_add_co_ci_u32_e32 v99, vcc_lo, 0, v99, vcc_lo
	s_delay_alu instid0(VALU_DEP_2)
	v_lshrrev_b32_e32 v100, v101, v100
; %bb.3957:                             ;   in Loop: Header=BB2_3892 Depth=2
	s_and_not1_saveexec_b32 s10, s10
; %bb.3958:                             ;   in Loop: Header=BB2_3892 Depth=2
	s_delay_alu instid0(VALU_DEP_1)
	v_bfe_u32 v99, v100, 23, 1
; %bb.3959:                             ;   in Loop: Header=BB2_3892 Depth=2
	s_or_b32 exec_lo, exec_lo, s10
	v_lshrrev_b32_e32 v100, 20, v100
	s_delay_alu instid0(VALU_DEP_2) | instskip(SKIP_2) | instid1(VALU_DEP_2)
	v_cmp_gt_i32_e32 vcc_lo, 16, v99
	v_min_i32_e32 v101, 15, v99
	v_lshrrev_b32_e32 v10, 24, v10
	v_dual_cndmask_b32 v100, 7, v100 :: v_dual_lshlrev_b32 v101, 3, v101
	s_delay_alu instid0(VALU_DEP_2) | instskip(NEXT) | instid1(VALU_DEP_2)
	v_and_b32_e32 v10, 0x80, v10
	v_or_b32_e32 v99, v99, v100
	s_delay_alu instid0(VALU_DEP_3) | instskip(NEXT) | instid1(VALU_DEP_2)
	v_and_b32_e32 v101, 0xf8, v101
	v_cmp_ne_u32_e32 vcc_lo, 0, v99
	v_and_b32_e32 v102, 7, v100
	s_delay_alu instid0(VALU_DEP_1) | instskip(NEXT) | instid1(VALU_DEP_1)
	v_or3_b32 v10, v101, v10, v102
	v_cndmask_b32_e32 v99, 0, v10, vcc_lo
.LBB2_3960:                             ;   in Loop: Header=BB2_3892 Depth=2
	s_or_b32 exec_lo, exec_lo, s24
.LBB2_3961:                             ;   in Loop: Header=BB2_3892 Depth=2
	s_delay_alu instid0(SALU_CYCLE_1) | instskip(SKIP_3) | instid1(VALU_DEP_1)
	s_or_b32 exec_lo, exec_lo, s23
	v_lshrrev_b16 v10, 8, v11
	s_mov_b32 s10, 0
	s_mov_b32 s24, exec_lo
                                        ; implicit-def: $sgpr23
	v_cmpx_lt_i16_e32 0x7f, v10
	s_xor_b32 s24, exec_lo, s24
	s_cbranch_execnz .LBB2_4303
; %bb.3962:                             ;   in Loop: Header=BB2_3892 Depth=2
	s_or_saveexec_b32 s24, s24
	v_mov_b32_e32 v100, s23
	s_xor_b32 exec_lo, exec_lo, s24
	s_cbranch_execnz .LBB2_4306
.LBB2_3963:                             ;   in Loop: Header=BB2_3892 Depth=2
	s_or_b32 exec_lo, exec_lo, s24
	s_and_saveexec_b32 s23, s10
	s_cbranch_execz .LBB2_3965
.LBB2_3964:                             ;   in Loop: Header=BB2_3892 Depth=2
	v_and_b32_e32 v100, 0xffff, v10
	v_lshlrev_b32_e32 v10, 24, v10
	s_delay_alu instid0(VALU_DEP_2) | instskip(NEXT) | instid1(VALU_DEP_2)
	v_and_b32_e32 v101, 7, v100
	v_and_b32_e32 v10, 0x80000000, v10
	s_delay_alu instid0(VALU_DEP_2) | instskip(NEXT) | instid1(VALU_DEP_1)
	v_clz_i32_u32_e32 v102, v101
	v_min_u32_e32 v102, 32, v102
	s_delay_alu instid0(VALU_DEP_1) | instskip(SKIP_1) | instid1(VALU_DEP_2)
	v_subrev_nc_u32_e32 v103, 28, v102
	v_sub_nc_u32_e32 v102, 29, v102
	v_lshlrev_b32_e32 v103, v103, v100
	v_bfe_u32 v100, v100, 3, 4
	s_delay_alu instid0(VALU_DEP_2) | instskip(NEXT) | instid1(VALU_DEP_2)
	v_and_b32_e32 v103, 7, v103
	v_cmp_eq_u32_e32 vcc_lo, 0, v100
	s_delay_alu instid0(VALU_DEP_2) | instskip(NEXT) | instid1(VALU_DEP_1)
	v_dual_cndmask_b32 v100, v100, v102 :: v_dual_cndmask_b32 v101, v101, v103
	v_lshl_add_u32 v100, v100, 23, 0x3b800000
	s_delay_alu instid0(VALU_DEP_2) | instskip(NEXT) | instid1(VALU_DEP_1)
	v_lshlrev_b32_e32 v101, 20, v101
	v_or3_b32 v100, v10, v100, v101
.LBB2_3965:                             ;   in Loop: Header=BB2_3892 Depth=2
	s_or_b32 exec_lo, exec_lo, s23
	s_delay_alu instid0(VALU_DEP_1) | instskip(NEXT) | instid1(VALU_DEP_1)
	v_mul_f32_e32 v10, s22, v100
	v_and_b32_e32 v100, 0x7f800000, v10
	s_delay_alu instid0(VALU_DEP_1)
	v_cmp_ne_u32_e32 vcc_lo, 0x7f800000, v100
	v_mov_b32_e32 v100, 0x8000
	s_and_saveexec_b32 s23, vcc_lo
	s_cbranch_execz .LBB2_3973
; %bb.3966:                             ;   in Loop: Header=BB2_3892 Depth=2
	v_mov_b32_e32 v100, 0
	s_mov_b32 s24, exec_lo
	v_cmpx_ne_u32_e32 0, v10
	s_cbranch_execz .LBB2_3972
; %bb.3967:                             ;   in Loop: Header=BB2_3892 Depth=2
	v_bfe_u32 v100, v10, 23, 8
	v_and_b32_e32 v101, 0x7fffff, v10
	s_delay_alu instid0(VALU_DEP_2) | instskip(SKIP_1) | instid1(VALU_DEP_3)
	v_sub_nc_u32_e32 v102, 0x78, v100
	v_cmp_gt_u32_e32 vcc_lo, 0x79, v100
	v_or_b32_e32 v103, 0x800000, v101
	s_delay_alu instid0(VALU_DEP_3) | instskip(SKIP_1) | instid1(VALU_DEP_3)
	v_cndmask_b32_e32 v102, 0, v102, vcc_lo
	v_cmp_eq_u32_e32 vcc_lo, 0, v100
	v_dual_cndmask_b32 v101, v103, v101 :: v_dual_add_nc_u32 v100, 0xffffff89, v100
	s_delay_alu instid0(VALU_DEP_3) | instskip(NEXT) | instid1(VALU_DEP_2)
	v_cndmask_b32_e64 v102, v102, 0x77, vcc_lo
	v_cndmask_b32_e64 v100, v100, 0xffffff8a, vcc_lo
	s_delay_alu instid0(VALU_DEP_2) | instskip(SKIP_2) | instid1(VALU_DEP_4)
	v_lshrrev_b32_e32 v112, v102, v101
	v_lshl_add_u32 v103, 0x100000, v102, -1
	v_lshlrev_b32_e64 v114, v102, 0x80000
	v_add_nc_u32_e32 v102, v102, v100
	s_delay_alu instid0(VALU_DEP_4) | instskip(NEXT) | instid1(VALU_DEP_4)
	v_bfe_u32 v113, v112, 20, 1
	v_and_b32_e32 v101, v103, v101
	s_delay_alu instid0(VALU_DEP_2) | instskip(NEXT) | instid1(VALU_DEP_2)
	v_add_nc_u32_e32 v103, -1, v113
	v_cmp_eq_u32_e64 s10, v101, v114
	s_delay_alu instid0(VALU_DEP_1) | instskip(SKIP_2) | instid1(VALU_DEP_2)
	v_cndmask_b32_e64 v101, 0, v103, s10
	v_lshrrev_b32_e32 v103, 23, v112
	s_mov_b32 s10, exec_lo
	v_add_nc_u32_e32 v101, v101, v112
	s_delay_alu instid0(VALU_DEP_2) | instskip(NEXT) | instid1(VALU_DEP_2)
	v_xor_b32_e32 v103, 1, v103
	v_and_b32_e32 v100, 0xfffff, v101
	s_delay_alu instid0(VALU_DEP_1) | instskip(NEXT) | instid1(VALU_DEP_3)
	v_add_nc_u32_e32 v101, v100, v112
                                        ; implicit-def: $vgpr100
	v_cmpx_ne_u32_e64 v102, v103
	s_xor_b32 s10, exec_lo, s10
; %bb.3968:                             ;   in Loop: Header=BB2_3892 Depth=2
	s_delay_alu instid0(VALU_DEP_2) | instskip(SKIP_2) | instid1(VALU_DEP_2)
	v_cmp_lt_u32_e32 vcc_lo, 0xffffff, v101
	v_sub_nc_u32_e32 v100, v102, v103
	v_cndmask_b32_e64 v102, 0, 1, vcc_lo
	v_add_co_ci_u32_e32 v100, vcc_lo, 0, v100, vcc_lo
	s_delay_alu instid0(VALU_DEP_2)
	v_lshrrev_b32_e32 v101, v102, v101
; %bb.3969:                             ;   in Loop: Header=BB2_3892 Depth=2
	s_and_not1_saveexec_b32 s10, s10
; %bb.3970:                             ;   in Loop: Header=BB2_3892 Depth=2
	s_delay_alu instid0(VALU_DEP_1)
	v_bfe_u32 v100, v101, 23, 1
; %bb.3971:                             ;   in Loop: Header=BB2_3892 Depth=2
	s_or_b32 exec_lo, exec_lo, s10
	v_lshrrev_b32_e32 v101, 20, v101
	s_delay_alu instid0(VALU_DEP_2) | instskip(SKIP_2) | instid1(VALU_DEP_2)
	v_cmp_gt_i32_e32 vcc_lo, 16, v100
	v_min_i32_e32 v102, 15, v100
	v_lshrrev_b32_e32 v10, 24, v10
	v_dual_cndmask_b32 v101, 7, v101 :: v_dual_lshlrev_b32 v102, 3, v102
	s_delay_alu instid0(VALU_DEP_2) | instskip(NEXT) | instid1(VALU_DEP_2)
	v_and_b32_e32 v10, 0x80, v10
	v_or_b32_e32 v100, v100, v101
	s_delay_alu instid0(VALU_DEP_3) | instskip(NEXT) | instid1(VALU_DEP_2)
	v_and_b32_e32 v102, 0xf8, v102
	v_cmp_ne_u32_e32 vcc_lo, 0, v100
	v_and_b32_e32 v103, 7, v101
	s_delay_alu instid0(VALU_DEP_1) | instskip(NEXT) | instid1(VALU_DEP_1)
	v_or3_b32 v10, v10, v102, v103
	v_lshlrev_b32_e32 v10, 8, v10
	s_delay_alu instid0(VALU_DEP_1)
	v_cndmask_b32_e32 v100, 0, v10, vcc_lo
.LBB2_3972:                             ;   in Loop: Header=BB2_3892 Depth=2
	s_or_b32 exec_lo, exec_lo, s24
.LBB2_3973:                             ;   in Loop: Header=BB2_3892 Depth=2
	s_delay_alu instid0(SALU_CYCLE_1) | instskip(SKIP_3) | instid1(VALU_DEP_1)
	s_or_b32 exec_lo, exec_lo, s23
	v_lshrrev_b32_e32 v10, 16, v11
	s_mov_b32 s10, 0
	s_mov_b32 s24, exec_lo
                                        ; implicit-def: $sgpr23
	v_and_b32_e32 v102, 0xff, v10
	s_delay_alu instid0(VALU_DEP_1)
	v_cmpx_lt_i16_e32 0x7f, v102
	s_xor_b32 s24, exec_lo, s24
	s_cbranch_execnz .LBB2_4307
; %bb.3974:                             ;   in Loop: Header=BB2_3892 Depth=2
	s_or_saveexec_b32 s24, s24
	v_mov_b32_e32 v101, s23
	s_xor_b32 exec_lo, exec_lo, s24
	s_cbranch_execnz .LBB2_4310
.LBB2_3975:                             ;   in Loop: Header=BB2_3892 Depth=2
	s_or_b32 exec_lo, exec_lo, s24
	s_and_saveexec_b32 s23, s10
	s_cbranch_execz .LBB2_3977
.LBB2_3976:                             ;   in Loop: Header=BB2_3892 Depth=2
	v_bfe_u32 v101, v11, 16, 3
	v_lshlrev_b32_e32 v112, 8, v11
	s_delay_alu instid0(VALU_DEP_2) | instskip(NEXT) | instid1(VALU_DEP_1)
	v_clz_i32_u32_e32 v102, v101
	v_min_u32_e32 v102, 32, v102
	s_delay_alu instid0(VALU_DEP_1) | instskip(SKIP_1) | instid1(VALU_DEP_2)
	v_subrev_nc_u32_e32 v103, 28, v102
	v_sub_nc_u32_e32 v102, 29, v102
	v_lshlrev_b32_e32 v10, v103, v10
	v_bfe_u32 v103, v11, 19, 4
	s_delay_alu instid0(VALU_DEP_2) | instskip(NEXT) | instid1(VALU_DEP_2)
	v_and_b32_e32 v10, 7, v10
	v_cmp_eq_u32_e32 vcc_lo, 0, v103
	v_cndmask_b32_e32 v102, v103, v102, vcc_lo
	s_delay_alu instid0(VALU_DEP_3) | instskip(NEXT) | instid1(VALU_DEP_2)
	v_dual_cndmask_b32 v10, v101, v10 :: v_dual_and_b32 v101, 0x80000000, v112
	v_lshl_add_u32 v102, v102, 23, 0x3b800000
	s_delay_alu instid0(VALU_DEP_2) | instskip(NEXT) | instid1(VALU_DEP_1)
	v_lshlrev_b32_e32 v10, 20, v10
	v_or3_b32 v101, v101, v102, v10
.LBB2_3977:                             ;   in Loop: Header=BB2_3892 Depth=2
	s_or_b32 exec_lo, exec_lo, s23
	s_delay_alu instid0(VALU_DEP_1) | instskip(NEXT) | instid1(VALU_DEP_1)
	v_mul_f32_e32 v10, s22, v101
	v_and_b32_e32 v101, 0x7f800000, v10
	s_delay_alu instid0(VALU_DEP_1)
	v_cmp_ne_u32_e32 vcc_lo, 0x7f800000, v101
	v_mov_b32_e32 v101, 0x80
	s_and_saveexec_b32 s23, vcc_lo
	s_cbranch_execz .LBB2_3985
; %bb.3978:                             ;   in Loop: Header=BB2_3892 Depth=2
	v_mov_b32_e32 v101, 0
	s_mov_b32 s24, exec_lo
	v_cmpx_ne_u32_e32 0, v10
	s_cbranch_execz .LBB2_3984
; %bb.3979:                             ;   in Loop: Header=BB2_3892 Depth=2
	v_bfe_u32 v101, v10, 23, 8
	s_delay_alu instid0(VALU_DEP_1) | instskip(SKIP_1) | instid1(VALU_DEP_2)
	v_sub_nc_u32_e32 v103, 0x78, v101
	v_cmp_gt_u32_e32 vcc_lo, 0x79, v101
	v_dual_cndmask_b32 v103, 0, v103 :: v_dual_and_b32 v102, 0x7fffff, v10
	s_delay_alu instid0(VALU_DEP_1) | instskip(SKIP_2) | instid1(VALU_DEP_4)
	v_or_b32_e32 v112, 0x800000, v102
	v_cmp_eq_u32_e32 vcc_lo, 0, v101
	v_add_nc_u32_e32 v101, 0xffffff89, v101
	v_cndmask_b32_e64 v103, v103, 0x77, vcc_lo
	s_delay_alu instid0(VALU_DEP_4) | instskip(NEXT) | instid1(VALU_DEP_3)
	v_cndmask_b32_e32 v102, v112, v102, vcc_lo
	v_cndmask_b32_e64 v101, v101, 0xffffff8a, vcc_lo
	s_delay_alu instid0(VALU_DEP_3) | instskip(NEXT) | instid1(VALU_DEP_3)
	v_lshl_add_u32 v112, 0x100000, v103, -1
	v_lshrrev_b32_e32 v113, v103, v102
	v_lshlrev_b32_e64 v115, v103, 0x80000
	s_delay_alu instid0(VALU_DEP_4) | instskip(NEXT) | instid1(VALU_DEP_4)
	v_add_nc_u32_e32 v103, v103, v101
	v_and_b32_e32 v102, v112, v102
	s_delay_alu instid0(VALU_DEP_4) | instskip(NEXT) | instid1(VALU_DEP_2)
	v_bfe_u32 v114, v113, 20, 1
	v_cmp_eq_u32_e64 s10, v102, v115
	s_delay_alu instid0(VALU_DEP_2) | instskip(NEXT) | instid1(VALU_DEP_1)
	v_add_nc_u32_e32 v112, -1, v114
	v_cndmask_b32_e64 v102, 0, v112, s10
	v_lshrrev_b32_e32 v112, 23, v113
	s_mov_b32 s10, exec_lo
	s_delay_alu instid0(VALU_DEP_2) | instskip(NEXT) | instid1(VALU_DEP_2)
	v_add_nc_u32_e32 v102, v102, v113
	v_xor_b32_e32 v112, 1, v112
	s_delay_alu instid0(VALU_DEP_2) | instskip(NEXT) | instid1(VALU_DEP_1)
	v_and_b32_e32 v101, 0xfffff, v102
	v_add_nc_u32_e32 v102, v101, v113
                                        ; implicit-def: $vgpr101
	s_delay_alu instid0(VALU_DEP_3)
	v_cmpx_ne_u32_e64 v103, v112
	s_xor_b32 s10, exec_lo, s10
; %bb.3980:                             ;   in Loop: Header=BB2_3892 Depth=2
	s_delay_alu instid0(VALU_DEP_2) | instskip(SKIP_2) | instid1(VALU_DEP_2)
	v_cmp_lt_u32_e32 vcc_lo, 0xffffff, v102
	v_sub_nc_u32_e32 v101, v103, v112
	v_cndmask_b32_e64 v103, 0, 1, vcc_lo
	v_add_co_ci_u32_e32 v101, vcc_lo, 0, v101, vcc_lo
	s_delay_alu instid0(VALU_DEP_2)
	v_lshrrev_b32_e32 v102, v103, v102
; %bb.3981:                             ;   in Loop: Header=BB2_3892 Depth=2
	s_and_not1_saveexec_b32 s10, s10
; %bb.3982:                             ;   in Loop: Header=BB2_3892 Depth=2
	s_delay_alu instid0(VALU_DEP_1)
	v_bfe_u32 v101, v102, 23, 1
; %bb.3983:                             ;   in Loop: Header=BB2_3892 Depth=2
	s_or_b32 exec_lo, exec_lo, s10
	v_lshrrev_b32_e32 v102, 20, v102
	s_delay_alu instid0(VALU_DEP_2) | instskip(SKIP_2) | instid1(VALU_DEP_3)
	v_min_i32_e32 v103, 15, v101
	v_cmp_gt_i32_e32 vcc_lo, 16, v101
	v_lshrrev_b32_e32 v10, 24, v10
	v_dual_cndmask_b32 v102, 7, v102 :: v_dual_lshlrev_b32 v103, 3, v103
	s_delay_alu instid0(VALU_DEP_2) | instskip(NEXT) | instid1(VALU_DEP_2)
	v_and_b32_e32 v10, 0x80, v10
	v_and_b32_e32 v103, 0xf8, v103
	s_delay_alu instid0(VALU_DEP_3) | instskip(SKIP_1) | instid1(VALU_DEP_2)
	v_and_b32_e32 v112, 7, v102
	v_or_b32_e32 v101, v101, v102
	v_or3_b32 v10, v103, v10, v112
	s_delay_alu instid0(VALU_DEP_2) | instskip(NEXT) | instid1(VALU_DEP_2)
	v_cmp_ne_u32_e32 vcc_lo, 0, v101
	v_cndmask_b32_e32 v101, 0, v10, vcc_lo
.LBB2_3984:                             ;   in Loop: Header=BB2_3892 Depth=2
	s_or_b32 exec_lo, exec_lo, s24
.LBB2_3985:                             ;   in Loop: Header=BB2_3892 Depth=2
	s_delay_alu instid0(SALU_CYCLE_1) | instskip(SKIP_3) | instid1(VALU_DEP_1)
	s_or_b32 exec_lo, exec_lo, s23
	v_lshrrev_b32_e32 v10, 24, v11
	s_mov_b32 s10, 0
	s_mov_b32 s24, exec_lo
                                        ; implicit-def: $sgpr23
	v_cmpx_lt_i16_e32 0x7f, v10
	s_xor_b32 s24, exec_lo, s24
	s_cbranch_execnz .LBB2_4311
; %bb.3986:                             ;   in Loop: Header=BB2_3892 Depth=2
	s_or_saveexec_b32 s24, s24
	v_mov_b32_e32 v102, s23
	s_xor_b32 exec_lo, exec_lo, s24
	s_cbranch_execnz .LBB2_4314
.LBB2_3987:                             ;   in Loop: Header=BB2_3892 Depth=2
	s_or_b32 exec_lo, exec_lo, s24
	s_and_saveexec_b32 s23, s10
	s_cbranch_execz .LBB2_3989
.LBB2_3988:                             ;   in Loop: Header=BB2_3892 Depth=2
	v_bfe_u32 v102, v11, 24, 3
	s_delay_alu instid0(VALU_DEP_1) | instskip(NEXT) | instid1(VALU_DEP_1)
	v_clz_i32_u32_e32 v103, v102
	v_min_u32_e32 v103, 32, v103
	s_delay_alu instid0(VALU_DEP_1) | instskip(SKIP_1) | instid1(VALU_DEP_2)
	v_subrev_nc_u32_e32 v112, 28, v103
	v_sub_nc_u32_e32 v103, 29, v103
	v_lshlrev_b32_e32 v10, v112, v10
	v_bfe_u32 v112, v11, 27, 4
	v_and_b32_e32 v11, 0x80000000, v11
	s_delay_alu instid0(VALU_DEP_2) | instskip(NEXT) | instid1(VALU_DEP_4)
	v_cmp_eq_u32_e32 vcc_lo, 0, v112
	v_dual_cndmask_b32 v103, v112, v103 :: v_dual_and_b32 v10, 7, v10
	s_delay_alu instid0(VALU_DEP_1) | instskip(NEXT) | instid1(VALU_DEP_2)
	v_cndmask_b32_e32 v10, v102, v10, vcc_lo
	v_lshl_add_u32 v102, v103, 23, 0x3b800000
	s_delay_alu instid0(VALU_DEP_2) | instskip(NEXT) | instid1(VALU_DEP_1)
	v_lshlrev_b32_e32 v10, 20, v10
	v_or3_b32 v102, v11, v102, v10
.LBB2_3989:                             ;   in Loop: Header=BB2_3892 Depth=2
	s_or_b32 exec_lo, exec_lo, s23
	s_delay_alu instid0(VALU_DEP_1) | instskip(SKIP_2) | instid1(VALU_DEP_2)
	v_mul_f32_e32 v10, s22, v102
	v_mov_b32_e32 v102, 0x8000
	s_mov_b32 s23, exec_lo
	v_and_b32_e32 v11, 0x7f800000, v10
	s_delay_alu instid0(VALU_DEP_1)
	v_cmpx_ne_u32_e32 0x7f800000, v11
	s_cbranch_execz .LBB2_3997
; %bb.3990:                             ;   in Loop: Header=BB2_3892 Depth=2
	v_mov_b32_e32 v102, 0
	s_mov_b32 s24, exec_lo
	v_cmpx_ne_u32_e32 0, v10
	s_cbranch_execz .LBB2_3996
; %bb.3991:                             ;   in Loop: Header=BB2_3892 Depth=2
	v_bfe_u32 v11, v10, 23, 8
	s_delay_alu instid0(VALU_DEP_1) | instskip(SKIP_1) | instid1(VALU_DEP_2)
	v_sub_nc_u32_e32 v103, 0x78, v11
	v_cmp_gt_u32_e32 vcc_lo, 0x79, v11
	v_dual_cndmask_b32 v103, 0, v103 :: v_dual_and_b32 v102, 0x7fffff, v10
	s_delay_alu instid0(VALU_DEP_1) | instskip(SKIP_2) | instid1(VALU_DEP_4)
	v_or_b32_e32 v112, 0x800000, v102
	v_cmp_eq_u32_e32 vcc_lo, 0, v11
	v_add_nc_u32_e32 v11, 0xffffff89, v11
	v_cndmask_b32_e64 v103, v103, 0x77, vcc_lo
	s_delay_alu instid0(VALU_DEP_4) | instskip(NEXT) | instid1(VALU_DEP_3)
	v_cndmask_b32_e32 v102, v112, v102, vcc_lo
	v_cndmask_b32_e64 v11, v11, 0xffffff8a, vcc_lo
	s_delay_alu instid0(VALU_DEP_3) | instskip(NEXT) | instid1(VALU_DEP_3)
	v_lshl_add_u32 v112, 0x100000, v103, -1
	v_lshrrev_b32_e32 v113, v103, v102
	v_lshlrev_b32_e64 v115, v103, 0x80000
	s_delay_alu instid0(VALU_DEP_4) | instskip(NEXT) | instid1(VALU_DEP_4)
	v_add_nc_u32_e32 v103, v103, v11
	v_and_b32_e32 v102, v112, v102
	s_delay_alu instid0(VALU_DEP_4) | instskip(NEXT) | instid1(VALU_DEP_2)
	v_bfe_u32 v114, v113, 20, 1
	v_cmp_eq_u32_e64 s10, v102, v115
	s_delay_alu instid0(VALU_DEP_2) | instskip(NEXT) | instid1(VALU_DEP_1)
	v_add_nc_u32_e32 v112, -1, v114
	v_cndmask_b32_e64 v102, 0, v112, s10
	v_lshrrev_b32_e32 v112, 23, v113
	s_mov_b32 s10, exec_lo
	s_delay_alu instid0(VALU_DEP_2) | instskip(NEXT) | instid1(VALU_DEP_2)
	v_add_nc_u32_e32 v102, v102, v113
	v_xor_b32_e32 v112, 1, v112
	s_delay_alu instid0(VALU_DEP_2) | instskip(NEXT) | instid1(VALU_DEP_1)
	v_and_b32_e32 v11, 0xfffff, v102
	v_add_nc_u32_e32 v102, v11, v113
                                        ; implicit-def: $vgpr11
	s_delay_alu instid0(VALU_DEP_3)
	v_cmpx_ne_u32_e64 v103, v112
	s_xor_b32 s10, exec_lo, s10
; %bb.3992:                             ;   in Loop: Header=BB2_3892 Depth=2
	s_delay_alu instid0(VALU_DEP_2) | instskip(SKIP_2) | instid1(VALU_DEP_2)
	v_cmp_lt_u32_e32 vcc_lo, 0xffffff, v102
	v_sub_nc_u32_e32 v11, v103, v112
	v_cndmask_b32_e64 v103, 0, 1, vcc_lo
	v_add_co_ci_u32_e32 v11, vcc_lo, 0, v11, vcc_lo
	s_delay_alu instid0(VALU_DEP_2)
	v_lshrrev_b32_e32 v102, v103, v102
; %bb.3993:                             ;   in Loop: Header=BB2_3892 Depth=2
	s_and_not1_saveexec_b32 s10, s10
; %bb.3994:                             ;   in Loop: Header=BB2_3892 Depth=2
	s_delay_alu instid0(VALU_DEP_1)
	v_bfe_u32 v11, v102, 23, 1
; %bb.3995:                             ;   in Loop: Header=BB2_3892 Depth=2
	s_or_b32 exec_lo, exec_lo, s10
	v_lshrrev_b32_e32 v102, 20, v102
	s_delay_alu instid0(VALU_DEP_2) | instskip(SKIP_2) | instid1(VALU_DEP_2)
	v_cmp_gt_i32_e32 vcc_lo, 16, v11
	v_min_i32_e32 v103, 15, v11
	v_lshrrev_b32_e32 v10, 24, v10
	v_dual_cndmask_b32 v102, 7, v102 :: v_dual_lshlrev_b32 v103, 3, v103
	s_delay_alu instid0(VALU_DEP_2) | instskip(NEXT) | instid1(VALU_DEP_2)
	v_and_b32_e32 v10, 0x80, v10
	v_or_b32_e32 v11, v11, v102
	v_and_b32_e32 v112, 7, v102
	s_delay_alu instid0(VALU_DEP_2) | instskip(SKIP_1) | instid1(VALU_DEP_1)
	v_cmp_ne_u32_e32 vcc_lo, 0, v11
	v_and_b32_e32 v103, 0xf8, v103
	v_or3_b32 v10, v10, v103, v112
	s_delay_alu instid0(VALU_DEP_1) | instskip(NEXT) | instid1(VALU_DEP_1)
	v_lshlrev_b32_e32 v10, 8, v10
	v_cndmask_b32_e32 v102, 0, v10, vcc_lo
.LBB2_3996:                             ;   in Loop: Header=BB2_3892 Depth=2
	s_or_b32 exec_lo, exec_lo, s24
.LBB2_3997:                             ;   in Loop: Header=BB2_3892 Depth=2
	s_delay_alu instid0(SALU_CYCLE_1) | instskip(SKIP_3) | instid1(VALU_DEP_1)
	s_or_b32 exec_lo, exec_lo, s23
	v_and_b32_e32 v11, 0xff, v12
	s_mov_b32 s10, 0
	s_mov_b32 s24, exec_lo
                                        ; implicit-def: $sgpr23
	v_cmpx_lt_i16_e32 0x7f, v11
	s_xor_b32 s24, exec_lo, s24
	s_cbranch_execnz .LBB2_4315
; %bb.3998:                             ;   in Loop: Header=BB2_3892 Depth=2
	s_or_saveexec_b32 s24, s24
	v_mov_b32_e32 v10, s23
	s_xor_b32 exec_lo, exec_lo, s24
	s_cbranch_execnz .LBB2_4318
.LBB2_3999:                             ;   in Loop: Header=BB2_3892 Depth=2
	s_or_b32 exec_lo, exec_lo, s24
	s_and_saveexec_b32 s23, s10
	s_cbranch_execz .LBB2_4001
.LBB2_4000:                             ;   in Loop: Header=BB2_3892 Depth=2
	v_bfe_u32 v112, v12, 3, 4
	s_delay_alu instid0(VALU_DEP_1) | instskip(SKIP_1) | instid1(VALU_DEP_1)
	v_cmp_eq_u32_e32 vcc_lo, 0, v112
	v_and_b32_e32 v10, 7, v12
	v_clz_i32_u32_e32 v11, v10
	s_delay_alu instid0(VALU_DEP_1) | instskip(NEXT) | instid1(VALU_DEP_1)
	v_min_u32_e32 v11, 32, v11
	v_subrev_nc_u32_e32 v103, 28, v11
	v_sub_nc_u32_e32 v11, 29, v11
	s_delay_alu instid0(VALU_DEP_2) | instskip(NEXT) | instid1(VALU_DEP_2)
	v_lshlrev_b32_e32 v103, v103, v12
	v_cndmask_b32_e32 v11, v112, v11, vcc_lo
	s_delay_alu instid0(VALU_DEP_2) | instskip(SKIP_1) | instid1(VALU_DEP_3)
	v_and_b32_e32 v103, 7, v103
	v_lshlrev_b32_e32 v113, 24, v12
	v_lshl_add_u32 v11, v11, 23, 0x3b800000
	s_delay_alu instid0(VALU_DEP_2) | instskip(NEXT) | instid1(VALU_DEP_1)
	v_dual_cndmask_b32 v10, v10, v103 :: v_dual_and_b32 v103, 0x80000000, v113
	v_lshlrev_b32_e32 v10, 20, v10
	s_delay_alu instid0(VALU_DEP_1)
	v_or3_b32 v10, v103, v11, v10
.LBB2_4001:                             ;   in Loop: Header=BB2_3892 Depth=2
	s_or_b32 exec_lo, exec_lo, s23
	s_delay_alu instid0(VALU_DEP_1) | instskip(SKIP_1) | instid1(VALU_DEP_1)
	v_dual_mul_f32 v10, s22, v10 :: v_dual_mov_b32 v103, 0x80
	s_mov_b32 s23, exec_lo
	v_and_b32_e32 v11, 0x7f800000, v10
	s_delay_alu instid0(VALU_DEP_1)
	v_cmpx_ne_u32_e32 0x7f800000, v11
	s_cbranch_execz .LBB2_4009
; %bb.4002:                             ;   in Loop: Header=BB2_3892 Depth=2
	v_mov_b32_e32 v103, 0
	s_mov_b32 s24, exec_lo
	v_cmpx_ne_u32_e32 0, v10
	s_cbranch_execz .LBB2_4008
; %bb.4003:                             ;   in Loop: Header=BB2_3892 Depth=2
	v_bfe_u32 v11, v10, 23, 8
	s_delay_alu instid0(VALU_DEP_1) | instskip(SKIP_1) | instid1(VALU_DEP_2)
	v_sub_nc_u32_e32 v112, 0x78, v11
	v_cmp_gt_u32_e32 vcc_lo, 0x79, v11
	v_dual_cndmask_b32 v112, 0, v112 :: v_dual_and_b32 v103, 0x7fffff, v10
	s_delay_alu instid0(VALU_DEP_1) | instskip(SKIP_2) | instid1(VALU_DEP_4)
	v_or_b32_e32 v113, 0x800000, v103
	v_cmp_eq_u32_e32 vcc_lo, 0, v11
	v_add_nc_u32_e32 v11, 0xffffff89, v11
	v_cndmask_b32_e64 v112, v112, 0x77, vcc_lo
	s_delay_alu instid0(VALU_DEP_4) | instskip(NEXT) | instid1(VALU_DEP_3)
	v_cndmask_b32_e32 v103, v113, v103, vcc_lo
	v_cndmask_b32_e64 v11, v11, 0xffffff8a, vcc_lo
	s_delay_alu instid0(VALU_DEP_3) | instskip(NEXT) | instid1(VALU_DEP_3)
	v_lshl_add_u32 v113, 0x100000, v112, -1
	v_lshrrev_b32_e32 v114, v112, v103
	v_lshlrev_b32_e64 v116, v112, 0x80000
	s_delay_alu instid0(VALU_DEP_4) | instskip(NEXT) | instid1(VALU_DEP_4)
	v_add_nc_u32_e32 v112, v112, v11
	v_and_b32_e32 v103, v113, v103
	s_delay_alu instid0(VALU_DEP_4) | instskip(NEXT) | instid1(VALU_DEP_2)
	v_bfe_u32 v115, v114, 20, 1
	v_cmp_eq_u32_e64 s10, v103, v116
	s_delay_alu instid0(VALU_DEP_2) | instskip(NEXT) | instid1(VALU_DEP_1)
	v_add_nc_u32_e32 v113, -1, v115
	v_cndmask_b32_e64 v103, 0, v113, s10
	v_lshrrev_b32_e32 v113, 23, v114
	s_mov_b32 s10, exec_lo
	s_delay_alu instid0(VALU_DEP_2) | instskip(NEXT) | instid1(VALU_DEP_2)
	v_add_nc_u32_e32 v103, v103, v114
	v_xor_b32_e32 v113, 1, v113
	s_delay_alu instid0(VALU_DEP_2) | instskip(NEXT) | instid1(VALU_DEP_1)
	v_and_b32_e32 v11, 0xfffff, v103
	v_add_nc_u32_e32 v103, v11, v114
                                        ; implicit-def: $vgpr11
	s_delay_alu instid0(VALU_DEP_3)
	v_cmpx_ne_u32_e64 v112, v113
	s_xor_b32 s10, exec_lo, s10
; %bb.4004:                             ;   in Loop: Header=BB2_3892 Depth=2
	s_delay_alu instid0(VALU_DEP_2) | instskip(SKIP_2) | instid1(VALU_DEP_2)
	v_cmp_lt_u32_e32 vcc_lo, 0xffffff, v103
	v_sub_nc_u32_e32 v11, v112, v113
	v_cndmask_b32_e64 v112, 0, 1, vcc_lo
	v_add_co_ci_u32_e32 v11, vcc_lo, 0, v11, vcc_lo
	s_delay_alu instid0(VALU_DEP_2)
	v_lshrrev_b32_e32 v103, v112, v103
; %bb.4005:                             ;   in Loop: Header=BB2_3892 Depth=2
	s_and_not1_saveexec_b32 s10, s10
; %bb.4006:                             ;   in Loop: Header=BB2_3892 Depth=2
	s_delay_alu instid0(VALU_DEP_1)
	v_bfe_u32 v11, v103, 23, 1
; %bb.4007:                             ;   in Loop: Header=BB2_3892 Depth=2
	s_or_b32 exec_lo, exec_lo, s10
	v_lshrrev_b32_e32 v103, 20, v103
	s_delay_alu instid0(VALU_DEP_2) | instskip(SKIP_2) | instid1(VALU_DEP_2)
	v_cmp_gt_i32_e32 vcc_lo, 16, v11
	v_lshrrev_b32_e32 v10, 24, v10
	v_min_i32_e32 v112, 15, v11
	v_dual_cndmask_b32 v103, 7, v103 :: v_dual_and_b32 v10, 0x80, v10
	s_delay_alu instid0(VALU_DEP_1) | instskip(SKIP_1) | instid1(VALU_DEP_2)
	v_or_b32_e32 v11, v11, v103
	v_and_b32_e32 v113, 7, v103
	v_cmp_ne_u32_e32 vcc_lo, 0, v11
	v_lshlrev_b32_e32 v112, 3, v112
	s_delay_alu instid0(VALU_DEP_1) | instskip(NEXT) | instid1(VALU_DEP_1)
	v_or3_b32 v10, v112, v10, v113
	v_cndmask_b32_e32 v103, 0, v10, vcc_lo
.LBB2_4008:                             ;   in Loop: Header=BB2_3892 Depth=2
	s_or_b32 exec_lo, exec_lo, s24
.LBB2_4009:                             ;   in Loop: Header=BB2_3892 Depth=2
	s_delay_alu instid0(SALU_CYCLE_1) | instskip(SKIP_3) | instid1(VALU_DEP_1)
	s_or_b32 exec_lo, exec_lo, s23
	v_lshrrev_b16 v10, 8, v12
	s_mov_b32 s10, 0
	s_mov_b32 s24, exec_lo
                                        ; implicit-def: $sgpr23
	v_cmpx_lt_i16_e32 0x7f, v10
	s_xor_b32 s24, exec_lo, s24
	s_cbranch_execnz .LBB2_4319
; %bb.4010:                             ;   in Loop: Header=BB2_3892 Depth=2
	s_or_saveexec_b32 s24, s24
	v_mov_b32_e32 v11, s23
	s_xor_b32 exec_lo, exec_lo, s24
	s_cbranch_execnz .LBB2_4322
.LBB2_4011:                             ;   in Loop: Header=BB2_3892 Depth=2
	s_or_b32 exec_lo, exec_lo, s24
	s_and_saveexec_b32 s23, s10
	s_cbranch_execz .LBB2_4013
.LBB2_4012:                             ;   in Loop: Header=BB2_3892 Depth=2
	v_and_b32_e32 v11, 0xffff, v10
	v_lshlrev_b32_e32 v10, 24, v10
	s_delay_alu instid0(VALU_DEP_2) | instskip(NEXT) | instid1(VALU_DEP_2)
	v_and_b32_e32 v112, 7, v11
	v_and_b32_e32 v10, 0x80000000, v10
	s_delay_alu instid0(VALU_DEP_2) | instskip(NEXT) | instid1(VALU_DEP_1)
	v_clz_i32_u32_e32 v113, v112
	v_min_u32_e32 v113, 32, v113
	s_delay_alu instid0(VALU_DEP_1) | instskip(SKIP_1) | instid1(VALU_DEP_2)
	v_subrev_nc_u32_e32 v114, 28, v113
	v_sub_nc_u32_e32 v113, 29, v113
	v_lshlrev_b32_e32 v114, v114, v11
	v_bfe_u32 v11, v11, 3, 4
	s_delay_alu instid0(VALU_DEP_2) | instskip(NEXT) | instid1(VALU_DEP_2)
	v_and_b32_e32 v114, 7, v114
	v_cmp_eq_u32_e32 vcc_lo, 0, v11
	s_delay_alu instid0(VALU_DEP_2) | instskip(NEXT) | instid1(VALU_DEP_1)
	v_dual_cndmask_b32 v11, v11, v113 :: v_dual_cndmask_b32 v112, v112, v114
	v_lshl_add_u32 v11, v11, 23, 0x3b800000
	s_delay_alu instid0(VALU_DEP_2) | instskip(NEXT) | instid1(VALU_DEP_1)
	v_lshlrev_b32_e32 v112, 20, v112
	v_or3_b32 v11, v10, v11, v112
.LBB2_4013:                             ;   in Loop: Header=BB2_3892 Depth=2
	s_or_b32 exec_lo, exec_lo, s23
	s_delay_alu instid0(VALU_DEP_1) | instskip(SKIP_2) | instid1(VALU_DEP_2)
	v_mul_f32_e32 v10, s22, v11
	v_mov_b32_e32 v112, 0x80
	s_mov_b32 s23, exec_lo
	v_and_b32_e32 v11, 0x7f800000, v10
	s_delay_alu instid0(VALU_DEP_1)
	v_cmpx_ne_u32_e32 0x7f800000, v11
	s_cbranch_execz .LBB2_4021
; %bb.4014:                             ;   in Loop: Header=BB2_3892 Depth=2
	v_mov_b32_e32 v112, 0
	s_mov_b32 s24, exec_lo
	v_cmpx_ne_u32_e32 0, v10
	s_cbranch_execz .LBB2_4020
; %bb.4015:                             ;   in Loop: Header=BB2_3892 Depth=2
	v_bfe_u32 v11, v10, 23, 8
	s_delay_alu instid0(VALU_DEP_1) | instskip(SKIP_1) | instid1(VALU_DEP_2)
	v_sub_nc_u32_e32 v113, 0x78, v11
	v_cmp_gt_u32_e32 vcc_lo, 0x79, v11
	v_dual_cndmask_b32 v113, 0, v113 :: v_dual_and_b32 v112, 0x7fffff, v10
	s_delay_alu instid0(VALU_DEP_1) | instskip(SKIP_2) | instid1(VALU_DEP_4)
	v_or_b32_e32 v114, 0x800000, v112
	v_cmp_eq_u32_e32 vcc_lo, 0, v11
	v_add_nc_u32_e32 v11, 0xffffff89, v11
	v_cndmask_b32_e64 v113, v113, 0x77, vcc_lo
	s_delay_alu instid0(VALU_DEP_4) | instskip(NEXT) | instid1(VALU_DEP_3)
	v_cndmask_b32_e32 v112, v114, v112, vcc_lo
	v_cndmask_b32_e64 v11, v11, 0xffffff8a, vcc_lo
	s_delay_alu instid0(VALU_DEP_3) | instskip(NEXT) | instid1(VALU_DEP_3)
	v_lshl_add_u32 v114, 0x100000, v113, -1
	v_lshrrev_b32_e32 v115, v113, v112
	v_lshlrev_b32_e64 v117, v113, 0x80000
	s_delay_alu instid0(VALU_DEP_4) | instskip(NEXT) | instid1(VALU_DEP_4)
	v_add_nc_u32_e32 v113, v113, v11
	v_and_b32_e32 v112, v114, v112
	s_delay_alu instid0(VALU_DEP_4) | instskip(NEXT) | instid1(VALU_DEP_2)
	v_bfe_u32 v116, v115, 20, 1
	v_cmp_eq_u32_e64 s10, v112, v117
	s_delay_alu instid0(VALU_DEP_2) | instskip(NEXT) | instid1(VALU_DEP_1)
	v_add_nc_u32_e32 v114, -1, v116
	v_cndmask_b32_e64 v112, 0, v114, s10
	v_lshrrev_b32_e32 v114, 23, v115
	s_mov_b32 s10, exec_lo
	s_delay_alu instid0(VALU_DEP_2) | instskip(NEXT) | instid1(VALU_DEP_2)
	v_add_nc_u32_e32 v112, v112, v115
	v_xor_b32_e32 v114, 1, v114
	s_delay_alu instid0(VALU_DEP_2) | instskip(NEXT) | instid1(VALU_DEP_1)
	v_and_b32_e32 v11, 0xfffff, v112
	v_add_nc_u32_e32 v112, v11, v115
                                        ; implicit-def: $vgpr11
	s_delay_alu instid0(VALU_DEP_3)
	v_cmpx_ne_u32_e64 v113, v114
	s_xor_b32 s10, exec_lo, s10
; %bb.4016:                             ;   in Loop: Header=BB2_3892 Depth=2
	s_delay_alu instid0(VALU_DEP_2) | instskip(SKIP_2) | instid1(VALU_DEP_2)
	v_cmp_lt_u32_e32 vcc_lo, 0xffffff, v112
	v_sub_nc_u32_e32 v11, v113, v114
	v_cndmask_b32_e64 v113, 0, 1, vcc_lo
	v_add_co_ci_u32_e32 v11, vcc_lo, 0, v11, vcc_lo
	s_delay_alu instid0(VALU_DEP_2)
	v_lshrrev_b32_e32 v112, v113, v112
; %bb.4017:                             ;   in Loop: Header=BB2_3892 Depth=2
	s_and_not1_saveexec_b32 s10, s10
; %bb.4018:                             ;   in Loop: Header=BB2_3892 Depth=2
	s_delay_alu instid0(VALU_DEP_1)
	v_bfe_u32 v11, v112, 23, 1
; %bb.4019:                             ;   in Loop: Header=BB2_3892 Depth=2
	s_or_b32 exec_lo, exec_lo, s10
	v_lshrrev_b32_e32 v112, 20, v112
	s_delay_alu instid0(VALU_DEP_2) | instskip(SKIP_2) | instid1(VALU_DEP_4)
	v_cmp_gt_i32_e32 vcc_lo, 16, v11
	v_lshrrev_b32_e32 v10, 24, v10
	v_min_i32_e32 v113, 15, v11
	v_cndmask_b32_e32 v112, 7, v112, vcc_lo
	s_delay_alu instid0(VALU_DEP_3) | instskip(NEXT) | instid1(VALU_DEP_3)
	v_and_b32_e32 v10, 0x80, v10
	v_lshlrev_b32_e32 v113, 3, v113
	s_delay_alu instid0(VALU_DEP_3) | instskip(SKIP_1) | instid1(VALU_DEP_2)
	v_and_b32_e32 v114, 7, v112
	v_or_b32_e32 v11, v11, v112
	v_or3_b32 v10, v113, v10, v114
	s_delay_alu instid0(VALU_DEP_2) | instskip(NEXT) | instid1(VALU_DEP_2)
	v_cmp_ne_u32_e32 vcc_lo, 0, v11
	v_cndmask_b32_e32 v112, 0, v10, vcc_lo
.LBB2_4020:                             ;   in Loop: Header=BB2_3892 Depth=2
	s_or_b32 exec_lo, exec_lo, s24
.LBB2_4021:                             ;   in Loop: Header=BB2_3892 Depth=2
	s_delay_alu instid0(SALU_CYCLE_1) | instskip(SKIP_3) | instid1(VALU_DEP_1)
	s_or_b32 exec_lo, exec_lo, s23
	v_lshrrev_b32_e32 v10, 16, v12
	s_mov_b32 s10, 0
	s_mov_b32 s24, exec_lo
                                        ; implicit-def: $sgpr23
	v_and_b32_e32 v113, 0xff, v10
	s_delay_alu instid0(VALU_DEP_1)
	v_cmpx_lt_i16_e32 0x7f, v113
	s_xor_b32 s24, exec_lo, s24
	s_cbranch_execnz .LBB2_4323
; %bb.4022:                             ;   in Loop: Header=BB2_3892 Depth=2
	s_or_saveexec_b32 s24, s24
	v_mov_b32_e32 v11, s23
	s_xor_b32 exec_lo, exec_lo, s24
	s_cbranch_execnz .LBB2_4326
.LBB2_4023:                             ;   in Loop: Header=BB2_3892 Depth=2
	s_or_b32 exec_lo, exec_lo, s24
	s_and_saveexec_b32 s23, s10
	s_cbranch_execz .LBB2_4025
.LBB2_4024:                             ;   in Loop: Header=BB2_3892 Depth=2
	v_bfe_u32 v11, v12, 16, 3
	s_delay_alu instid0(VALU_DEP_1) | instskip(NEXT) | instid1(VALU_DEP_1)
	v_clz_i32_u32_e32 v113, v11
	v_min_u32_e32 v113, 32, v113
	s_delay_alu instid0(VALU_DEP_1) | instskip(SKIP_1) | instid1(VALU_DEP_2)
	v_subrev_nc_u32_e32 v114, 28, v113
	v_sub_nc_u32_e32 v113, 29, v113
	v_lshlrev_b32_e32 v10, v114, v10
	v_bfe_u32 v114, v12, 19, 4
	s_delay_alu instid0(VALU_DEP_1) | instskip(NEXT) | instid1(VALU_DEP_3)
	v_cmp_eq_u32_e32 vcc_lo, 0, v114
	v_dual_cndmask_b32 v113, v114, v113 :: v_dual_and_b32 v10, 7, v10
	s_delay_alu instid0(VALU_DEP_1) | instskip(NEXT) | instid1(VALU_DEP_2)
	v_dual_cndmask_b32 v10, v11, v10 :: v_dual_lshlrev_b32 v115, 8, v12
	v_lshl_add_u32 v113, v113, 23, 0x3b800000
	s_delay_alu instid0(VALU_DEP_2) | instskip(NEXT) | instid1(VALU_DEP_3)
	v_and_b32_e32 v11, 0x80000000, v115
	v_lshlrev_b32_e32 v10, 20, v10
	s_delay_alu instid0(VALU_DEP_1)
	v_or3_b32 v11, v11, v113, v10
.LBB2_4025:                             ;   in Loop: Header=BB2_3892 Depth=2
	s_or_b32 exec_lo, exec_lo, s23
	s_delay_alu instid0(VALU_DEP_1) | instskip(SKIP_1) | instid1(VALU_DEP_1)
	v_dual_mul_f32 v10, s22, v11 :: v_dual_mov_b32 v113, 0x80
	s_mov_b32 s23, exec_lo
	v_and_b32_e32 v11, 0x7f800000, v10
	s_delay_alu instid0(VALU_DEP_1)
	v_cmpx_ne_u32_e32 0x7f800000, v11
	s_cbranch_execz .LBB2_4033
; %bb.4026:                             ;   in Loop: Header=BB2_3892 Depth=2
	v_mov_b32_e32 v113, 0
	s_mov_b32 s24, exec_lo
	v_cmpx_ne_u32_e32 0, v10
	s_cbranch_execz .LBB2_4032
; %bb.4027:                             ;   in Loop: Header=BB2_3892 Depth=2
	v_bfe_u32 v11, v10, 23, 8
	v_and_b32_e32 v113, 0x7fffff, v10
	s_delay_alu instid0(VALU_DEP_2) | instskip(SKIP_1) | instid1(VALU_DEP_3)
	v_sub_nc_u32_e32 v114, 0x78, v11
	v_cmp_gt_u32_e32 vcc_lo, 0x79, v11
	v_or_b32_e32 v115, 0x800000, v113
	s_delay_alu instid0(VALU_DEP_3) | instskip(SKIP_2) | instid1(VALU_DEP_4)
	v_cndmask_b32_e32 v114, 0, v114, vcc_lo
	v_cmp_eq_u32_e32 vcc_lo, 0, v11
	v_add_nc_u32_e32 v11, 0xffffff89, v11
	v_cndmask_b32_e32 v113, v115, v113, vcc_lo
	s_delay_alu instid0(VALU_DEP_4) | instskip(NEXT) | instid1(VALU_DEP_3)
	v_cndmask_b32_e64 v114, v114, 0x77, vcc_lo
	v_cndmask_b32_e64 v11, v11, 0xffffff8a, vcc_lo
	s_delay_alu instid0(VALU_DEP_2) | instskip(SKIP_2) | instid1(VALU_DEP_4)
	v_lshrrev_b32_e32 v116, v114, v113
	v_lshl_add_u32 v115, 0x100000, v114, -1
	v_lshlrev_b32_e64 v118, v114, 0x80000
	v_add_nc_u32_e32 v114, v114, v11
	s_delay_alu instid0(VALU_DEP_4) | instskip(NEXT) | instid1(VALU_DEP_4)
	v_bfe_u32 v117, v116, 20, 1
	v_and_b32_e32 v113, v115, v113
	s_delay_alu instid0(VALU_DEP_2) | instskip(NEXT) | instid1(VALU_DEP_2)
	v_add_nc_u32_e32 v115, -1, v117
	v_cmp_eq_u32_e64 s10, v113, v118
	s_delay_alu instid0(VALU_DEP_1) | instskip(SKIP_2) | instid1(VALU_DEP_2)
	v_cndmask_b32_e64 v113, 0, v115, s10
	v_lshrrev_b32_e32 v115, 23, v116
	s_mov_b32 s10, exec_lo
	v_add_nc_u32_e32 v113, v113, v116
	s_delay_alu instid0(VALU_DEP_2) | instskip(NEXT) | instid1(VALU_DEP_2)
	v_xor_b32_e32 v115, 1, v115
	v_and_b32_e32 v11, 0xfffff, v113
	s_delay_alu instid0(VALU_DEP_1) | instskip(NEXT) | instid1(VALU_DEP_3)
	v_add_nc_u32_e32 v113, v11, v116
                                        ; implicit-def: $vgpr11
	v_cmpx_ne_u32_e64 v114, v115
	s_xor_b32 s10, exec_lo, s10
; %bb.4028:                             ;   in Loop: Header=BB2_3892 Depth=2
	s_delay_alu instid0(VALU_DEP_2) | instskip(SKIP_2) | instid1(VALU_DEP_2)
	v_cmp_lt_u32_e32 vcc_lo, 0xffffff, v113
	v_sub_nc_u32_e32 v11, v114, v115
	v_cndmask_b32_e64 v114, 0, 1, vcc_lo
	v_add_co_ci_u32_e32 v11, vcc_lo, 0, v11, vcc_lo
	s_delay_alu instid0(VALU_DEP_2)
	v_lshrrev_b32_e32 v113, v114, v113
; %bb.4029:                             ;   in Loop: Header=BB2_3892 Depth=2
	s_and_not1_saveexec_b32 s10, s10
; %bb.4030:                             ;   in Loop: Header=BB2_3892 Depth=2
	s_delay_alu instid0(VALU_DEP_1)
	v_bfe_u32 v11, v113, 23, 1
; %bb.4031:                             ;   in Loop: Header=BB2_3892 Depth=2
	s_or_b32 exec_lo, exec_lo, s10
	v_lshrrev_b32_e32 v113, 20, v113
	s_delay_alu instid0(VALU_DEP_2) | instskip(SKIP_2) | instid1(VALU_DEP_2)
	v_cmp_gt_i32_e32 vcc_lo, 16, v11
	v_lshrrev_b32_e32 v10, 24, v10
	v_min_i32_e32 v114, 15, v11
	v_dual_cndmask_b32 v113, 7, v113 :: v_dual_and_b32 v10, 0x80, v10
	s_delay_alu instid0(VALU_DEP_2) | instskip(NEXT) | instid1(VALU_DEP_2)
	v_lshlrev_b32_e32 v114, 3, v114
	v_and_b32_e32 v115, 7, v113
	v_or_b32_e32 v11, v11, v113
	s_delay_alu instid0(VALU_DEP_2) | instskip(NEXT) | instid1(VALU_DEP_2)
	v_or3_b32 v10, v114, v10, v115
	v_cmp_ne_u32_e32 vcc_lo, 0, v11
	s_delay_alu instid0(VALU_DEP_2)
	v_cndmask_b32_e32 v113, 0, v10, vcc_lo
.LBB2_4032:                             ;   in Loop: Header=BB2_3892 Depth=2
	s_or_b32 exec_lo, exec_lo, s24
.LBB2_4033:                             ;   in Loop: Header=BB2_3892 Depth=2
	s_delay_alu instid0(SALU_CYCLE_1) | instskip(SKIP_3) | instid1(VALU_DEP_1)
	s_or_b32 exec_lo, exec_lo, s23
	v_lshrrev_b32_e32 v10, 24, v12
	s_mov_b32 s10, 0
	s_mov_b32 s24, exec_lo
                                        ; implicit-def: $sgpr23
	v_cmpx_lt_i16_e32 0x7f, v10
	s_xor_b32 s24, exec_lo, s24
	s_cbranch_execnz .LBB2_4327
; %bb.4034:                             ;   in Loop: Header=BB2_3892 Depth=2
	s_or_saveexec_b32 s24, s24
	v_mov_b32_e32 v11, s23
	s_xor_b32 exec_lo, exec_lo, s24
	s_cbranch_execnz .LBB2_4330
.LBB2_4035:                             ;   in Loop: Header=BB2_3892 Depth=2
	s_or_b32 exec_lo, exec_lo, s24
	s_and_saveexec_b32 s23, s10
	s_cbranch_execz .LBB2_4037
.LBB2_4036:                             ;   in Loop: Header=BB2_3892 Depth=2
	v_bfe_u32 v11, v12, 24, 3
	s_delay_alu instid0(VALU_DEP_1) | instskip(NEXT) | instid1(VALU_DEP_1)
	v_clz_i32_u32_e32 v114, v11
	v_min_u32_e32 v114, 32, v114
	s_delay_alu instid0(VALU_DEP_1) | instskip(SKIP_1) | instid1(VALU_DEP_2)
	v_subrev_nc_u32_e32 v115, 28, v114
	v_sub_nc_u32_e32 v114, 29, v114
	v_lshlrev_b32_e32 v10, v115, v10
	v_bfe_u32 v115, v12, 27, 4
	s_delay_alu instid0(VALU_DEP_2) | instskip(NEXT) | instid1(VALU_DEP_2)
	v_and_b32_e32 v10, 7, v10
	v_cmp_eq_u32_e32 vcc_lo, 0, v115
	v_cndmask_b32_e32 v114, v115, v114, vcc_lo
	s_delay_alu instid0(VALU_DEP_3) | instskip(NEXT) | instid1(VALU_DEP_2)
	v_dual_cndmask_b32 v10, v11, v10 :: v_dual_and_b32 v11, 0x80000000, v12
	v_lshl_add_u32 v12, v114, 23, 0x3b800000
	s_delay_alu instid0(VALU_DEP_2) | instskip(NEXT) | instid1(VALU_DEP_1)
	v_lshlrev_b32_e32 v10, 20, v10
	v_or3_b32 v11, v11, v12, v10
.LBB2_4037:                             ;   in Loop: Header=BB2_3892 Depth=2
	s_or_b32 exec_lo, exec_lo, s23
	s_delay_alu instid0(VALU_DEP_1) | instskip(SKIP_2) | instid1(VALU_DEP_2)
	v_mul_f32_e32 v10, s22, v11
	v_mov_b32_e32 v114, 0x80
	s_mov_b32 s23, exec_lo
	v_and_b32_e32 v11, 0x7f800000, v10
	s_delay_alu instid0(VALU_DEP_1)
	v_cmpx_ne_u32_e32 0x7f800000, v11
	s_cbranch_execz .LBB2_4045
; %bb.4038:                             ;   in Loop: Header=BB2_3892 Depth=2
	v_mov_b32_e32 v114, 0
	s_mov_b32 s24, exec_lo
	v_cmpx_ne_u32_e32 0, v10
	s_cbranch_execz .LBB2_4044
; %bb.4039:                             ;   in Loop: Header=BB2_3892 Depth=2
	v_bfe_u32 v11, v10, 23, 8
	v_and_b32_e32 v12, 0x7fffff, v10
	s_delay_alu instid0(VALU_DEP_2) | instskip(SKIP_1) | instid1(VALU_DEP_3)
	v_sub_nc_u32_e32 v114, 0x78, v11
	v_cmp_gt_u32_e32 vcc_lo, 0x79, v11
	v_or_b32_e32 v115, 0x800000, v12
	s_delay_alu instid0(VALU_DEP_3) | instskip(SKIP_2) | instid1(VALU_DEP_3)
	v_cndmask_b32_e32 v114, 0, v114, vcc_lo
	v_cmp_eq_u32_e32 vcc_lo, 0, v11
	v_add_nc_u32_e32 v11, 0xffffff89, v11
	v_cndmask_b32_e64 v114, v114, 0x77, vcc_lo
	v_cndmask_b32_e32 v12, v115, v12, vcc_lo
	s_delay_alu instid0(VALU_DEP_3) | instskip(NEXT) | instid1(VALU_DEP_3)
	v_cndmask_b32_e64 v11, v11, 0xffffff8a, vcc_lo
	v_lshl_add_u32 v115, 0x100000, v114, -1
	s_delay_alu instid0(VALU_DEP_3) | instskip(SKIP_1) | instid1(VALU_DEP_4)
	v_lshrrev_b32_e32 v116, v114, v12
	v_lshlrev_b32_e64 v118, v114, 0x80000
	v_add_nc_u32_e32 v114, v114, v11
	s_delay_alu instid0(VALU_DEP_4) | instskip(NEXT) | instid1(VALU_DEP_4)
	v_and_b32_e32 v12, v115, v12
	v_bfe_u32 v117, v116, 20, 1
	s_delay_alu instid0(VALU_DEP_2) | instskip(NEXT) | instid1(VALU_DEP_2)
	v_cmp_eq_u32_e64 s10, v12, v118
	v_add_nc_u32_e32 v115, -1, v117
	s_delay_alu instid0(VALU_DEP_1) | instskip(SKIP_2) | instid1(VALU_DEP_2)
	v_cndmask_b32_e64 v12, 0, v115, s10
	v_lshrrev_b32_e32 v115, 23, v116
	s_mov_b32 s10, exec_lo
	v_add_nc_u32_e32 v12, v12, v116
	s_delay_alu instid0(VALU_DEP_2) | instskip(NEXT) | instid1(VALU_DEP_2)
	v_xor_b32_e32 v115, 1, v115
	v_and_b32_e32 v11, 0xfffff, v12
	s_delay_alu instid0(VALU_DEP_1) | instskip(NEXT) | instid1(VALU_DEP_3)
	v_add_nc_u32_e32 v12, v11, v116
                                        ; implicit-def: $vgpr11
	v_cmpx_ne_u32_e64 v114, v115
	s_xor_b32 s10, exec_lo, s10
; %bb.4040:                             ;   in Loop: Header=BB2_3892 Depth=2
	s_delay_alu instid0(VALU_DEP_2) | instskip(SKIP_2) | instid1(VALU_DEP_2)
	v_cmp_lt_u32_e32 vcc_lo, 0xffffff, v12
	v_sub_nc_u32_e32 v11, v114, v115
	v_cndmask_b32_e64 v114, 0, 1, vcc_lo
	v_add_co_ci_u32_e32 v11, vcc_lo, 0, v11, vcc_lo
	s_delay_alu instid0(VALU_DEP_2)
	v_lshrrev_b32_e32 v12, v114, v12
; %bb.4041:                             ;   in Loop: Header=BB2_3892 Depth=2
	s_and_not1_saveexec_b32 s10, s10
; %bb.4042:                             ;   in Loop: Header=BB2_3892 Depth=2
	s_delay_alu instid0(VALU_DEP_1)
	v_bfe_u32 v11, v12, 23, 1
; %bb.4043:                             ;   in Loop: Header=BB2_3892 Depth=2
	s_or_b32 exec_lo, exec_lo, s10
	v_lshrrev_b32_e32 v12, 20, v12
	s_delay_alu instid0(VALU_DEP_2) | instskip(SKIP_2) | instid1(VALU_DEP_4)
	v_cmp_gt_i32_e32 vcc_lo, 16, v11
	v_lshrrev_b32_e32 v10, 24, v10
	v_min_i32_e32 v114, 15, v11
	v_cndmask_b32_e32 v12, 7, v12, vcc_lo
	s_delay_alu instid0(VALU_DEP_3) | instskip(NEXT) | instid1(VALU_DEP_3)
	v_and_b32_e32 v10, 0x80, v10
	v_lshlrev_b32_e32 v114, 3, v114
	s_delay_alu instid0(VALU_DEP_3) | instskip(NEXT) | instid1(VALU_DEP_1)
	v_or_b32_e32 v11, v11, v12
	v_cmp_ne_u32_e32 vcc_lo, 0, v11
	v_and_b32_e32 v115, 7, v12
	s_delay_alu instid0(VALU_DEP_1) | instskip(NEXT) | instid1(VALU_DEP_1)
	v_or3_b32 v10, v114, v10, v115
	v_cndmask_b32_e32 v114, 0, v10, vcc_lo
.LBB2_4044:                             ;   in Loop: Header=BB2_3892 Depth=2
	s_or_b32 exec_lo, exec_lo, s24
.LBB2_4045:                             ;   in Loop: Header=BB2_3892 Depth=2
	s_delay_alu instid0(SALU_CYCLE_1) | instskip(SKIP_3) | instid1(VALU_DEP_1)
	s_or_b32 exec_lo, exec_lo, s23
	v_and_b32_e32 v11, 0xff, v13
	s_mov_b32 s10, 0
	s_mov_b32 s24, exec_lo
                                        ; implicit-def: $sgpr23
	v_cmpx_lt_i16_e32 0x7f, v11
	s_xor_b32 s24, exec_lo, s24
	s_cbranch_execnz .LBB2_4331
; %bb.4046:                             ;   in Loop: Header=BB2_3892 Depth=2
	s_or_saveexec_b32 s24, s24
	v_mov_b32_e32 v10, s23
	s_xor_b32 exec_lo, exec_lo, s24
	s_cbranch_execnz .LBB2_4334
.LBB2_4047:                             ;   in Loop: Header=BB2_3892 Depth=2
	s_or_b32 exec_lo, exec_lo, s24
	s_and_saveexec_b32 s23, s10
	s_cbranch_execz .LBB2_4049
.LBB2_4048:                             ;   in Loop: Header=BB2_3892 Depth=2
	v_bfe_u32 v115, v13, 3, 4
	v_lshlrev_b32_e32 v116, 24, v13
	s_delay_alu instid0(VALU_DEP_2) | instskip(SKIP_1) | instid1(VALU_DEP_1)
	v_cmp_eq_u32_e32 vcc_lo, 0, v115
	v_and_b32_e32 v10, 7, v13
	v_clz_i32_u32_e32 v11, v10
	s_delay_alu instid0(VALU_DEP_1) | instskip(NEXT) | instid1(VALU_DEP_1)
	v_min_u32_e32 v11, 32, v11
	v_subrev_nc_u32_e32 v12, 28, v11
	v_sub_nc_u32_e32 v11, 29, v11
	s_delay_alu instid0(VALU_DEP_1) | instskip(NEXT) | instid1(VALU_DEP_1)
	v_dual_cndmask_b32 v11, v115, v11 :: v_dual_lshlrev_b32 v12, v12, v13
	v_and_b32_e32 v12, 7, v12
	s_delay_alu instid0(VALU_DEP_2) | instskip(NEXT) | instid1(VALU_DEP_2)
	v_lshl_add_u32 v11, v11, 23, 0x3b800000
	v_cndmask_b32_e32 v10, v10, v12, vcc_lo
	v_and_b32_e32 v12, 0x80000000, v116
	s_delay_alu instid0(VALU_DEP_2) | instskip(NEXT) | instid1(VALU_DEP_1)
	v_lshlrev_b32_e32 v10, 20, v10
	v_or3_b32 v10, v12, v11, v10
.LBB2_4049:                             ;   in Loop: Header=BB2_3892 Depth=2
	s_or_b32 exec_lo, exec_lo, s23
	s_delay_alu instid0(VALU_DEP_1) | instskip(SKIP_1) | instid1(VALU_DEP_1)
	v_dual_mul_f32 v10, s22, v10 :: v_dual_mov_b32 v115, 0x80
	s_mov_b32 s23, exec_lo
	v_and_b32_e32 v11, 0x7f800000, v10
	s_delay_alu instid0(VALU_DEP_1)
	v_cmpx_ne_u32_e32 0x7f800000, v11
	s_cbranch_execz .LBB2_4057
; %bb.4050:                             ;   in Loop: Header=BB2_3892 Depth=2
	v_mov_b32_e32 v115, 0
	s_mov_b32 s24, exec_lo
	v_cmpx_ne_u32_e32 0, v10
	s_cbranch_execz .LBB2_4056
; %bb.4051:                             ;   in Loop: Header=BB2_3892 Depth=2
	v_bfe_u32 v11, v10, 23, 8
	s_delay_alu instid0(VALU_DEP_1) | instskip(SKIP_1) | instid1(VALU_DEP_2)
	v_sub_nc_u32_e32 v115, 0x78, v11
	v_cmp_gt_u32_e32 vcc_lo, 0x79, v11
	v_dual_cndmask_b32 v115, 0, v115 :: v_dual_and_b32 v12, 0x7fffff, v10
	s_delay_alu instid0(VALU_DEP_1) | instskip(SKIP_2) | instid1(VALU_DEP_4)
	v_or_b32_e32 v116, 0x800000, v12
	v_cmp_eq_u32_e32 vcc_lo, 0, v11
	v_add_nc_u32_e32 v11, 0xffffff89, v11
	v_cndmask_b32_e64 v115, v115, 0x77, vcc_lo
	s_delay_alu instid0(VALU_DEP_4) | instskip(NEXT) | instid1(VALU_DEP_3)
	v_cndmask_b32_e32 v12, v116, v12, vcc_lo
	v_cndmask_b32_e64 v11, v11, 0xffffff8a, vcc_lo
	s_delay_alu instid0(VALU_DEP_3) | instskip(NEXT) | instid1(VALU_DEP_3)
	v_lshl_add_u32 v116, 0x100000, v115, -1
	v_lshrrev_b32_e32 v117, v115, v12
	v_lshlrev_b32_e64 v119, v115, 0x80000
	s_delay_alu instid0(VALU_DEP_4) | instskip(NEXT) | instid1(VALU_DEP_4)
	v_add_nc_u32_e32 v115, v115, v11
	v_and_b32_e32 v12, v116, v12
	s_delay_alu instid0(VALU_DEP_4) | instskip(NEXT) | instid1(VALU_DEP_2)
	v_bfe_u32 v118, v117, 20, 1
	v_cmp_eq_u32_e64 s10, v12, v119
	s_delay_alu instid0(VALU_DEP_2) | instskip(NEXT) | instid1(VALU_DEP_1)
	v_add_nc_u32_e32 v116, -1, v118
	v_cndmask_b32_e64 v12, 0, v116, s10
	v_lshrrev_b32_e32 v116, 23, v117
	s_mov_b32 s10, exec_lo
	s_delay_alu instid0(VALU_DEP_2) | instskip(NEXT) | instid1(VALU_DEP_2)
	v_add_nc_u32_e32 v12, v12, v117
	v_xor_b32_e32 v116, 1, v116
	s_delay_alu instid0(VALU_DEP_2) | instskip(NEXT) | instid1(VALU_DEP_1)
	v_and_b32_e32 v11, 0xfffff, v12
	v_add_nc_u32_e32 v12, v11, v117
                                        ; implicit-def: $vgpr11
	s_delay_alu instid0(VALU_DEP_3)
	v_cmpx_ne_u32_e64 v115, v116
	s_xor_b32 s10, exec_lo, s10
; %bb.4052:                             ;   in Loop: Header=BB2_3892 Depth=2
	s_delay_alu instid0(VALU_DEP_2) | instskip(SKIP_2) | instid1(VALU_DEP_2)
	v_cmp_lt_u32_e32 vcc_lo, 0xffffff, v12
	v_sub_nc_u32_e32 v11, v115, v116
	v_cndmask_b32_e64 v115, 0, 1, vcc_lo
	v_add_co_ci_u32_e32 v11, vcc_lo, 0, v11, vcc_lo
	s_delay_alu instid0(VALU_DEP_2)
	v_lshrrev_b32_e32 v12, v115, v12
; %bb.4053:                             ;   in Loop: Header=BB2_3892 Depth=2
	s_and_not1_saveexec_b32 s10, s10
; %bb.4054:                             ;   in Loop: Header=BB2_3892 Depth=2
	s_delay_alu instid0(VALU_DEP_1)
	v_bfe_u32 v11, v12, 23, 1
; %bb.4055:                             ;   in Loop: Header=BB2_3892 Depth=2
	s_or_b32 exec_lo, exec_lo, s10
	v_lshrrev_b32_e32 v12, 20, v12
	s_delay_alu instid0(VALU_DEP_2) | instskip(SKIP_2) | instid1(VALU_DEP_2)
	v_cmp_gt_i32_e32 vcc_lo, 16, v11
	v_min_i32_e32 v115, 15, v11
	v_lshrrev_b32_e32 v10, 24, v10
	v_dual_cndmask_b32 v12, 7, v12 :: v_dual_lshlrev_b32 v115, 3, v115
	s_delay_alu instid0(VALU_DEP_2) | instskip(NEXT) | instid1(VALU_DEP_2)
	v_and_b32_e32 v10, 0x80, v10
	v_or_b32_e32 v11, v11, v12
	s_delay_alu instid0(VALU_DEP_3) | instskip(NEXT) | instid1(VALU_DEP_2)
	v_and_b32_e32 v115, 0xf8, v115
	v_cmp_ne_u32_e32 vcc_lo, 0, v11
	v_and_b32_e32 v116, 7, v12
	s_delay_alu instid0(VALU_DEP_1) | instskip(NEXT) | instid1(VALU_DEP_1)
	v_or3_b32 v10, v115, v10, v116
	v_cndmask_b32_e32 v115, 0, v10, vcc_lo
.LBB2_4056:                             ;   in Loop: Header=BB2_3892 Depth=2
	s_or_b32 exec_lo, exec_lo, s24
.LBB2_4057:                             ;   in Loop: Header=BB2_3892 Depth=2
	s_delay_alu instid0(SALU_CYCLE_1) | instskip(SKIP_3) | instid1(VALU_DEP_1)
	s_or_b32 exec_lo, exec_lo, s23
	v_lshrrev_b16 v10, 8, v13
	s_mov_b32 s10, 0
	s_mov_b32 s24, exec_lo
                                        ; implicit-def: $sgpr23
	v_cmpx_lt_i16_e32 0x7f, v10
	s_xor_b32 s24, exec_lo, s24
	s_cbranch_execnz .LBB2_4335
; %bb.4058:                             ;   in Loop: Header=BB2_3892 Depth=2
	s_or_saveexec_b32 s24, s24
	v_mov_b32_e32 v11, s23
	s_xor_b32 exec_lo, exec_lo, s24
	s_cbranch_execnz .LBB2_4338
.LBB2_4059:                             ;   in Loop: Header=BB2_3892 Depth=2
	s_or_b32 exec_lo, exec_lo, s24
	s_and_saveexec_b32 s23, s10
	s_cbranch_execz .LBB2_4061
.LBB2_4060:                             ;   in Loop: Header=BB2_3892 Depth=2
	v_and_b32_e32 v11, 0xffff, v10
	v_lshlrev_b32_e32 v10, 24, v10
	s_delay_alu instid0(VALU_DEP_2) | instskip(NEXT) | instid1(VALU_DEP_2)
	v_and_b32_e32 v12, 7, v11
	v_and_b32_e32 v10, 0x80000000, v10
	s_delay_alu instid0(VALU_DEP_2) | instskip(NEXT) | instid1(VALU_DEP_1)
	v_clz_i32_u32_e32 v116, v12
	v_min_u32_e32 v116, 32, v116
	s_delay_alu instid0(VALU_DEP_1) | instskip(SKIP_1) | instid1(VALU_DEP_2)
	v_subrev_nc_u32_e32 v117, 28, v116
	v_sub_nc_u32_e32 v116, 29, v116
	v_lshlrev_b32_e32 v117, v117, v11
	v_bfe_u32 v11, v11, 3, 4
	s_delay_alu instid0(VALU_DEP_2) | instskip(NEXT) | instid1(VALU_DEP_2)
	v_and_b32_e32 v117, 7, v117
	v_cmp_eq_u32_e32 vcc_lo, 0, v11
	s_delay_alu instid0(VALU_DEP_2) | instskip(NEXT) | instid1(VALU_DEP_1)
	v_dual_cndmask_b32 v11, v11, v116 :: v_dual_cndmask_b32 v12, v12, v117
	v_lshl_add_u32 v11, v11, 23, 0x3b800000
	s_delay_alu instid0(VALU_DEP_2) | instskip(NEXT) | instid1(VALU_DEP_1)
	v_lshlrev_b32_e32 v12, 20, v12
	v_or3_b32 v11, v10, v11, v12
.LBB2_4061:                             ;   in Loop: Header=BB2_3892 Depth=2
	s_or_b32 exec_lo, exec_lo, s23
	s_delay_alu instid0(VALU_DEP_1) | instskip(SKIP_2) | instid1(VALU_DEP_2)
	v_mul_f32_e32 v10, s22, v11
	v_mov_b32_e32 v116, 0x8000
	s_mov_b32 s23, exec_lo
	v_and_b32_e32 v11, 0x7f800000, v10
	s_delay_alu instid0(VALU_DEP_1)
	v_cmpx_ne_u32_e32 0x7f800000, v11
	s_cbranch_execz .LBB2_4069
; %bb.4062:                             ;   in Loop: Header=BB2_3892 Depth=2
	v_mov_b32_e32 v116, 0
	s_mov_b32 s24, exec_lo
	v_cmpx_ne_u32_e32 0, v10
	s_cbranch_execz .LBB2_4068
; %bb.4063:                             ;   in Loop: Header=BB2_3892 Depth=2
	v_bfe_u32 v11, v10, 23, 8
	v_and_b32_e32 v12, 0x7fffff, v10
	s_delay_alu instid0(VALU_DEP_2) | instskip(SKIP_1) | instid1(VALU_DEP_3)
	v_sub_nc_u32_e32 v116, 0x78, v11
	v_cmp_gt_u32_e32 vcc_lo, 0x79, v11
	v_or_b32_e32 v117, 0x800000, v12
	s_delay_alu instid0(VALU_DEP_3) | instskip(SKIP_2) | instid1(VALU_DEP_3)
	v_cndmask_b32_e32 v116, 0, v116, vcc_lo
	v_cmp_eq_u32_e32 vcc_lo, 0, v11
	v_add_nc_u32_e32 v11, 0xffffff89, v11
	v_cndmask_b32_e64 v116, v116, 0x77, vcc_lo
	v_cndmask_b32_e32 v12, v117, v12, vcc_lo
	s_delay_alu instid0(VALU_DEP_3) | instskip(NEXT) | instid1(VALU_DEP_3)
	v_cndmask_b32_e64 v11, v11, 0xffffff8a, vcc_lo
	v_lshl_add_u32 v117, 0x100000, v116, -1
	s_delay_alu instid0(VALU_DEP_3) | instskip(SKIP_1) | instid1(VALU_DEP_4)
	v_lshrrev_b32_e32 v118, v116, v12
	v_lshlrev_b32_e64 v128, v116, 0x80000
	v_add_nc_u32_e32 v116, v116, v11
	s_delay_alu instid0(VALU_DEP_4) | instskip(NEXT) | instid1(VALU_DEP_4)
	v_and_b32_e32 v12, v117, v12
	v_bfe_u32 v119, v118, 20, 1
	s_delay_alu instid0(VALU_DEP_2) | instskip(NEXT) | instid1(VALU_DEP_2)
	v_cmp_eq_u32_e64 s10, v12, v128
	v_add_nc_u32_e32 v117, -1, v119
	s_delay_alu instid0(VALU_DEP_1) | instskip(SKIP_2) | instid1(VALU_DEP_2)
	v_cndmask_b32_e64 v12, 0, v117, s10
	v_lshrrev_b32_e32 v117, 23, v118
	s_mov_b32 s10, exec_lo
	v_add_nc_u32_e32 v12, v12, v118
	s_delay_alu instid0(VALU_DEP_2) | instskip(NEXT) | instid1(VALU_DEP_2)
	v_xor_b32_e32 v117, 1, v117
	v_and_b32_e32 v11, 0xfffff, v12
	s_delay_alu instid0(VALU_DEP_1) | instskip(NEXT) | instid1(VALU_DEP_3)
	v_add_nc_u32_e32 v12, v11, v118
                                        ; implicit-def: $vgpr11
	v_cmpx_ne_u32_e64 v116, v117
	s_xor_b32 s10, exec_lo, s10
; %bb.4064:                             ;   in Loop: Header=BB2_3892 Depth=2
	s_delay_alu instid0(VALU_DEP_2) | instskip(SKIP_2) | instid1(VALU_DEP_2)
	v_cmp_lt_u32_e32 vcc_lo, 0xffffff, v12
	v_sub_nc_u32_e32 v11, v116, v117
	v_cndmask_b32_e64 v116, 0, 1, vcc_lo
	v_add_co_ci_u32_e32 v11, vcc_lo, 0, v11, vcc_lo
	s_delay_alu instid0(VALU_DEP_2)
	v_lshrrev_b32_e32 v12, v116, v12
; %bb.4065:                             ;   in Loop: Header=BB2_3892 Depth=2
	s_and_not1_saveexec_b32 s10, s10
; %bb.4066:                             ;   in Loop: Header=BB2_3892 Depth=2
	s_delay_alu instid0(VALU_DEP_1)
	v_bfe_u32 v11, v12, 23, 1
; %bb.4067:                             ;   in Loop: Header=BB2_3892 Depth=2
	s_or_b32 exec_lo, exec_lo, s10
	v_lshrrev_b32_e32 v12, 20, v12
	s_delay_alu instid0(VALU_DEP_2) | instskip(SKIP_2) | instid1(VALU_DEP_4)
	v_cmp_gt_i32_e32 vcc_lo, 16, v11
	v_min_i32_e32 v116, 15, v11
	v_lshrrev_b32_e32 v10, 24, v10
	v_cndmask_b32_e32 v12, 7, v12, vcc_lo
	s_delay_alu instid0(VALU_DEP_3) | instskip(NEXT) | instid1(VALU_DEP_3)
	v_lshlrev_b32_e32 v116, 3, v116
	v_and_b32_e32 v10, 0x80, v10
	s_delay_alu instid0(VALU_DEP_3) | instskip(NEXT) | instid1(VALU_DEP_3)
	v_or_b32_e32 v11, v11, v12
	v_and_b32_e32 v116, 0xf8, v116
	s_delay_alu instid0(VALU_DEP_2) | instskip(SKIP_1) | instid1(VALU_DEP_1)
	v_cmp_ne_u32_e32 vcc_lo, 0, v11
	v_and_b32_e32 v117, 7, v12
	v_or3_b32 v10, v10, v116, v117
	s_delay_alu instid0(VALU_DEP_1) | instskip(NEXT) | instid1(VALU_DEP_1)
	v_lshlrev_b32_e32 v10, 8, v10
	v_cndmask_b32_e32 v116, 0, v10, vcc_lo
.LBB2_4068:                             ;   in Loop: Header=BB2_3892 Depth=2
	s_or_b32 exec_lo, exec_lo, s24
.LBB2_4069:                             ;   in Loop: Header=BB2_3892 Depth=2
	s_delay_alu instid0(SALU_CYCLE_1) | instskip(SKIP_3) | instid1(VALU_DEP_1)
	s_or_b32 exec_lo, exec_lo, s23
	v_lshrrev_b32_e32 v10, 16, v13
	s_mov_b32 s10, 0
	s_mov_b32 s24, exec_lo
                                        ; implicit-def: $sgpr23
	v_and_b32_e32 v12, 0xff, v10
	s_delay_alu instid0(VALU_DEP_1)
	v_cmpx_lt_i16_e32 0x7f, v12
	s_xor_b32 s24, exec_lo, s24
	s_cbranch_execnz .LBB2_4339
; %bb.4070:                             ;   in Loop: Header=BB2_3892 Depth=2
	s_or_saveexec_b32 s24, s24
	v_mov_b32_e32 v11, s23
	s_xor_b32 exec_lo, exec_lo, s24
	s_cbranch_execnz .LBB2_4342
.LBB2_4071:                             ;   in Loop: Header=BB2_3892 Depth=2
	s_or_b32 exec_lo, exec_lo, s24
	s_and_saveexec_b32 s23, s10
	s_cbranch_execz .LBB2_4073
.LBB2_4072:                             ;   in Loop: Header=BB2_3892 Depth=2
	v_bfe_u32 v11, v13, 16, 3
	v_lshlrev_b32_e32 v118, 8, v13
	s_delay_alu instid0(VALU_DEP_2) | instskip(NEXT) | instid1(VALU_DEP_1)
	v_clz_i32_u32_e32 v12, v11
	v_min_u32_e32 v12, 32, v12
	s_delay_alu instid0(VALU_DEP_1) | instskip(SKIP_1) | instid1(VALU_DEP_2)
	v_subrev_nc_u32_e32 v117, 28, v12
	v_sub_nc_u32_e32 v12, 29, v12
	v_lshlrev_b32_e32 v10, v117, v10
	v_bfe_u32 v117, v13, 19, 4
	s_delay_alu instid0(VALU_DEP_2) | instskip(NEXT) | instid1(VALU_DEP_2)
	v_and_b32_e32 v10, 7, v10
	v_cmp_eq_u32_e32 vcc_lo, 0, v117
	v_cndmask_b32_e32 v12, v117, v12, vcc_lo
	s_delay_alu instid0(VALU_DEP_3) | instskip(SKIP_1) | instid1(VALU_DEP_3)
	v_cndmask_b32_e32 v10, v11, v10, vcc_lo
	v_and_b32_e32 v11, 0x80000000, v118
	v_lshl_add_u32 v12, v12, 23, 0x3b800000
	s_delay_alu instid0(VALU_DEP_3) | instskip(NEXT) | instid1(VALU_DEP_1)
	v_lshlrev_b32_e32 v10, 20, v10
	v_or3_b32 v11, v11, v12, v10
.LBB2_4073:                             ;   in Loop: Header=BB2_3892 Depth=2
	s_or_b32 exec_lo, exec_lo, s23
	s_delay_alu instid0(VALU_DEP_1) | instskip(SKIP_1) | instid1(VALU_DEP_1)
	v_dual_mul_f32 v10, s22, v11 :: v_dual_mov_b32 v117, 0x80
	s_mov_b32 s23, exec_lo
	v_and_b32_e32 v11, 0x7f800000, v10
	s_delay_alu instid0(VALU_DEP_1)
	v_cmpx_ne_u32_e32 0x7f800000, v11
	s_cbranch_execz .LBB2_4081
; %bb.4074:                             ;   in Loop: Header=BB2_3892 Depth=2
	v_mov_b32_e32 v117, 0
	s_mov_b32 s24, exec_lo
	v_cmpx_ne_u32_e32 0, v10
	s_cbranch_execz .LBB2_4080
; %bb.4075:                             ;   in Loop: Header=BB2_3892 Depth=2
	v_bfe_u32 v11, v10, 23, 8
	s_delay_alu instid0(VALU_DEP_1) | instskip(SKIP_1) | instid1(VALU_DEP_2)
	v_sub_nc_u32_e32 v117, 0x78, v11
	v_cmp_gt_u32_e32 vcc_lo, 0x79, v11
	v_dual_cndmask_b32 v117, 0, v117 :: v_dual_and_b32 v12, 0x7fffff, v10
	s_delay_alu instid0(VALU_DEP_1) | instskip(SKIP_2) | instid1(VALU_DEP_4)
	v_or_b32_e32 v118, 0x800000, v12
	v_cmp_eq_u32_e32 vcc_lo, 0, v11
	v_add_nc_u32_e32 v11, 0xffffff89, v11
	v_cndmask_b32_e64 v117, v117, 0x77, vcc_lo
	s_delay_alu instid0(VALU_DEP_4) | instskip(NEXT) | instid1(VALU_DEP_3)
	v_cndmask_b32_e32 v12, v118, v12, vcc_lo
	v_cndmask_b32_e64 v11, v11, 0xffffff8a, vcc_lo
	s_delay_alu instid0(VALU_DEP_3) | instskip(NEXT) | instid1(VALU_DEP_3)
	v_lshl_add_u32 v118, 0x100000, v117, -1
	v_lshrrev_b32_e32 v119, v117, v12
	v_lshlrev_b32_e64 v129, v117, 0x80000
	s_delay_alu instid0(VALU_DEP_4) | instskip(NEXT) | instid1(VALU_DEP_4)
	v_add_nc_u32_e32 v117, v117, v11
	v_and_b32_e32 v12, v118, v12
	s_delay_alu instid0(VALU_DEP_4) | instskip(NEXT) | instid1(VALU_DEP_2)
	v_bfe_u32 v128, v119, 20, 1
	v_cmp_eq_u32_e64 s10, v12, v129
	s_delay_alu instid0(VALU_DEP_2) | instskip(NEXT) | instid1(VALU_DEP_1)
	v_add_nc_u32_e32 v118, -1, v128
	v_cndmask_b32_e64 v12, 0, v118, s10
	v_lshrrev_b32_e32 v118, 23, v119
	s_mov_b32 s10, exec_lo
	s_delay_alu instid0(VALU_DEP_2) | instskip(NEXT) | instid1(VALU_DEP_2)
	v_add_nc_u32_e32 v12, v12, v119
	v_xor_b32_e32 v118, 1, v118
	s_delay_alu instid0(VALU_DEP_2) | instskip(NEXT) | instid1(VALU_DEP_1)
	v_and_b32_e32 v11, 0xfffff, v12
	v_add_nc_u32_e32 v12, v11, v119
                                        ; implicit-def: $vgpr11
	s_delay_alu instid0(VALU_DEP_3)
	v_cmpx_ne_u32_e64 v117, v118
	s_xor_b32 s10, exec_lo, s10
; %bb.4076:                             ;   in Loop: Header=BB2_3892 Depth=2
	s_delay_alu instid0(VALU_DEP_2) | instskip(SKIP_2) | instid1(VALU_DEP_2)
	v_cmp_lt_u32_e32 vcc_lo, 0xffffff, v12
	v_sub_nc_u32_e32 v11, v117, v118
	v_cndmask_b32_e64 v117, 0, 1, vcc_lo
	v_add_co_ci_u32_e32 v11, vcc_lo, 0, v11, vcc_lo
	s_delay_alu instid0(VALU_DEP_2)
	v_lshrrev_b32_e32 v12, v117, v12
; %bb.4077:                             ;   in Loop: Header=BB2_3892 Depth=2
	s_and_not1_saveexec_b32 s10, s10
; %bb.4078:                             ;   in Loop: Header=BB2_3892 Depth=2
	s_delay_alu instid0(VALU_DEP_1)
	v_bfe_u32 v11, v12, 23, 1
; %bb.4079:                             ;   in Loop: Header=BB2_3892 Depth=2
	s_or_b32 exec_lo, exec_lo, s10
	v_lshrrev_b32_e32 v12, 20, v12
	s_delay_alu instid0(VALU_DEP_2) | instskip(SKIP_2) | instid1(VALU_DEP_2)
	v_cmp_gt_i32_e32 vcc_lo, 16, v11
	v_min_i32_e32 v117, 15, v11
	v_lshrrev_b32_e32 v10, 24, v10
	v_dual_cndmask_b32 v12, 7, v12 :: v_dual_lshlrev_b32 v117, 3, v117
	s_delay_alu instid0(VALU_DEP_2) | instskip(NEXT) | instid1(VALU_DEP_2)
	v_and_b32_e32 v10, 0x80, v10
	v_or_b32_e32 v11, v11, v12
	s_delay_alu instid0(VALU_DEP_3) | instskip(NEXT) | instid1(VALU_DEP_2)
	v_and_b32_e32 v117, 0xf8, v117
	v_cmp_ne_u32_e32 vcc_lo, 0, v11
	v_and_b32_e32 v118, 7, v12
	s_delay_alu instid0(VALU_DEP_1) | instskip(NEXT) | instid1(VALU_DEP_1)
	v_or3_b32 v10, v117, v10, v118
	v_cndmask_b32_e32 v117, 0, v10, vcc_lo
.LBB2_4080:                             ;   in Loop: Header=BB2_3892 Depth=2
	s_or_b32 exec_lo, exec_lo, s24
.LBB2_4081:                             ;   in Loop: Header=BB2_3892 Depth=2
	s_delay_alu instid0(SALU_CYCLE_1) | instskip(SKIP_3) | instid1(VALU_DEP_1)
	s_or_b32 exec_lo, exec_lo, s23
	v_lshrrev_b32_e32 v10, 24, v13
	s_mov_b32 s10, 0
	s_mov_b32 s24, exec_lo
                                        ; implicit-def: $sgpr23
	v_cmpx_lt_i16_e32 0x7f, v10
	s_xor_b32 s24, exec_lo, s24
	s_cbranch_execnz .LBB2_4343
; %bb.4082:                             ;   in Loop: Header=BB2_3892 Depth=2
	s_or_saveexec_b32 s24, s24
	v_mov_b32_e32 v11, s23
	s_xor_b32 exec_lo, exec_lo, s24
	s_cbranch_execnz .LBB2_4346
.LBB2_4083:                             ;   in Loop: Header=BB2_3892 Depth=2
	s_or_b32 exec_lo, exec_lo, s24
	s_and_saveexec_b32 s23, s10
	s_cbranch_execz .LBB2_4085
.LBB2_4084:                             ;   in Loop: Header=BB2_3892 Depth=2
	v_bfe_u32 v11, v13, 24, 3
	s_delay_alu instid0(VALU_DEP_1) | instskip(NEXT) | instid1(VALU_DEP_1)
	v_clz_i32_u32_e32 v12, v11
	v_min_u32_e32 v12, 32, v12
	s_delay_alu instid0(VALU_DEP_1) | instskip(SKIP_1) | instid1(VALU_DEP_2)
	v_subrev_nc_u32_e32 v118, 28, v12
	v_sub_nc_u32_e32 v12, 29, v12
	v_lshlrev_b32_e32 v10, v118, v10
	v_bfe_u32 v118, v13, 27, 4
	s_delay_alu instid0(VALU_DEP_2) | instskip(NEXT) | instid1(VALU_DEP_2)
	v_and_b32_e32 v10, 7, v10
	v_cmp_eq_u32_e32 vcc_lo, 0, v118
	v_cndmask_b32_e32 v12, v118, v12, vcc_lo
	s_delay_alu instid0(VALU_DEP_3) | instskip(NEXT) | instid1(VALU_DEP_2)
	v_dual_cndmask_b32 v10, v11, v10 :: v_dual_and_b32 v11, 0x80000000, v13
	v_lshl_add_u32 v12, v12, 23, 0x3b800000
	s_delay_alu instid0(VALU_DEP_2) | instskip(NEXT) | instid1(VALU_DEP_1)
	v_lshlrev_b32_e32 v10, 20, v10
	v_or3_b32 v11, v11, v12, v10
.LBB2_4085:                             ;   in Loop: Header=BB2_3892 Depth=2
	s_or_b32 exec_lo, exec_lo, s23
	s_delay_alu instid0(VALU_DEP_1) | instskip(SKIP_2) | instid1(VALU_DEP_2)
	v_mul_f32_e32 v10, s22, v11
	v_mov_b32_e32 v118, 0x8000
	s_mov_b32 s23, exec_lo
	v_and_b32_e32 v11, 0x7f800000, v10
	s_delay_alu instid0(VALU_DEP_1)
	v_cmpx_ne_u32_e32 0x7f800000, v11
	s_cbranch_execz .LBB2_4093
; %bb.4086:                             ;   in Loop: Header=BB2_3892 Depth=2
	v_mov_b32_e32 v118, 0
	s_mov_b32 s24, exec_lo
	v_cmpx_ne_u32_e32 0, v10
	s_cbranch_execz .LBB2_4092
; %bb.4087:                             ;   in Loop: Header=BB2_3892 Depth=2
	v_bfe_u32 v11, v10, 23, 8
	s_delay_alu instid0(VALU_DEP_1) | instskip(SKIP_1) | instid1(VALU_DEP_2)
	v_sub_nc_u32_e32 v13, 0x78, v11
	v_cmp_gt_u32_e32 vcc_lo, 0x79, v11
	v_dual_cndmask_b32 v13, 0, v13 :: v_dual_and_b32 v12, 0x7fffff, v10
	s_delay_alu instid0(VALU_DEP_1) | instskip(SKIP_2) | instid1(VALU_DEP_4)
	v_or_b32_e32 v118, 0x800000, v12
	v_cmp_eq_u32_e32 vcc_lo, 0, v11
	v_add_nc_u32_e32 v11, 0xffffff89, v11
	v_cndmask_b32_e64 v13, v13, 0x77, vcc_lo
	s_delay_alu instid0(VALU_DEP_4) | instskip(NEXT) | instid1(VALU_DEP_3)
	v_cndmask_b32_e32 v12, v118, v12, vcc_lo
	v_cndmask_b32_e64 v11, v11, 0xffffff8a, vcc_lo
	s_delay_alu instid0(VALU_DEP_3) | instskip(NEXT) | instid1(VALU_DEP_3)
	v_lshl_add_u32 v118, 0x100000, v13, -1
	v_lshrrev_b32_e32 v119, v13, v12
	v_lshlrev_b32_e64 v129, v13, 0x80000
	s_delay_alu instid0(VALU_DEP_4) | instskip(NEXT) | instid1(VALU_DEP_4)
	v_add_nc_u32_e32 v13, v13, v11
	v_and_b32_e32 v12, v118, v12
	s_delay_alu instid0(VALU_DEP_4) | instskip(NEXT) | instid1(VALU_DEP_2)
	v_bfe_u32 v128, v119, 20, 1
	v_cmp_eq_u32_e64 s10, v12, v129
	s_delay_alu instid0(VALU_DEP_2) | instskip(NEXT) | instid1(VALU_DEP_1)
	v_add_nc_u32_e32 v118, -1, v128
	v_cndmask_b32_e64 v12, 0, v118, s10
	v_lshrrev_b32_e32 v118, 23, v119
	s_mov_b32 s10, exec_lo
	s_delay_alu instid0(VALU_DEP_2) | instskip(NEXT) | instid1(VALU_DEP_2)
	v_add_nc_u32_e32 v12, v12, v119
	v_xor_b32_e32 v118, 1, v118
	s_delay_alu instid0(VALU_DEP_2) | instskip(NEXT) | instid1(VALU_DEP_1)
	v_and_b32_e32 v11, 0xfffff, v12
	v_add_nc_u32_e32 v12, v11, v119
                                        ; implicit-def: $vgpr11
	s_delay_alu instid0(VALU_DEP_3)
	v_cmpx_ne_u32_e64 v13, v118
	s_xor_b32 s10, exec_lo, s10
; %bb.4088:                             ;   in Loop: Header=BB2_3892 Depth=2
	s_delay_alu instid0(VALU_DEP_2) | instskip(SKIP_2) | instid1(VALU_DEP_2)
	v_cmp_lt_u32_e32 vcc_lo, 0xffffff, v12
	v_sub_nc_u32_e32 v11, v13, v118
	v_cndmask_b32_e64 v13, 0, 1, vcc_lo
	v_add_co_ci_u32_e32 v11, vcc_lo, 0, v11, vcc_lo
	s_delay_alu instid0(VALU_DEP_2)
	v_lshrrev_b32_e32 v12, v13, v12
; %bb.4089:                             ;   in Loop: Header=BB2_3892 Depth=2
	s_and_not1_saveexec_b32 s10, s10
; %bb.4090:                             ;   in Loop: Header=BB2_3892 Depth=2
	s_delay_alu instid0(VALU_DEP_1)
	v_bfe_u32 v11, v12, 23, 1
; %bb.4091:                             ;   in Loop: Header=BB2_3892 Depth=2
	s_or_b32 exec_lo, exec_lo, s10
	v_lshrrev_b32_e32 v12, 20, v12
	s_delay_alu instid0(VALU_DEP_2) | instskip(SKIP_2) | instid1(VALU_DEP_2)
	v_cmp_gt_i32_e32 vcc_lo, 16, v11
	v_min_i32_e32 v13, 15, v11
	v_lshrrev_b32_e32 v10, 24, v10
	v_dual_cndmask_b32 v12, 7, v12 :: v_dual_lshlrev_b32 v13, 3, v13
	s_delay_alu instid0(VALU_DEP_2) | instskip(NEXT) | instid1(VALU_DEP_2)
	v_and_b32_e32 v10, 0x80, v10
	v_or_b32_e32 v11, v11, v12
	v_and_b32_e32 v118, 7, v12
	s_delay_alu instid0(VALU_DEP_2) | instskip(SKIP_1) | instid1(VALU_DEP_1)
	v_cmp_ne_u32_e32 vcc_lo, 0, v11
	v_and_b32_e32 v13, 0xf8, v13
	v_or3_b32 v10, v10, v13, v118
	s_delay_alu instid0(VALU_DEP_1) | instskip(NEXT) | instid1(VALU_DEP_1)
	v_lshlrev_b32_e32 v10, 8, v10
	v_cndmask_b32_e32 v118, 0, v10, vcc_lo
.LBB2_4092:                             ;   in Loop: Header=BB2_3892 Depth=2
	s_or_b32 exec_lo, exec_lo, s24
.LBB2_4093:                             ;   in Loop: Header=BB2_3892 Depth=2
	s_delay_alu instid0(SALU_CYCLE_1)
	s_or_b32 exec_lo, exec_lo, s23
	global_load_b128 v[10:13], v[52:53], off offset:512 slc dlc
	s_mov_b32 s10, 0
	s_mov_b32 s24, exec_lo
                                        ; implicit-def: $sgpr23
	s_waitcnt vmcnt(0)
	v_and_b32_e32 v128, 0xff, v10
	s_delay_alu instid0(VALU_DEP_1)
	v_cmpx_lt_i16_e64 0x7f, v128
	s_xor_b32 s24, exec_lo, s24
	s_cbranch_execnz .LBB2_4347
; %bb.4094:                             ;   in Loop: Header=BB2_3892 Depth=2
	s_or_saveexec_b32 s24, s24
	v_mov_b32_e32 v119, s23
	s_xor_b32 exec_lo, exec_lo, s24
	s_cbranch_execnz .LBB2_4350
.LBB2_4095:                             ;   in Loop: Header=BB2_3892 Depth=2
	s_or_b32 exec_lo, exec_lo, s24
	s_and_saveexec_b32 s23, s10
	s_cbranch_execz .LBB2_4097
.LBB2_4096:                             ;   in Loop: Header=BB2_3892 Depth=2
	v_bfe_u32 v130, v10, 3, 4
	v_lshlrev_b32_e32 v131, 24, v10
	s_delay_alu instid0(VALU_DEP_2) | instskip(SKIP_1) | instid1(VALU_DEP_1)
	v_cmp_eq_u32_e32 vcc_lo, 0, v130
	v_and_b32_e32 v119, 7, v10
	v_clz_i32_u32_e32 v128, v119
	s_delay_alu instid0(VALU_DEP_1) | instskip(NEXT) | instid1(VALU_DEP_1)
	v_min_u32_e32 v128, 32, v128
	v_subrev_nc_u32_e32 v129, 28, v128
	v_sub_nc_u32_e32 v128, 29, v128
	s_delay_alu instid0(VALU_DEP_1) | instskip(NEXT) | instid1(VALU_DEP_1)
	v_dual_cndmask_b32 v128, v130, v128 :: v_dual_lshlrev_b32 v129, v129, v10
	v_and_b32_e32 v129, 7, v129
	s_delay_alu instid0(VALU_DEP_2) | instskip(NEXT) | instid1(VALU_DEP_2)
	v_lshl_add_u32 v128, v128, 23, 0x3b800000
	v_cndmask_b32_e32 v119, v119, v129, vcc_lo
	v_and_b32_e32 v129, 0x80000000, v131
	s_delay_alu instid0(VALU_DEP_2) | instskip(NEXT) | instid1(VALU_DEP_1)
	v_lshlrev_b32_e32 v119, 20, v119
	v_or3_b32 v119, v129, v128, v119
.LBB2_4097:                             ;   in Loop: Header=BB2_3892 Depth=2
	s_or_b32 exec_lo, exec_lo, s23
	s_delay_alu instid0(VALU_DEP_1) | instskip(NEXT) | instid1(VALU_DEP_1)
	v_mul_f32_e32 v128, s22, v119
	v_and_b32_e32 v119, 0x7f800000, v128
	s_delay_alu instid0(VALU_DEP_1)
	v_cmp_ne_u32_e32 vcc_lo, 0x7f800000, v119
	v_mov_b32_e32 v119, 0x80
	s_and_saveexec_b32 s23, vcc_lo
	s_cbranch_execz .LBB2_4105
; %bb.4098:                             ;   in Loop: Header=BB2_3892 Depth=2
	v_mov_b32_e32 v119, 0
	s_mov_b32 s24, exec_lo
	v_cmpx_ne_u32_e32 0, v128
	s_cbranch_execz .LBB2_4104
; %bb.4099:                             ;   in Loop: Header=BB2_3892 Depth=2
	v_bfe_u32 v119, v128, 23, 8
	s_delay_alu instid0(VALU_DEP_1) | instskip(SKIP_1) | instid1(VALU_DEP_2)
	v_sub_nc_u32_e32 v130, 0x78, v119
	v_cmp_gt_u32_e32 vcc_lo, 0x79, v119
	v_dual_cndmask_b32 v130, 0, v130 :: v_dual_and_b32 v129, 0x7fffff, v128
	s_delay_alu instid0(VALU_DEP_1) | instskip(SKIP_2) | instid1(VALU_DEP_4)
	v_or_b32_e32 v131, 0x800000, v129
	v_cmp_eq_u32_e32 vcc_lo, 0, v119
	v_add_nc_u32_e32 v119, 0xffffff89, v119
	v_cndmask_b32_e64 v130, v130, 0x77, vcc_lo
	s_delay_alu instid0(VALU_DEP_2) | instskip(SKIP_1) | instid1(VALU_DEP_3)
	v_cndmask_b32_e64 v119, v119, 0xffffff8a, vcc_lo
	v_cndmask_b32_e32 v129, v131, v129, vcc_lo
	v_lshl_add_u32 v131, 0x100000, v130, -1
	v_lshlrev_b32_e64 v134, v130, 0x80000
	s_delay_alu instid0(VALU_DEP_3) | instskip(SKIP_1) | instid1(VALU_DEP_4)
	v_lshrrev_b32_e32 v132, v130, v129
	v_add_nc_u32_e32 v130, v130, v119
	v_and_b32_e32 v129, v131, v129
	s_delay_alu instid0(VALU_DEP_3) | instskip(NEXT) | instid1(VALU_DEP_2)
	v_bfe_u32 v133, v132, 20, 1
	v_cmp_eq_u32_e64 s10, v129, v134
	s_delay_alu instid0(VALU_DEP_2) | instskip(NEXT) | instid1(VALU_DEP_1)
	v_add_nc_u32_e32 v131, -1, v133
	v_cndmask_b32_e64 v129, 0, v131, s10
	v_lshrrev_b32_e32 v131, 23, v132
	s_mov_b32 s10, exec_lo
	s_delay_alu instid0(VALU_DEP_2) | instskip(NEXT) | instid1(VALU_DEP_2)
	v_add_nc_u32_e32 v129, v129, v132
	v_xor_b32_e32 v131, 1, v131
	s_delay_alu instid0(VALU_DEP_2) | instskip(NEXT) | instid1(VALU_DEP_1)
	v_and_b32_e32 v119, 0xfffff, v129
	v_add_nc_u32_e32 v129, v119, v132
                                        ; implicit-def: $vgpr119
	s_delay_alu instid0(VALU_DEP_3)
	v_cmpx_ne_u32_e64 v130, v131
	s_xor_b32 s10, exec_lo, s10
; %bb.4100:                             ;   in Loop: Header=BB2_3892 Depth=2
	s_delay_alu instid0(VALU_DEP_2) | instskip(SKIP_2) | instid1(VALU_DEP_2)
	v_cmp_lt_u32_e32 vcc_lo, 0xffffff, v129
	v_sub_nc_u32_e32 v119, v130, v131
	v_cndmask_b32_e64 v130, 0, 1, vcc_lo
	v_add_co_ci_u32_e32 v119, vcc_lo, 0, v119, vcc_lo
	s_delay_alu instid0(VALU_DEP_2)
	v_lshrrev_b32_e32 v129, v130, v129
; %bb.4101:                             ;   in Loop: Header=BB2_3892 Depth=2
	s_and_not1_saveexec_b32 s10, s10
; %bb.4102:                             ;   in Loop: Header=BB2_3892 Depth=2
	s_delay_alu instid0(VALU_DEP_1)
	v_bfe_u32 v119, v129, 23, 1
; %bb.4103:                             ;   in Loop: Header=BB2_3892 Depth=2
	s_or_b32 exec_lo, exec_lo, s10
	v_lshrrev_b32_e32 v129, 20, v129
	s_delay_alu instid0(VALU_DEP_2) | instskip(SKIP_2) | instid1(VALU_DEP_2)
	v_cmp_gt_i32_e32 vcc_lo, 16, v119
	v_lshrrev_b32_e32 v128, 24, v128
	v_min_i32_e32 v130, 15, v119
	v_dual_cndmask_b32 v129, 7, v129 :: v_dual_and_b32 v128, 0x80, v128
	s_delay_alu instid0(VALU_DEP_1) | instskip(SKIP_1) | instid1(VALU_DEP_2)
	v_or_b32_e32 v119, v119, v129
	v_and_b32_e32 v131, 7, v129
	v_cmp_ne_u32_e32 vcc_lo, 0, v119
	v_lshlrev_b32_e32 v130, 3, v130
	s_delay_alu instid0(VALU_DEP_1) | instskip(NEXT) | instid1(VALU_DEP_1)
	v_or3_b32 v128, v130, v128, v131
	v_cndmask_b32_e32 v119, 0, v128, vcc_lo
.LBB2_4104:                             ;   in Loop: Header=BB2_3892 Depth=2
	s_or_b32 exec_lo, exec_lo, s24
.LBB2_4105:                             ;   in Loop: Header=BB2_3892 Depth=2
	s_delay_alu instid0(SALU_CYCLE_1) | instskip(SKIP_3) | instid1(VALU_DEP_1)
	s_or_b32 exec_lo, exec_lo, s23
	v_lshrrev_b16 v128, 8, v10
	s_mov_b32 s10, 0
	s_mov_b32 s24, exec_lo
                                        ; implicit-def: $sgpr23
	v_cmpx_lt_i16_e64 0x7f, v128
	s_xor_b32 s24, exec_lo, s24
	s_cbranch_execnz .LBB2_4351
; %bb.4106:                             ;   in Loop: Header=BB2_3892 Depth=2
	s_or_saveexec_b32 s24, s24
	v_mov_b32_e32 v129, s23
	s_xor_b32 exec_lo, exec_lo, s24
	s_cbranch_execnz .LBB2_4354
.LBB2_4107:                             ;   in Loop: Header=BB2_3892 Depth=2
	s_or_b32 exec_lo, exec_lo, s24
	s_and_saveexec_b32 s23, s10
	s_cbranch_execz .LBB2_4109
.LBB2_4108:                             ;   in Loop: Header=BB2_3892 Depth=2
	v_and_b32_e32 v129, 0xffff, v128
	v_lshlrev_b32_e32 v128, 24, v128
	s_delay_alu instid0(VALU_DEP_2) | instskip(NEXT) | instid1(VALU_DEP_2)
	v_and_b32_e32 v130, 7, v129
	v_and_b32_e32 v128, 0x80000000, v128
	s_delay_alu instid0(VALU_DEP_2) | instskip(NEXT) | instid1(VALU_DEP_1)
	v_clz_i32_u32_e32 v131, v130
	v_min_u32_e32 v131, 32, v131
	s_delay_alu instid0(VALU_DEP_1) | instskip(SKIP_1) | instid1(VALU_DEP_2)
	v_subrev_nc_u32_e32 v132, 28, v131
	v_sub_nc_u32_e32 v131, 29, v131
	v_lshlrev_b32_e32 v132, v132, v129
	v_bfe_u32 v129, v129, 3, 4
	s_delay_alu instid0(VALU_DEP_2) | instskip(NEXT) | instid1(VALU_DEP_2)
	v_and_b32_e32 v132, 7, v132
	v_cmp_eq_u32_e32 vcc_lo, 0, v129
	s_delay_alu instid0(VALU_DEP_2) | instskip(NEXT) | instid1(VALU_DEP_1)
	v_dual_cndmask_b32 v129, v129, v131 :: v_dual_cndmask_b32 v130, v130, v132
	v_lshl_add_u32 v129, v129, 23, 0x3b800000
	s_delay_alu instid0(VALU_DEP_2) | instskip(NEXT) | instid1(VALU_DEP_1)
	v_lshlrev_b32_e32 v130, 20, v130
	v_or3_b32 v129, v128, v129, v130
.LBB2_4109:                             ;   in Loop: Header=BB2_3892 Depth=2
	s_or_b32 exec_lo, exec_lo, s23
	s_delay_alu instid0(VALU_DEP_1) | instskip(NEXT) | instid1(VALU_DEP_1)
	v_mul_f32_e32 v129, s22, v129
	v_and_b32_e32 v128, 0x7f800000, v129
	s_delay_alu instid0(VALU_DEP_1)
	v_cmp_ne_u32_e32 vcc_lo, 0x7f800000, v128
	v_mov_b32_e32 v128, 0x80
	s_and_saveexec_b32 s23, vcc_lo
	s_cbranch_execz .LBB2_4117
; %bb.4110:                             ;   in Loop: Header=BB2_3892 Depth=2
	v_mov_b32_e32 v128, 0
	s_mov_b32 s24, exec_lo
	v_cmpx_ne_u32_e32 0, v129
	s_cbranch_execz .LBB2_4116
; %bb.4111:                             ;   in Loop: Header=BB2_3892 Depth=2
	v_bfe_u32 v128, v129, 23, 8
	s_delay_alu instid0(VALU_DEP_1) | instskip(SKIP_1) | instid1(VALU_DEP_2)
	v_sub_nc_u32_e32 v131, 0x78, v128
	v_cmp_gt_u32_e32 vcc_lo, 0x79, v128
	v_dual_cndmask_b32 v131, 0, v131 :: v_dual_and_b32 v130, 0x7fffff, v129
	s_delay_alu instid0(VALU_DEP_1) | instskip(SKIP_2) | instid1(VALU_DEP_4)
	v_or_b32_e32 v132, 0x800000, v130
	v_cmp_eq_u32_e32 vcc_lo, 0, v128
	v_add_nc_u32_e32 v128, 0xffffff89, v128
	v_cndmask_b32_e64 v131, v131, 0x77, vcc_lo
	s_delay_alu instid0(VALU_DEP_2) | instskip(SKIP_1) | instid1(VALU_DEP_3)
	v_cndmask_b32_e64 v128, v128, 0xffffff8a, vcc_lo
	v_cndmask_b32_e32 v130, v132, v130, vcc_lo
	v_lshl_add_u32 v132, 0x100000, v131, -1
	v_lshlrev_b32_e64 v135, v131, 0x80000
	s_delay_alu instid0(VALU_DEP_3) | instskip(SKIP_1) | instid1(VALU_DEP_4)
	v_lshrrev_b32_e32 v133, v131, v130
	v_add_nc_u32_e32 v131, v131, v128
	v_and_b32_e32 v130, v132, v130
	s_delay_alu instid0(VALU_DEP_3) | instskip(NEXT) | instid1(VALU_DEP_2)
	v_bfe_u32 v134, v133, 20, 1
	v_cmp_eq_u32_e64 s10, v130, v135
	s_delay_alu instid0(VALU_DEP_2) | instskip(NEXT) | instid1(VALU_DEP_1)
	v_add_nc_u32_e32 v132, -1, v134
	v_cndmask_b32_e64 v130, 0, v132, s10
	v_lshrrev_b32_e32 v132, 23, v133
	s_mov_b32 s10, exec_lo
	s_delay_alu instid0(VALU_DEP_2) | instskip(NEXT) | instid1(VALU_DEP_2)
	v_add_nc_u32_e32 v130, v130, v133
	v_xor_b32_e32 v132, 1, v132
	s_delay_alu instid0(VALU_DEP_2) | instskip(NEXT) | instid1(VALU_DEP_1)
	v_and_b32_e32 v128, 0xfffff, v130
	v_add_nc_u32_e32 v130, v128, v133
                                        ; implicit-def: $vgpr128
	s_delay_alu instid0(VALU_DEP_3)
	v_cmpx_ne_u32_e64 v131, v132
	s_xor_b32 s10, exec_lo, s10
; %bb.4112:                             ;   in Loop: Header=BB2_3892 Depth=2
	s_delay_alu instid0(VALU_DEP_2) | instskip(SKIP_2) | instid1(VALU_DEP_2)
	v_cmp_lt_u32_e32 vcc_lo, 0xffffff, v130
	v_sub_nc_u32_e32 v128, v131, v132
	v_cndmask_b32_e64 v131, 0, 1, vcc_lo
	v_add_co_ci_u32_e32 v128, vcc_lo, 0, v128, vcc_lo
	s_delay_alu instid0(VALU_DEP_2)
	v_lshrrev_b32_e32 v130, v131, v130
; %bb.4113:                             ;   in Loop: Header=BB2_3892 Depth=2
	s_and_not1_saveexec_b32 s10, s10
; %bb.4114:                             ;   in Loop: Header=BB2_3892 Depth=2
	s_delay_alu instid0(VALU_DEP_1)
	v_bfe_u32 v128, v130, 23, 1
; %bb.4115:                             ;   in Loop: Header=BB2_3892 Depth=2
	s_or_b32 exec_lo, exec_lo, s10
	v_lshrrev_b32_e32 v130, 20, v130
	s_delay_alu instid0(VALU_DEP_2) | instskip(SKIP_2) | instid1(VALU_DEP_2)
	v_cmp_gt_i32_e32 vcc_lo, 16, v128
	v_lshrrev_b32_e32 v129, 24, v129
	v_min_i32_e32 v131, 15, v128
	v_dual_cndmask_b32 v130, 7, v130 :: v_dual_and_b32 v129, 0x80, v129
	s_delay_alu instid0(VALU_DEP_1) | instskip(SKIP_1) | instid1(VALU_DEP_2)
	v_or_b32_e32 v128, v128, v130
	v_and_b32_e32 v132, 7, v130
	v_cmp_ne_u32_e32 vcc_lo, 0, v128
	v_lshlrev_b32_e32 v131, 3, v131
	s_delay_alu instid0(VALU_DEP_1) | instskip(NEXT) | instid1(VALU_DEP_1)
	v_or3_b32 v129, v131, v129, v132
	v_cndmask_b32_e32 v128, 0, v129, vcc_lo
.LBB2_4116:                             ;   in Loop: Header=BB2_3892 Depth=2
	s_or_b32 exec_lo, exec_lo, s24
.LBB2_4117:                             ;   in Loop: Header=BB2_3892 Depth=2
	s_delay_alu instid0(SALU_CYCLE_1) | instskip(SKIP_3) | instid1(VALU_DEP_1)
	s_or_b32 exec_lo, exec_lo, s23
	v_lshrrev_b32_e32 v129, 16, v10
	s_mov_b32 s10, 0
	s_mov_b32 s24, exec_lo
                                        ; implicit-def: $sgpr23
	v_and_b32_e32 v131, 0xff, v129
	s_delay_alu instid0(VALU_DEP_1)
	v_cmpx_lt_i16_e64 0x7f, v131
	s_xor_b32 s24, exec_lo, s24
	s_cbranch_execnz .LBB2_4355
; %bb.4118:                             ;   in Loop: Header=BB2_3892 Depth=2
	s_or_saveexec_b32 s24, s24
	v_mov_b32_e32 v130, s23
	s_xor_b32 exec_lo, exec_lo, s24
	s_cbranch_execnz .LBB2_4358
.LBB2_4119:                             ;   in Loop: Header=BB2_3892 Depth=2
	s_or_b32 exec_lo, exec_lo, s24
	s_and_saveexec_b32 s23, s10
	s_cbranch_execz .LBB2_4121
.LBB2_4120:                             ;   in Loop: Header=BB2_3892 Depth=2
	v_bfe_u32 v130, v10, 16, 3
	v_lshlrev_b32_e32 v133, 8, v10
	s_delay_alu instid0(VALU_DEP_2) | instskip(NEXT) | instid1(VALU_DEP_1)
	v_clz_i32_u32_e32 v131, v130
	v_min_u32_e32 v131, 32, v131
	s_delay_alu instid0(VALU_DEP_1) | instskip(SKIP_1) | instid1(VALU_DEP_2)
	v_subrev_nc_u32_e32 v132, 28, v131
	v_sub_nc_u32_e32 v131, 29, v131
	v_lshlrev_b32_e32 v129, v132, v129
	v_bfe_u32 v132, v10, 19, 4
	s_delay_alu instid0(VALU_DEP_2) | instskip(NEXT) | instid1(VALU_DEP_2)
	v_and_b32_e32 v129, 7, v129
	v_cmp_eq_u32_e32 vcc_lo, 0, v132
	v_cndmask_b32_e32 v131, v132, v131, vcc_lo
	s_delay_alu instid0(VALU_DEP_3) | instskip(SKIP_1) | instid1(VALU_DEP_3)
	v_cndmask_b32_e32 v129, v130, v129, vcc_lo
	v_and_b32_e32 v130, 0x80000000, v133
	v_lshl_add_u32 v131, v131, 23, 0x3b800000
	s_delay_alu instid0(VALU_DEP_3) | instskip(NEXT) | instid1(VALU_DEP_1)
	v_lshlrev_b32_e32 v129, 20, v129
	v_or3_b32 v130, v130, v131, v129
.LBB2_4121:                             ;   in Loop: Header=BB2_3892 Depth=2
	s_or_b32 exec_lo, exec_lo, s23
	s_delay_alu instid0(VALU_DEP_1) | instskip(NEXT) | instid1(VALU_DEP_1)
	v_mul_f32_e32 v130, s22, v130
	v_and_b32_e32 v129, 0x7f800000, v130
	s_delay_alu instid0(VALU_DEP_1)
	v_cmp_ne_u32_e32 vcc_lo, 0x7f800000, v129
	v_mov_b32_e32 v129, 0x80
	s_and_saveexec_b32 s23, vcc_lo
	s_cbranch_execz .LBB2_4129
; %bb.4122:                             ;   in Loop: Header=BB2_3892 Depth=2
	v_mov_b32_e32 v129, 0
	s_mov_b32 s24, exec_lo
	v_cmpx_ne_u32_e32 0, v130
	s_cbranch_execz .LBB2_4128
; %bb.4123:                             ;   in Loop: Header=BB2_3892 Depth=2
	v_bfe_u32 v129, v130, 23, 8
	s_delay_alu instid0(VALU_DEP_1) | instskip(SKIP_1) | instid1(VALU_DEP_2)
	v_sub_nc_u32_e32 v132, 0x78, v129
	v_cmp_gt_u32_e32 vcc_lo, 0x79, v129
	v_dual_cndmask_b32 v132, 0, v132 :: v_dual_and_b32 v131, 0x7fffff, v130
	s_delay_alu instid0(VALU_DEP_1) | instskip(SKIP_2) | instid1(VALU_DEP_4)
	v_or_b32_e32 v133, 0x800000, v131
	v_cmp_eq_u32_e32 vcc_lo, 0, v129
	v_add_nc_u32_e32 v129, 0xffffff89, v129
	v_cndmask_b32_e64 v132, v132, 0x77, vcc_lo
	s_delay_alu instid0(VALU_DEP_2) | instskip(SKIP_1) | instid1(VALU_DEP_3)
	v_cndmask_b32_e64 v129, v129, 0xffffff8a, vcc_lo
	v_cndmask_b32_e32 v131, v133, v131, vcc_lo
	v_lshl_add_u32 v133, 0x100000, v132, -1
	v_lshlrev_b32_e64 v144, v132, 0x80000
	s_delay_alu instid0(VALU_DEP_3) | instskip(SKIP_1) | instid1(VALU_DEP_4)
	v_lshrrev_b32_e32 v134, v132, v131
	v_add_nc_u32_e32 v132, v132, v129
	v_and_b32_e32 v131, v133, v131
	s_delay_alu instid0(VALU_DEP_3) | instskip(NEXT) | instid1(VALU_DEP_2)
	v_bfe_u32 v135, v134, 20, 1
	v_cmp_eq_u32_e64 s10, v131, v144
	s_delay_alu instid0(VALU_DEP_2) | instskip(NEXT) | instid1(VALU_DEP_1)
	v_add_nc_u32_e32 v133, -1, v135
	v_cndmask_b32_e64 v131, 0, v133, s10
	v_lshrrev_b32_e32 v133, 23, v134
	s_mov_b32 s10, exec_lo
	s_delay_alu instid0(VALU_DEP_2) | instskip(NEXT) | instid1(VALU_DEP_2)
	v_add_nc_u32_e32 v131, v131, v134
	v_xor_b32_e32 v133, 1, v133
	s_delay_alu instid0(VALU_DEP_2) | instskip(NEXT) | instid1(VALU_DEP_1)
	v_and_b32_e32 v129, 0xfffff, v131
	v_add_nc_u32_e32 v131, v129, v134
                                        ; implicit-def: $vgpr129
	s_delay_alu instid0(VALU_DEP_3)
	v_cmpx_ne_u32_e64 v132, v133
	s_xor_b32 s10, exec_lo, s10
; %bb.4124:                             ;   in Loop: Header=BB2_3892 Depth=2
	s_delay_alu instid0(VALU_DEP_2) | instskip(SKIP_2) | instid1(VALU_DEP_2)
	v_cmp_lt_u32_e32 vcc_lo, 0xffffff, v131
	v_sub_nc_u32_e32 v129, v132, v133
	v_cndmask_b32_e64 v132, 0, 1, vcc_lo
	v_add_co_ci_u32_e32 v129, vcc_lo, 0, v129, vcc_lo
	s_delay_alu instid0(VALU_DEP_2)
	v_lshrrev_b32_e32 v131, v132, v131
; %bb.4125:                             ;   in Loop: Header=BB2_3892 Depth=2
	s_and_not1_saveexec_b32 s10, s10
; %bb.4126:                             ;   in Loop: Header=BB2_3892 Depth=2
	s_delay_alu instid0(VALU_DEP_1)
	v_bfe_u32 v129, v131, 23, 1
; %bb.4127:                             ;   in Loop: Header=BB2_3892 Depth=2
	s_or_b32 exec_lo, exec_lo, s10
	v_lshrrev_b32_e32 v131, 20, v131
	s_delay_alu instid0(VALU_DEP_2) | instskip(SKIP_2) | instid1(VALU_DEP_2)
	v_cmp_gt_i32_e32 vcc_lo, 16, v129
	v_lshrrev_b32_e32 v130, 24, v130
	v_min_i32_e32 v132, 15, v129
	v_dual_cndmask_b32 v131, 7, v131 :: v_dual_and_b32 v130, 0x80, v130
	s_delay_alu instid0(VALU_DEP_1) | instskip(SKIP_1) | instid1(VALU_DEP_2)
	v_or_b32_e32 v129, v129, v131
	v_and_b32_e32 v133, 7, v131
	v_cmp_ne_u32_e32 vcc_lo, 0, v129
	v_lshlrev_b32_e32 v132, 3, v132
	s_delay_alu instid0(VALU_DEP_1) | instskip(NEXT) | instid1(VALU_DEP_1)
	v_or3_b32 v130, v132, v130, v133
	v_cndmask_b32_e32 v129, 0, v130, vcc_lo
.LBB2_4128:                             ;   in Loop: Header=BB2_3892 Depth=2
	s_or_b32 exec_lo, exec_lo, s24
.LBB2_4129:                             ;   in Loop: Header=BB2_3892 Depth=2
	s_delay_alu instid0(SALU_CYCLE_1) | instskip(SKIP_3) | instid1(VALU_DEP_1)
	s_or_b32 exec_lo, exec_lo, s23
	v_lshrrev_b32_e32 v130, 24, v10
	s_mov_b32 s10, 0
	s_mov_b32 s24, exec_lo
                                        ; implicit-def: $sgpr23
	v_cmpx_lt_i16_e64 0x7f, v130
	s_xor_b32 s24, exec_lo, s24
	s_cbranch_execnz .LBB2_4359
; %bb.4130:                             ;   in Loop: Header=BB2_3892 Depth=2
	s_or_saveexec_b32 s24, s24
	v_mov_b32_e32 v131, s23
	s_xor_b32 exec_lo, exec_lo, s24
	s_cbranch_execnz .LBB2_4362
.LBB2_4131:                             ;   in Loop: Header=BB2_3892 Depth=2
	s_or_b32 exec_lo, exec_lo, s24
	s_and_saveexec_b32 s23, s10
	s_cbranch_execz .LBB2_4133
.LBB2_4132:                             ;   in Loop: Header=BB2_3892 Depth=2
	v_bfe_u32 v131, v10, 24, 3
	s_delay_alu instid0(VALU_DEP_1) | instskip(NEXT) | instid1(VALU_DEP_1)
	v_clz_i32_u32_e32 v132, v131
	v_min_u32_e32 v132, 32, v132
	s_delay_alu instid0(VALU_DEP_1) | instskip(SKIP_1) | instid1(VALU_DEP_2)
	v_subrev_nc_u32_e32 v133, 28, v132
	v_sub_nc_u32_e32 v132, 29, v132
	v_lshlrev_b32_e32 v130, v133, v130
	v_bfe_u32 v133, v10, 27, 4
	v_and_b32_e32 v10, 0x80000000, v10
	s_delay_alu instid0(VALU_DEP_3) | instskip(NEXT) | instid1(VALU_DEP_3)
	v_and_b32_e32 v130, 7, v130
	v_cmp_eq_u32_e32 vcc_lo, 0, v133
	v_cndmask_b32_e32 v132, v133, v132, vcc_lo
	s_delay_alu instid0(VALU_DEP_3) | instskip(NEXT) | instid1(VALU_DEP_2)
	v_cndmask_b32_e32 v130, v131, v130, vcc_lo
	v_lshl_add_u32 v131, v132, 23, 0x3b800000
	s_delay_alu instid0(VALU_DEP_2) | instskip(NEXT) | instid1(VALU_DEP_1)
	v_lshlrev_b32_e32 v130, 20, v130
	v_or3_b32 v131, v10, v131, v130
.LBB2_4133:                             ;   in Loop: Header=BB2_3892 Depth=2
	s_or_b32 exec_lo, exec_lo, s23
	s_delay_alu instid0(VALU_DEP_1) | instskip(NEXT) | instid1(VALU_DEP_1)
	v_mul_f32_e32 v130, s22, v131
	v_and_b32_e32 v10, 0x7f800000, v130
	s_delay_alu instid0(VALU_DEP_1)
	v_cmp_ne_u32_e32 vcc_lo, 0x7f800000, v10
	v_mov_b32_e32 v10, 0x80
	s_and_saveexec_b32 s23, vcc_lo
	s_cbranch_execz .LBB2_4141
; %bb.4134:                             ;   in Loop: Header=BB2_3892 Depth=2
	v_mov_b32_e32 v10, 0
	s_mov_b32 s24, exec_lo
	v_cmpx_ne_u32_e32 0, v130
	s_cbranch_execz .LBB2_4140
; %bb.4135:                             ;   in Loop: Header=BB2_3892 Depth=2
	v_bfe_u32 v10, v130, 23, 8
	s_delay_alu instid0(VALU_DEP_1) | instskip(SKIP_1) | instid1(VALU_DEP_2)
	v_sub_nc_u32_e32 v132, 0x78, v10
	v_cmp_gt_u32_e32 vcc_lo, 0x79, v10
	v_dual_cndmask_b32 v132, 0, v132 :: v_dual_and_b32 v131, 0x7fffff, v130
	s_delay_alu instid0(VALU_DEP_1) | instskip(SKIP_2) | instid1(VALU_DEP_4)
	v_or_b32_e32 v133, 0x800000, v131
	v_cmp_eq_u32_e32 vcc_lo, 0, v10
	v_add_nc_u32_e32 v10, 0xffffff89, v10
	v_cndmask_b32_e64 v132, v132, 0x77, vcc_lo
	s_delay_alu instid0(VALU_DEP_4) | instskip(NEXT) | instid1(VALU_DEP_3)
	v_cndmask_b32_e32 v131, v133, v131, vcc_lo
	v_cndmask_b32_e64 v10, v10, 0xffffff8a, vcc_lo
	s_delay_alu instid0(VALU_DEP_3) | instskip(NEXT) | instid1(VALU_DEP_3)
	v_lshl_add_u32 v133, 0x100000, v132, -1
	v_lshrrev_b32_e32 v134, v132, v131
	v_lshlrev_b32_e64 v144, v132, 0x80000
	s_delay_alu instid0(VALU_DEP_4) | instskip(NEXT) | instid1(VALU_DEP_4)
	v_add_nc_u32_e32 v132, v132, v10
	v_and_b32_e32 v131, v133, v131
	s_delay_alu instid0(VALU_DEP_4) | instskip(NEXT) | instid1(VALU_DEP_2)
	v_bfe_u32 v135, v134, 20, 1
	v_cmp_eq_u32_e64 s10, v131, v144
	s_delay_alu instid0(VALU_DEP_2) | instskip(NEXT) | instid1(VALU_DEP_1)
	v_add_nc_u32_e32 v133, -1, v135
	v_cndmask_b32_e64 v131, 0, v133, s10
	v_lshrrev_b32_e32 v133, 23, v134
	s_mov_b32 s10, exec_lo
	s_delay_alu instid0(VALU_DEP_2) | instskip(NEXT) | instid1(VALU_DEP_2)
	v_add_nc_u32_e32 v131, v131, v134
	v_xor_b32_e32 v133, 1, v133
	s_delay_alu instid0(VALU_DEP_2) | instskip(NEXT) | instid1(VALU_DEP_1)
	v_and_b32_e32 v10, 0xfffff, v131
	v_add_nc_u32_e32 v131, v10, v134
                                        ; implicit-def: $vgpr10
	s_delay_alu instid0(VALU_DEP_3)
	v_cmpx_ne_u32_e64 v132, v133
	s_xor_b32 s10, exec_lo, s10
; %bb.4136:                             ;   in Loop: Header=BB2_3892 Depth=2
	s_delay_alu instid0(VALU_DEP_2) | instskip(SKIP_2) | instid1(VALU_DEP_2)
	v_cmp_lt_u32_e32 vcc_lo, 0xffffff, v131
	v_sub_nc_u32_e32 v10, v132, v133
	v_cndmask_b32_e64 v132, 0, 1, vcc_lo
	v_add_co_ci_u32_e32 v10, vcc_lo, 0, v10, vcc_lo
	s_delay_alu instid0(VALU_DEP_2)
	v_lshrrev_b32_e32 v131, v132, v131
; %bb.4137:                             ;   in Loop: Header=BB2_3892 Depth=2
	s_and_not1_saveexec_b32 s10, s10
; %bb.4138:                             ;   in Loop: Header=BB2_3892 Depth=2
	s_delay_alu instid0(VALU_DEP_1)
	v_bfe_u32 v10, v131, 23, 1
; %bb.4139:                             ;   in Loop: Header=BB2_3892 Depth=2
	s_or_b32 exec_lo, exec_lo, s10
	v_lshrrev_b32_e32 v131, 20, v131
	s_delay_alu instid0(VALU_DEP_2) | instskip(SKIP_2) | instid1(VALU_DEP_2)
	v_cmp_gt_i32_e32 vcc_lo, 16, v10
	v_lshrrev_b32_e32 v130, 24, v130
	v_min_i32_e32 v132, 15, v10
	v_dual_cndmask_b32 v131, 7, v131 :: v_dual_and_b32 v130, 0x80, v130
	s_delay_alu instid0(VALU_DEP_2) | instskip(NEXT) | instid1(VALU_DEP_2)
	v_lshlrev_b32_e32 v132, 3, v132
	v_or_b32_e32 v10, v10, v131
	s_delay_alu instid0(VALU_DEP_1) | instskip(SKIP_1) | instid1(VALU_DEP_1)
	v_cmp_ne_u32_e32 vcc_lo, 0, v10
	v_and_b32_e32 v133, 7, v131
	v_or3_b32 v130, v132, v130, v133
	s_delay_alu instid0(VALU_DEP_1)
	v_cndmask_b32_e32 v10, 0, v130, vcc_lo
.LBB2_4140:                             ;   in Loop: Header=BB2_3892 Depth=2
	s_or_b32 exec_lo, exec_lo, s24
.LBB2_4141:                             ;   in Loop: Header=BB2_3892 Depth=2
	s_delay_alu instid0(SALU_CYCLE_1) | instskip(SKIP_3) | instid1(VALU_DEP_1)
	s_or_b32 exec_lo, exec_lo, s23
	v_and_b32_e32 v131, 0xff, v11
	s_mov_b32 s10, 0
	s_mov_b32 s24, exec_lo
                                        ; implicit-def: $sgpr23
	v_cmpx_lt_i16_e64 0x7f, v131
	s_xor_b32 s24, exec_lo, s24
	s_cbranch_execnz .LBB2_4363
; %bb.4142:                             ;   in Loop: Header=BB2_3892 Depth=2
	s_or_saveexec_b32 s24, s24
	v_mov_b32_e32 v130, s23
	s_xor_b32 exec_lo, exec_lo, s24
	s_cbranch_execnz .LBB2_4366
.LBB2_4143:                             ;   in Loop: Header=BB2_3892 Depth=2
	s_or_b32 exec_lo, exec_lo, s24
	s_and_saveexec_b32 s23, s10
	s_cbranch_execz .LBB2_4145
.LBB2_4144:                             ;   in Loop: Header=BB2_3892 Depth=2
	v_and_b32_e32 v130, 7, v11
	v_bfe_u32 v133, v11, 3, 4
	v_lshlrev_b32_e32 v134, 24, v11
	s_delay_alu instid0(VALU_DEP_3) | instskip(NEXT) | instid1(VALU_DEP_3)
	v_clz_i32_u32_e32 v131, v130
	v_cmp_eq_u32_e32 vcc_lo, 0, v133
	s_delay_alu instid0(VALU_DEP_2) | instskip(NEXT) | instid1(VALU_DEP_1)
	v_min_u32_e32 v131, 32, v131
	v_subrev_nc_u32_e32 v132, 28, v131
	v_sub_nc_u32_e32 v131, 29, v131
	s_delay_alu instid0(VALU_DEP_2) | instskip(NEXT) | instid1(VALU_DEP_1)
	v_lshlrev_b32_e32 v132, v132, v11
	v_dual_cndmask_b32 v131, v133, v131 :: v_dual_and_b32 v132, 7, v132
	s_delay_alu instid0(VALU_DEP_1) | instskip(NEXT) | instid1(VALU_DEP_2)
	v_lshl_add_u32 v131, v131, 23, 0x3b800000
	v_cndmask_b32_e32 v130, v130, v132, vcc_lo
	v_and_b32_e32 v132, 0x80000000, v134
	s_delay_alu instid0(VALU_DEP_2) | instskip(NEXT) | instid1(VALU_DEP_1)
	v_lshlrev_b32_e32 v130, 20, v130
	v_or3_b32 v130, v132, v131, v130
.LBB2_4145:                             ;   in Loop: Header=BB2_3892 Depth=2
	s_or_b32 exec_lo, exec_lo, s23
	s_delay_alu instid0(VALU_DEP_1) | instskip(NEXT) | instid1(VALU_DEP_1)
	v_mul_f32_e32 v131, s22, v130
	v_and_b32_e32 v130, 0x7f800000, v131
	s_delay_alu instid0(VALU_DEP_1)
	v_cmp_ne_u32_e32 vcc_lo, 0x7f800000, v130
	v_mov_b32_e32 v130, 0x80
	s_and_saveexec_b32 s23, vcc_lo
	s_cbranch_execz .LBB2_4153
; %bb.4146:                             ;   in Loop: Header=BB2_3892 Depth=2
	v_mov_b32_e32 v130, 0
	s_mov_b32 s24, exec_lo
	v_cmpx_ne_u32_e32 0, v131
	s_cbranch_execz .LBB2_4152
; %bb.4147:                             ;   in Loop: Header=BB2_3892 Depth=2
	v_bfe_u32 v130, v131, 23, 8
	s_delay_alu instid0(VALU_DEP_1) | instskip(SKIP_1) | instid1(VALU_DEP_2)
	v_sub_nc_u32_e32 v133, 0x78, v130
	v_cmp_gt_u32_e32 vcc_lo, 0x79, v130
	v_dual_cndmask_b32 v133, 0, v133 :: v_dual_and_b32 v132, 0x7fffff, v131
	s_delay_alu instid0(VALU_DEP_1) | instskip(SKIP_2) | instid1(VALU_DEP_4)
	v_or_b32_e32 v134, 0x800000, v132
	v_cmp_eq_u32_e32 vcc_lo, 0, v130
	v_add_nc_u32_e32 v130, 0xffffff89, v130
	v_cndmask_b32_e64 v133, v133, 0x77, vcc_lo
	s_delay_alu instid0(VALU_DEP_2) | instskip(SKIP_1) | instid1(VALU_DEP_3)
	v_cndmask_b32_e64 v130, v130, 0xffffff8a, vcc_lo
	v_cndmask_b32_e32 v132, v134, v132, vcc_lo
	v_lshl_add_u32 v134, 0x100000, v133, -1
	v_lshlrev_b32_e64 v145, v133, 0x80000
	s_delay_alu instid0(VALU_DEP_3) | instskip(SKIP_1) | instid1(VALU_DEP_4)
	v_lshrrev_b32_e32 v135, v133, v132
	v_add_nc_u32_e32 v133, v133, v130
	v_and_b32_e32 v132, v134, v132
	s_delay_alu instid0(VALU_DEP_3) | instskip(NEXT) | instid1(VALU_DEP_2)
	v_bfe_u32 v144, v135, 20, 1
	v_cmp_eq_u32_e64 s10, v132, v145
	s_delay_alu instid0(VALU_DEP_2) | instskip(NEXT) | instid1(VALU_DEP_1)
	v_add_nc_u32_e32 v134, -1, v144
	v_cndmask_b32_e64 v132, 0, v134, s10
	v_lshrrev_b32_e32 v134, 23, v135
	s_mov_b32 s10, exec_lo
	s_delay_alu instid0(VALU_DEP_2) | instskip(NEXT) | instid1(VALU_DEP_2)
	v_add_nc_u32_e32 v132, v132, v135
	v_xor_b32_e32 v134, 1, v134
	s_delay_alu instid0(VALU_DEP_2) | instskip(NEXT) | instid1(VALU_DEP_1)
	v_and_b32_e32 v130, 0xfffff, v132
	v_add_nc_u32_e32 v132, v130, v135
                                        ; implicit-def: $vgpr130
	s_delay_alu instid0(VALU_DEP_3)
	v_cmpx_ne_u32_e64 v133, v134
	s_xor_b32 s10, exec_lo, s10
; %bb.4148:                             ;   in Loop: Header=BB2_3892 Depth=2
	s_delay_alu instid0(VALU_DEP_2) | instskip(SKIP_2) | instid1(VALU_DEP_2)
	v_cmp_lt_u32_e32 vcc_lo, 0xffffff, v132
	v_sub_nc_u32_e32 v130, v133, v134
	v_cndmask_b32_e64 v133, 0, 1, vcc_lo
	v_add_co_ci_u32_e32 v130, vcc_lo, 0, v130, vcc_lo
	s_delay_alu instid0(VALU_DEP_2)
	v_lshrrev_b32_e32 v132, v133, v132
; %bb.4149:                             ;   in Loop: Header=BB2_3892 Depth=2
	s_and_not1_saveexec_b32 s10, s10
; %bb.4150:                             ;   in Loop: Header=BB2_3892 Depth=2
	s_delay_alu instid0(VALU_DEP_1)
	v_bfe_u32 v130, v132, 23, 1
; %bb.4151:                             ;   in Loop: Header=BB2_3892 Depth=2
	s_or_b32 exec_lo, exec_lo, s10
	v_lshrrev_b32_e32 v132, 20, v132
	s_delay_alu instid0(VALU_DEP_2) | instskip(SKIP_2) | instid1(VALU_DEP_2)
	v_cmp_gt_i32_e32 vcc_lo, 16, v130
	v_min_i32_e32 v133, 15, v130
	v_lshrrev_b32_e32 v131, 24, v131
	v_dual_cndmask_b32 v132, 7, v132 :: v_dual_lshlrev_b32 v133, 3, v133
	s_delay_alu instid0(VALU_DEP_2) | instskip(NEXT) | instid1(VALU_DEP_2)
	v_and_b32_e32 v131, 0x80, v131
	v_or_b32_e32 v130, v130, v132
	v_and_b32_e32 v134, 7, v132
	s_delay_alu instid0(VALU_DEP_2) | instskip(SKIP_1) | instid1(VALU_DEP_1)
	v_cmp_ne_u32_e32 vcc_lo, 0, v130
	v_and_b32_e32 v133, 0xf8, v133
	v_or3_b32 v131, v133, v131, v134
	s_delay_alu instid0(VALU_DEP_1)
	v_cndmask_b32_e32 v130, 0, v131, vcc_lo
.LBB2_4152:                             ;   in Loop: Header=BB2_3892 Depth=2
	s_or_b32 exec_lo, exec_lo, s24
.LBB2_4153:                             ;   in Loop: Header=BB2_3892 Depth=2
	s_delay_alu instid0(SALU_CYCLE_1) | instskip(SKIP_3) | instid1(VALU_DEP_1)
	s_or_b32 exec_lo, exec_lo, s23
	v_lshrrev_b16 v131, 8, v11
	s_mov_b32 s10, 0
	s_mov_b32 s24, exec_lo
                                        ; implicit-def: $sgpr23
	v_cmpx_lt_i16_e64 0x7f, v131
	s_xor_b32 s24, exec_lo, s24
	s_cbranch_execnz .LBB2_4367
; %bb.4154:                             ;   in Loop: Header=BB2_3892 Depth=2
	s_or_saveexec_b32 s24, s24
	v_mov_b32_e32 v132, s23
	s_xor_b32 exec_lo, exec_lo, s24
	s_cbranch_execnz .LBB2_4370
.LBB2_4155:                             ;   in Loop: Header=BB2_3892 Depth=2
	s_or_b32 exec_lo, exec_lo, s24
	s_and_saveexec_b32 s23, s10
	s_cbranch_execz .LBB2_4157
.LBB2_4156:                             ;   in Loop: Header=BB2_3892 Depth=2
	v_and_b32_e32 v132, 0xffff, v131
	v_lshlrev_b32_e32 v131, 24, v131
	s_delay_alu instid0(VALU_DEP_2) | instskip(NEXT) | instid1(VALU_DEP_2)
	v_and_b32_e32 v133, 7, v132
	v_and_b32_e32 v131, 0x80000000, v131
	s_delay_alu instid0(VALU_DEP_2) | instskip(NEXT) | instid1(VALU_DEP_1)
	v_clz_i32_u32_e32 v134, v133
	v_min_u32_e32 v134, 32, v134
	s_delay_alu instid0(VALU_DEP_1) | instskip(SKIP_1) | instid1(VALU_DEP_2)
	v_subrev_nc_u32_e32 v135, 28, v134
	v_sub_nc_u32_e32 v134, 29, v134
	v_lshlrev_b32_e32 v135, v135, v132
	v_bfe_u32 v132, v132, 3, 4
	s_delay_alu instid0(VALU_DEP_2) | instskip(NEXT) | instid1(VALU_DEP_2)
	v_and_b32_e32 v135, 7, v135
	v_cmp_eq_u32_e32 vcc_lo, 0, v132
	s_delay_alu instid0(VALU_DEP_2) | instskip(NEXT) | instid1(VALU_DEP_1)
	v_dual_cndmask_b32 v132, v132, v134 :: v_dual_cndmask_b32 v133, v133, v135
	v_lshl_add_u32 v132, v132, 23, 0x3b800000
	s_delay_alu instid0(VALU_DEP_2) | instskip(NEXT) | instid1(VALU_DEP_1)
	v_lshlrev_b32_e32 v133, 20, v133
	v_or3_b32 v132, v131, v132, v133
.LBB2_4157:                             ;   in Loop: Header=BB2_3892 Depth=2
	s_or_b32 exec_lo, exec_lo, s23
	s_delay_alu instid0(VALU_DEP_1) | instskip(NEXT) | instid1(VALU_DEP_1)
	v_mul_f32_e32 v132, s22, v132
	v_and_b32_e32 v131, 0x7f800000, v132
	s_delay_alu instid0(VALU_DEP_1)
	v_cmp_ne_u32_e32 vcc_lo, 0x7f800000, v131
	v_mov_b32_e32 v131, 0x8000
	s_and_saveexec_b32 s23, vcc_lo
	s_cbranch_execz .LBB2_4165
; %bb.4158:                             ;   in Loop: Header=BB2_3892 Depth=2
	v_mov_b32_e32 v131, 0
	s_mov_b32 s24, exec_lo
	v_cmpx_ne_u32_e32 0, v132
	s_cbranch_execz .LBB2_4164
; %bb.4159:                             ;   in Loop: Header=BB2_3892 Depth=2
	v_bfe_u32 v131, v132, 23, 8
	s_delay_alu instid0(VALU_DEP_1) | instskip(SKIP_1) | instid1(VALU_DEP_2)
	v_sub_nc_u32_e32 v134, 0x78, v131
	v_cmp_gt_u32_e32 vcc_lo, 0x79, v131
	v_dual_cndmask_b32 v134, 0, v134 :: v_dual_and_b32 v133, 0x7fffff, v132
	s_delay_alu instid0(VALU_DEP_1) | instskip(SKIP_2) | instid1(VALU_DEP_4)
	v_or_b32_e32 v135, 0x800000, v133
	v_cmp_eq_u32_e32 vcc_lo, 0, v131
	v_add_nc_u32_e32 v131, 0xffffff89, v131
	v_cndmask_b32_e64 v134, v134, 0x77, vcc_lo
	s_delay_alu instid0(VALU_DEP_2) | instskip(SKIP_1) | instid1(VALU_DEP_3)
	v_cndmask_b32_e64 v131, v131, 0xffffff8a, vcc_lo
	v_cndmask_b32_e32 v133, v135, v133, vcc_lo
	v_lshl_add_u32 v135, 0x100000, v134, -1
	v_lshlrev_b32_e64 v146, v134, 0x80000
	s_delay_alu instid0(VALU_DEP_3) | instskip(SKIP_1) | instid1(VALU_DEP_4)
	v_lshrrev_b32_e32 v144, v134, v133
	v_add_nc_u32_e32 v134, v134, v131
	v_and_b32_e32 v133, v135, v133
	s_delay_alu instid0(VALU_DEP_3) | instskip(NEXT) | instid1(VALU_DEP_2)
	v_bfe_u32 v145, v144, 20, 1
	v_cmp_eq_u32_e64 s10, v133, v146
	s_delay_alu instid0(VALU_DEP_2) | instskip(NEXT) | instid1(VALU_DEP_1)
	v_add_nc_u32_e32 v135, -1, v145
	v_cndmask_b32_e64 v133, 0, v135, s10
	v_lshrrev_b32_e32 v135, 23, v144
	s_mov_b32 s10, exec_lo
	s_delay_alu instid0(VALU_DEP_2) | instskip(NEXT) | instid1(VALU_DEP_2)
	v_add_nc_u32_e32 v133, v133, v144
	v_xor_b32_e32 v135, 1, v135
	s_delay_alu instid0(VALU_DEP_2) | instskip(NEXT) | instid1(VALU_DEP_1)
	v_and_b32_e32 v131, 0xfffff, v133
	v_add_nc_u32_e32 v133, v131, v144
                                        ; implicit-def: $vgpr131
	s_delay_alu instid0(VALU_DEP_3)
	v_cmpx_ne_u32_e64 v134, v135
	s_xor_b32 s10, exec_lo, s10
; %bb.4160:                             ;   in Loop: Header=BB2_3892 Depth=2
	s_delay_alu instid0(VALU_DEP_2) | instskip(SKIP_2) | instid1(VALU_DEP_2)
	v_cmp_lt_u32_e32 vcc_lo, 0xffffff, v133
	v_sub_nc_u32_e32 v131, v134, v135
	v_cndmask_b32_e64 v134, 0, 1, vcc_lo
	v_add_co_ci_u32_e32 v131, vcc_lo, 0, v131, vcc_lo
	s_delay_alu instid0(VALU_DEP_2)
	v_lshrrev_b32_e32 v133, v134, v133
; %bb.4161:                             ;   in Loop: Header=BB2_3892 Depth=2
	s_and_not1_saveexec_b32 s10, s10
; %bb.4162:                             ;   in Loop: Header=BB2_3892 Depth=2
	s_delay_alu instid0(VALU_DEP_1)
	v_bfe_u32 v131, v133, 23, 1
; %bb.4163:                             ;   in Loop: Header=BB2_3892 Depth=2
	s_or_b32 exec_lo, exec_lo, s10
	v_lshrrev_b32_e32 v133, 20, v133
	s_delay_alu instid0(VALU_DEP_2) | instskip(SKIP_2) | instid1(VALU_DEP_2)
	v_cmp_gt_i32_e32 vcc_lo, 16, v131
	v_min_i32_e32 v134, 15, v131
	v_lshrrev_b32_e32 v132, 24, v132
	v_dual_cndmask_b32 v133, 7, v133 :: v_dual_lshlrev_b32 v134, 3, v134
	s_delay_alu instid0(VALU_DEP_2) | instskip(NEXT) | instid1(VALU_DEP_2)
	v_and_b32_e32 v132, 0x80, v132
	v_or_b32_e32 v131, v131, v133
	v_and_b32_e32 v135, 7, v133
	s_delay_alu instid0(VALU_DEP_2) | instskip(SKIP_1) | instid1(VALU_DEP_1)
	v_cmp_ne_u32_e32 vcc_lo, 0, v131
	v_and_b32_e32 v134, 0xf8, v134
	v_or3_b32 v132, v132, v134, v135
	s_delay_alu instid0(VALU_DEP_1) | instskip(NEXT) | instid1(VALU_DEP_1)
	v_lshlrev_b32_e32 v132, 8, v132
	v_cndmask_b32_e32 v131, 0, v132, vcc_lo
.LBB2_4164:                             ;   in Loop: Header=BB2_3892 Depth=2
	s_or_b32 exec_lo, exec_lo, s24
.LBB2_4165:                             ;   in Loop: Header=BB2_3892 Depth=2
	s_delay_alu instid0(SALU_CYCLE_1) | instskip(SKIP_3) | instid1(VALU_DEP_1)
	s_or_b32 exec_lo, exec_lo, s23
	v_lshrrev_b32_e32 v132, 16, v11
	s_mov_b32 s10, 0
	s_mov_b32 s24, exec_lo
                                        ; implicit-def: $sgpr23
	v_and_b32_e32 v134, 0xff, v132
	s_delay_alu instid0(VALU_DEP_1)
	v_cmpx_lt_i16_e64 0x7f, v134
	s_xor_b32 s24, exec_lo, s24
	s_cbranch_execnz .LBB2_4371
; %bb.4166:                             ;   in Loop: Header=BB2_3892 Depth=2
	s_or_saveexec_b32 s24, s24
	v_mov_b32_e32 v133, s23
	s_xor_b32 exec_lo, exec_lo, s24
	s_cbranch_execnz .LBB2_4374
.LBB2_4167:                             ;   in Loop: Header=BB2_3892 Depth=2
	s_or_b32 exec_lo, exec_lo, s24
	s_and_saveexec_b32 s23, s10
	s_cbranch_execz .LBB2_4169
.LBB2_4168:                             ;   in Loop: Header=BB2_3892 Depth=2
	v_bfe_u32 v133, v11, 16, 3
	v_lshlrev_b32_e32 v144, 8, v11
	s_delay_alu instid0(VALU_DEP_2) | instskip(NEXT) | instid1(VALU_DEP_1)
	v_clz_i32_u32_e32 v134, v133
	v_min_u32_e32 v134, 32, v134
	s_delay_alu instid0(VALU_DEP_1) | instskip(SKIP_1) | instid1(VALU_DEP_2)
	v_subrev_nc_u32_e32 v135, 28, v134
	v_sub_nc_u32_e32 v134, 29, v134
	v_lshlrev_b32_e32 v132, v135, v132
	v_bfe_u32 v135, v11, 19, 4
	s_delay_alu instid0(VALU_DEP_2) | instskip(NEXT) | instid1(VALU_DEP_2)
	v_and_b32_e32 v132, 7, v132
	v_cmp_eq_u32_e32 vcc_lo, 0, v135
	v_cndmask_b32_e32 v134, v135, v134, vcc_lo
	s_delay_alu instid0(VALU_DEP_3) | instskip(SKIP_1) | instid1(VALU_DEP_3)
	v_cndmask_b32_e32 v132, v133, v132, vcc_lo
	v_and_b32_e32 v133, 0x80000000, v144
	v_lshl_add_u32 v134, v134, 23, 0x3b800000
	s_delay_alu instid0(VALU_DEP_3) | instskip(NEXT) | instid1(VALU_DEP_1)
	v_lshlrev_b32_e32 v132, 20, v132
	v_or3_b32 v133, v133, v134, v132
.LBB2_4169:                             ;   in Loop: Header=BB2_3892 Depth=2
	s_or_b32 exec_lo, exec_lo, s23
	s_delay_alu instid0(VALU_DEP_1) | instskip(NEXT) | instid1(VALU_DEP_1)
	v_mul_f32_e32 v133, s22, v133
	v_and_b32_e32 v132, 0x7f800000, v133
	s_delay_alu instid0(VALU_DEP_1)
	v_cmp_ne_u32_e32 vcc_lo, 0x7f800000, v132
	v_mov_b32_e32 v132, 0x80
	s_and_saveexec_b32 s23, vcc_lo
	s_cbranch_execz .LBB2_4177
; %bb.4170:                             ;   in Loop: Header=BB2_3892 Depth=2
	v_mov_b32_e32 v132, 0
	s_mov_b32 s24, exec_lo
	v_cmpx_ne_u32_e32 0, v133
	s_cbranch_execz .LBB2_4176
; %bb.4171:                             ;   in Loop: Header=BB2_3892 Depth=2
	v_bfe_u32 v132, v133, 23, 8
	s_delay_alu instid0(VALU_DEP_1) | instskip(SKIP_1) | instid1(VALU_DEP_2)
	v_sub_nc_u32_e32 v135, 0x78, v132
	v_cmp_gt_u32_e32 vcc_lo, 0x79, v132
	v_dual_cndmask_b32 v135, 0, v135 :: v_dual_and_b32 v134, 0x7fffff, v133
	s_delay_alu instid0(VALU_DEP_1) | instskip(SKIP_2) | instid1(VALU_DEP_4)
	v_or_b32_e32 v144, 0x800000, v134
	v_cmp_eq_u32_e32 vcc_lo, 0, v132
	v_add_nc_u32_e32 v132, 0xffffff89, v132
	v_cndmask_b32_e64 v135, v135, 0x77, vcc_lo
	s_delay_alu instid0(VALU_DEP_2) | instskip(SKIP_1) | instid1(VALU_DEP_3)
	v_cndmask_b32_e64 v132, v132, 0xffffff8a, vcc_lo
	v_cndmask_b32_e32 v134, v144, v134, vcc_lo
	v_lshl_add_u32 v144, 0x100000, v135, -1
	v_lshlrev_b32_e64 v147, v135, 0x80000
	s_delay_alu instid0(VALU_DEP_3) | instskip(SKIP_1) | instid1(VALU_DEP_4)
	v_lshrrev_b32_e32 v145, v135, v134
	v_add_nc_u32_e32 v135, v135, v132
	v_and_b32_e32 v134, v144, v134
	s_delay_alu instid0(VALU_DEP_3) | instskip(NEXT) | instid1(VALU_DEP_2)
	v_bfe_u32 v146, v145, 20, 1
	v_cmp_eq_u32_e64 s10, v134, v147
	s_delay_alu instid0(VALU_DEP_2) | instskip(NEXT) | instid1(VALU_DEP_1)
	v_add_nc_u32_e32 v144, -1, v146
	v_cndmask_b32_e64 v134, 0, v144, s10
	v_lshrrev_b32_e32 v144, 23, v145
	s_mov_b32 s10, exec_lo
	s_delay_alu instid0(VALU_DEP_2) | instskip(NEXT) | instid1(VALU_DEP_2)
	v_add_nc_u32_e32 v134, v134, v145
	v_xor_b32_e32 v144, 1, v144
	s_delay_alu instid0(VALU_DEP_2) | instskip(NEXT) | instid1(VALU_DEP_1)
	v_and_b32_e32 v132, 0xfffff, v134
	v_add_nc_u32_e32 v134, v132, v145
                                        ; implicit-def: $vgpr132
	s_delay_alu instid0(VALU_DEP_3)
	v_cmpx_ne_u32_e64 v135, v144
	s_xor_b32 s10, exec_lo, s10
; %bb.4172:                             ;   in Loop: Header=BB2_3892 Depth=2
	s_delay_alu instid0(VALU_DEP_2) | instskip(SKIP_2) | instid1(VALU_DEP_2)
	v_cmp_lt_u32_e32 vcc_lo, 0xffffff, v134
	v_sub_nc_u32_e32 v132, v135, v144
	v_cndmask_b32_e64 v135, 0, 1, vcc_lo
	v_add_co_ci_u32_e32 v132, vcc_lo, 0, v132, vcc_lo
	s_delay_alu instid0(VALU_DEP_2)
	v_lshrrev_b32_e32 v134, v135, v134
; %bb.4173:                             ;   in Loop: Header=BB2_3892 Depth=2
	s_and_not1_saveexec_b32 s10, s10
; %bb.4174:                             ;   in Loop: Header=BB2_3892 Depth=2
	s_delay_alu instid0(VALU_DEP_1)
	v_bfe_u32 v132, v134, 23, 1
; %bb.4175:                             ;   in Loop: Header=BB2_3892 Depth=2
	s_or_b32 exec_lo, exec_lo, s10
	v_lshrrev_b32_e32 v134, 20, v134
	s_delay_alu instid0(VALU_DEP_2) | instskip(SKIP_2) | instid1(VALU_DEP_2)
	v_cmp_gt_i32_e32 vcc_lo, 16, v132
	v_min_i32_e32 v135, 15, v132
	v_lshrrev_b32_e32 v133, 24, v133
	v_dual_cndmask_b32 v134, 7, v134 :: v_dual_lshlrev_b32 v135, 3, v135
	s_delay_alu instid0(VALU_DEP_2) | instskip(NEXT) | instid1(VALU_DEP_2)
	v_and_b32_e32 v133, 0x80, v133
	v_or_b32_e32 v132, v132, v134
	v_and_b32_e32 v144, 7, v134
	s_delay_alu instid0(VALU_DEP_2) | instskip(SKIP_1) | instid1(VALU_DEP_1)
	v_cmp_ne_u32_e32 vcc_lo, 0, v132
	v_and_b32_e32 v135, 0xf8, v135
	v_or3_b32 v133, v135, v133, v144
	s_delay_alu instid0(VALU_DEP_1)
	v_cndmask_b32_e32 v132, 0, v133, vcc_lo
.LBB2_4176:                             ;   in Loop: Header=BB2_3892 Depth=2
	s_or_b32 exec_lo, exec_lo, s24
.LBB2_4177:                             ;   in Loop: Header=BB2_3892 Depth=2
	s_delay_alu instid0(SALU_CYCLE_1) | instskip(SKIP_3) | instid1(VALU_DEP_1)
	s_or_b32 exec_lo, exec_lo, s23
	v_lshrrev_b32_e32 v133, 24, v11
	s_mov_b32 s10, 0
	s_mov_b32 s24, exec_lo
                                        ; implicit-def: $sgpr23
	v_cmpx_lt_i16_e64 0x7f, v133
	s_xor_b32 s24, exec_lo, s24
	s_cbranch_execnz .LBB2_4375
; %bb.4178:                             ;   in Loop: Header=BB2_3892 Depth=2
	s_or_saveexec_b32 s24, s24
	v_mov_b32_e32 v134, s23
	s_xor_b32 exec_lo, exec_lo, s24
	s_cbranch_execnz .LBB2_4378
.LBB2_4179:                             ;   in Loop: Header=BB2_3892 Depth=2
	s_or_b32 exec_lo, exec_lo, s24
	s_and_saveexec_b32 s23, s10
	s_cbranch_execz .LBB2_4181
.LBB2_4180:                             ;   in Loop: Header=BB2_3892 Depth=2
	v_bfe_u32 v134, v11, 24, 3
	s_delay_alu instid0(VALU_DEP_1) | instskip(NEXT) | instid1(VALU_DEP_1)
	v_clz_i32_u32_e32 v135, v134
	v_min_u32_e32 v135, 32, v135
	s_delay_alu instid0(VALU_DEP_1) | instskip(SKIP_1) | instid1(VALU_DEP_2)
	v_subrev_nc_u32_e32 v144, 28, v135
	v_sub_nc_u32_e32 v135, 29, v135
	v_lshlrev_b32_e32 v133, v144, v133
	v_bfe_u32 v144, v11, 27, 4
	v_and_b32_e32 v11, 0x80000000, v11
	s_delay_alu instid0(VALU_DEP_3) | instskip(NEXT) | instid1(VALU_DEP_3)
	v_and_b32_e32 v133, 7, v133
	v_cmp_eq_u32_e32 vcc_lo, 0, v144
	v_cndmask_b32_e32 v135, v144, v135, vcc_lo
	s_delay_alu instid0(VALU_DEP_3) | instskip(NEXT) | instid1(VALU_DEP_2)
	v_cndmask_b32_e32 v133, v134, v133, vcc_lo
	v_lshl_add_u32 v134, v135, 23, 0x3b800000
	s_delay_alu instid0(VALU_DEP_2) | instskip(NEXT) | instid1(VALU_DEP_1)
	v_lshlrev_b32_e32 v133, 20, v133
	v_or3_b32 v134, v11, v134, v133
.LBB2_4181:                             ;   in Loop: Header=BB2_3892 Depth=2
	s_or_b32 exec_lo, exec_lo, s23
	s_delay_alu instid0(VALU_DEP_1) | instskip(NEXT) | instid1(VALU_DEP_1)
	v_mul_f32_e32 v133, s22, v134
	v_and_b32_e32 v11, 0x7f800000, v133
	s_delay_alu instid0(VALU_DEP_1)
	v_cmp_ne_u32_e32 vcc_lo, 0x7f800000, v11
	v_mov_b32_e32 v11, 0x8000
	s_and_saveexec_b32 s23, vcc_lo
	s_cbranch_execz .LBB2_4189
; %bb.4182:                             ;   in Loop: Header=BB2_3892 Depth=2
	v_mov_b32_e32 v11, 0
	s_mov_b32 s24, exec_lo
	v_cmpx_ne_u32_e32 0, v133
	s_cbranch_execz .LBB2_4188
; %bb.4183:                             ;   in Loop: Header=BB2_3892 Depth=2
	v_bfe_u32 v11, v133, 23, 8
	s_delay_alu instid0(VALU_DEP_1) | instskip(SKIP_1) | instid1(VALU_DEP_2)
	v_sub_nc_u32_e32 v135, 0x78, v11
	v_cmp_gt_u32_e32 vcc_lo, 0x79, v11
	v_dual_cndmask_b32 v135, 0, v135 :: v_dual_and_b32 v134, 0x7fffff, v133
	s_delay_alu instid0(VALU_DEP_1) | instskip(SKIP_2) | instid1(VALU_DEP_4)
	v_or_b32_e32 v144, 0x800000, v134
	v_cmp_eq_u32_e32 vcc_lo, 0, v11
	v_add_nc_u32_e32 v11, 0xffffff89, v11
	v_cndmask_b32_e64 v135, v135, 0x77, vcc_lo
	s_delay_alu instid0(VALU_DEP_4) | instskip(NEXT) | instid1(VALU_DEP_3)
	v_cndmask_b32_e32 v134, v144, v134, vcc_lo
	v_cndmask_b32_e64 v11, v11, 0xffffff8a, vcc_lo
	s_delay_alu instid0(VALU_DEP_3) | instskip(NEXT) | instid1(VALU_DEP_3)
	v_lshl_add_u32 v144, 0x100000, v135, -1
	v_lshrrev_b32_e32 v145, v135, v134
	v_lshlrev_b32_e64 v147, v135, 0x80000
	s_delay_alu instid0(VALU_DEP_4) | instskip(NEXT) | instid1(VALU_DEP_4)
	v_add_nc_u32_e32 v135, v135, v11
	v_and_b32_e32 v134, v144, v134
	s_delay_alu instid0(VALU_DEP_4) | instskip(NEXT) | instid1(VALU_DEP_2)
	v_bfe_u32 v146, v145, 20, 1
	v_cmp_eq_u32_e64 s10, v134, v147
	s_delay_alu instid0(VALU_DEP_2) | instskip(NEXT) | instid1(VALU_DEP_1)
	v_add_nc_u32_e32 v144, -1, v146
	v_cndmask_b32_e64 v134, 0, v144, s10
	v_lshrrev_b32_e32 v144, 23, v145
	s_mov_b32 s10, exec_lo
	s_delay_alu instid0(VALU_DEP_2) | instskip(NEXT) | instid1(VALU_DEP_2)
	v_add_nc_u32_e32 v134, v134, v145
	v_xor_b32_e32 v144, 1, v144
	s_delay_alu instid0(VALU_DEP_2) | instskip(NEXT) | instid1(VALU_DEP_1)
	v_and_b32_e32 v11, 0xfffff, v134
	v_add_nc_u32_e32 v134, v11, v145
                                        ; implicit-def: $vgpr11
	s_delay_alu instid0(VALU_DEP_3)
	v_cmpx_ne_u32_e64 v135, v144
	s_xor_b32 s10, exec_lo, s10
; %bb.4184:                             ;   in Loop: Header=BB2_3892 Depth=2
	s_delay_alu instid0(VALU_DEP_2) | instskip(SKIP_2) | instid1(VALU_DEP_2)
	v_cmp_lt_u32_e32 vcc_lo, 0xffffff, v134
	v_sub_nc_u32_e32 v11, v135, v144
	v_cndmask_b32_e64 v135, 0, 1, vcc_lo
	v_add_co_ci_u32_e32 v11, vcc_lo, 0, v11, vcc_lo
	s_delay_alu instid0(VALU_DEP_2)
	v_lshrrev_b32_e32 v134, v135, v134
; %bb.4185:                             ;   in Loop: Header=BB2_3892 Depth=2
	s_and_not1_saveexec_b32 s10, s10
; %bb.4186:                             ;   in Loop: Header=BB2_3892 Depth=2
	s_delay_alu instid0(VALU_DEP_1)
	v_bfe_u32 v11, v134, 23, 1
; %bb.4187:                             ;   in Loop: Header=BB2_3892 Depth=2
	s_or_b32 exec_lo, exec_lo, s10
	v_lshrrev_b32_e32 v134, 20, v134
	s_delay_alu instid0(VALU_DEP_2) | instskip(SKIP_2) | instid1(VALU_DEP_2)
	v_cmp_gt_i32_e32 vcc_lo, 16, v11
	v_min_i32_e32 v135, 15, v11
	v_lshrrev_b32_e32 v133, 24, v133
	v_dual_cndmask_b32 v134, 7, v134 :: v_dual_lshlrev_b32 v135, 3, v135
	s_delay_alu instid0(VALU_DEP_2) | instskip(NEXT) | instid1(VALU_DEP_2)
	v_and_b32_e32 v133, 0x80, v133
	v_or_b32_e32 v11, v11, v134
	s_delay_alu instid0(VALU_DEP_3) | instskip(NEXT) | instid1(VALU_DEP_2)
	v_and_b32_e32 v135, 0xf8, v135
	v_cmp_ne_u32_e32 vcc_lo, 0, v11
	v_and_b32_e32 v144, 7, v134
	s_delay_alu instid0(VALU_DEP_1) | instskip(NEXT) | instid1(VALU_DEP_1)
	v_or3_b32 v133, v133, v135, v144
	v_lshlrev_b32_e32 v133, 8, v133
	s_delay_alu instid0(VALU_DEP_1)
	v_cndmask_b32_e32 v11, 0, v133, vcc_lo
.LBB2_4188:                             ;   in Loop: Header=BB2_3892 Depth=2
	s_or_b32 exec_lo, exec_lo, s24
.LBB2_4189:                             ;   in Loop: Header=BB2_3892 Depth=2
	s_delay_alu instid0(SALU_CYCLE_1) | instskip(SKIP_3) | instid1(VALU_DEP_1)
	s_or_b32 exec_lo, exec_lo, s23
	v_and_b32_e32 v134, 0xff, v12
	s_mov_b32 s10, 0
	s_mov_b32 s24, exec_lo
                                        ; implicit-def: $sgpr23
	v_cmpx_lt_i16_e64 0x7f, v134
	s_xor_b32 s24, exec_lo, s24
	s_cbranch_execnz .LBB2_4379
; %bb.4190:                             ;   in Loop: Header=BB2_3892 Depth=2
	s_or_saveexec_b32 s24, s24
	v_mov_b32_e32 v133, s23
	s_xor_b32 exec_lo, exec_lo, s24
	s_cbranch_execnz .LBB2_4382
.LBB2_4191:                             ;   in Loop: Header=BB2_3892 Depth=2
	s_or_b32 exec_lo, exec_lo, s24
	s_and_saveexec_b32 s23, s10
	s_cbranch_execz .LBB2_4193
.LBB2_4192:                             ;   in Loop: Header=BB2_3892 Depth=2
	v_bfe_u32 v144, v12, 3, 4
	v_lshlrev_b32_e32 v145, 24, v12
	s_delay_alu instid0(VALU_DEP_2) | instskip(SKIP_1) | instid1(VALU_DEP_1)
	v_cmp_eq_u32_e32 vcc_lo, 0, v144
	v_and_b32_e32 v133, 7, v12
	v_clz_i32_u32_e32 v134, v133
	s_delay_alu instid0(VALU_DEP_1) | instskip(NEXT) | instid1(VALU_DEP_1)
	v_min_u32_e32 v134, 32, v134
	v_subrev_nc_u32_e32 v135, 28, v134
	v_sub_nc_u32_e32 v134, 29, v134
	s_delay_alu instid0(VALU_DEP_1) | instskip(NEXT) | instid1(VALU_DEP_1)
	v_dual_cndmask_b32 v134, v144, v134 :: v_dual_lshlrev_b32 v135, v135, v12
	v_and_b32_e32 v135, 7, v135
	s_delay_alu instid0(VALU_DEP_2) | instskip(NEXT) | instid1(VALU_DEP_2)
	v_lshl_add_u32 v134, v134, 23, 0x3b800000
	v_cndmask_b32_e32 v133, v133, v135, vcc_lo
	v_and_b32_e32 v135, 0x80000000, v145
	s_delay_alu instid0(VALU_DEP_2) | instskip(NEXT) | instid1(VALU_DEP_1)
	v_lshlrev_b32_e32 v133, 20, v133
	v_or3_b32 v133, v135, v134, v133
.LBB2_4193:                             ;   in Loop: Header=BB2_3892 Depth=2
	s_or_b32 exec_lo, exec_lo, s23
	s_delay_alu instid0(VALU_DEP_1) | instskip(NEXT) | instid1(VALU_DEP_1)
	v_mul_f32_e32 v134, s22, v133
	v_and_b32_e32 v133, 0x7f800000, v134
	s_delay_alu instid0(VALU_DEP_1)
	v_cmp_ne_u32_e32 vcc_lo, 0x7f800000, v133
	v_mov_b32_e32 v133, 0x80
	s_and_saveexec_b32 s23, vcc_lo
	s_cbranch_execz .LBB2_4201
; %bb.4194:                             ;   in Loop: Header=BB2_3892 Depth=2
	v_mov_b32_e32 v133, 0
	s_mov_b32 s24, exec_lo
	v_cmpx_ne_u32_e32 0, v134
	s_cbranch_execz .LBB2_4200
; %bb.4195:                             ;   in Loop: Header=BB2_3892 Depth=2
	v_bfe_u32 v133, v134, 23, 8
	s_delay_alu instid0(VALU_DEP_1) | instskip(SKIP_1) | instid1(VALU_DEP_2)
	v_sub_nc_u32_e32 v144, 0x78, v133
	v_cmp_gt_u32_e32 vcc_lo, 0x79, v133
	v_dual_cndmask_b32 v144, 0, v144 :: v_dual_and_b32 v135, 0x7fffff, v134
	s_delay_alu instid0(VALU_DEP_1) | instskip(SKIP_2) | instid1(VALU_DEP_4)
	v_or_b32_e32 v145, 0x800000, v135
	v_cmp_eq_u32_e32 vcc_lo, 0, v133
	v_add_nc_u32_e32 v133, 0xffffff89, v133
	v_cndmask_b32_e64 v144, v144, 0x77, vcc_lo
	s_delay_alu instid0(VALU_DEP_2) | instskip(SKIP_1) | instid1(VALU_DEP_3)
	v_cndmask_b32_e64 v133, v133, 0xffffff8a, vcc_lo
	v_cndmask_b32_e32 v135, v145, v135, vcc_lo
	v_lshl_add_u32 v145, 0x100000, v144, -1
	v_lshlrev_b32_e64 v148, v144, 0x80000
	s_delay_alu instid0(VALU_DEP_3) | instskip(SKIP_1) | instid1(VALU_DEP_4)
	v_lshrrev_b32_e32 v146, v144, v135
	v_add_nc_u32_e32 v144, v144, v133
	v_and_b32_e32 v135, v145, v135
	s_delay_alu instid0(VALU_DEP_3) | instskip(NEXT) | instid1(VALU_DEP_2)
	v_bfe_u32 v147, v146, 20, 1
	v_cmp_eq_u32_e64 s10, v135, v148
	s_delay_alu instid0(VALU_DEP_2) | instskip(NEXT) | instid1(VALU_DEP_1)
	v_add_nc_u32_e32 v145, -1, v147
	v_cndmask_b32_e64 v135, 0, v145, s10
	v_lshrrev_b32_e32 v145, 23, v146
	s_mov_b32 s10, exec_lo
	s_delay_alu instid0(VALU_DEP_2) | instskip(NEXT) | instid1(VALU_DEP_2)
	v_add_nc_u32_e32 v135, v135, v146
	v_xor_b32_e32 v145, 1, v145
	s_delay_alu instid0(VALU_DEP_2) | instskip(NEXT) | instid1(VALU_DEP_1)
	v_and_b32_e32 v133, 0xfffff, v135
	v_add_nc_u32_e32 v135, v133, v146
                                        ; implicit-def: $vgpr133
	s_delay_alu instid0(VALU_DEP_3)
	v_cmpx_ne_u32_e64 v144, v145
	s_xor_b32 s10, exec_lo, s10
; %bb.4196:                             ;   in Loop: Header=BB2_3892 Depth=2
	s_delay_alu instid0(VALU_DEP_2) | instskip(SKIP_2) | instid1(VALU_DEP_2)
	v_cmp_lt_u32_e32 vcc_lo, 0xffffff, v135
	v_sub_nc_u32_e32 v133, v144, v145
	v_cndmask_b32_e64 v144, 0, 1, vcc_lo
	v_add_co_ci_u32_e32 v133, vcc_lo, 0, v133, vcc_lo
	s_delay_alu instid0(VALU_DEP_2)
	v_lshrrev_b32_e32 v135, v144, v135
; %bb.4197:                             ;   in Loop: Header=BB2_3892 Depth=2
	s_and_not1_saveexec_b32 s10, s10
; %bb.4198:                             ;   in Loop: Header=BB2_3892 Depth=2
	s_delay_alu instid0(VALU_DEP_1)
	v_bfe_u32 v133, v135, 23, 1
; %bb.4199:                             ;   in Loop: Header=BB2_3892 Depth=2
	s_or_b32 exec_lo, exec_lo, s10
	v_lshrrev_b32_e32 v135, 20, v135
	s_delay_alu instid0(VALU_DEP_2) | instskip(SKIP_2) | instid1(VALU_DEP_2)
	v_cmp_gt_i32_e32 vcc_lo, 16, v133
	v_lshrrev_b32_e32 v134, 24, v134
	v_min_i32_e32 v144, 15, v133
	v_dual_cndmask_b32 v135, 7, v135 :: v_dual_and_b32 v134, 0x80, v134
	s_delay_alu instid0(VALU_DEP_1) | instskip(SKIP_1) | instid1(VALU_DEP_2)
	v_or_b32_e32 v133, v133, v135
	v_and_b32_e32 v145, 7, v135
	v_cmp_ne_u32_e32 vcc_lo, 0, v133
	v_lshlrev_b32_e32 v144, 3, v144
	s_delay_alu instid0(VALU_DEP_1) | instskip(NEXT) | instid1(VALU_DEP_1)
	v_or3_b32 v134, v144, v134, v145
	v_cndmask_b32_e32 v133, 0, v134, vcc_lo
.LBB2_4200:                             ;   in Loop: Header=BB2_3892 Depth=2
	s_or_b32 exec_lo, exec_lo, s24
.LBB2_4201:                             ;   in Loop: Header=BB2_3892 Depth=2
	s_delay_alu instid0(SALU_CYCLE_1) | instskip(SKIP_3) | instid1(VALU_DEP_1)
	s_or_b32 exec_lo, exec_lo, s23
	v_lshrrev_b16 v134, 8, v12
	s_mov_b32 s10, 0
	s_mov_b32 s24, exec_lo
                                        ; implicit-def: $sgpr23
	v_cmpx_lt_i16_e64 0x7f, v134
	s_xor_b32 s24, exec_lo, s24
	s_cbranch_execnz .LBB2_4383
; %bb.4202:                             ;   in Loop: Header=BB2_3892 Depth=2
	s_or_saveexec_b32 s24, s24
	v_mov_b32_e32 v135, s23
	s_xor_b32 exec_lo, exec_lo, s24
	s_cbranch_execnz .LBB2_4386
.LBB2_4203:                             ;   in Loop: Header=BB2_3892 Depth=2
	s_or_b32 exec_lo, exec_lo, s24
	s_and_saveexec_b32 s23, s10
	s_cbranch_execz .LBB2_4205
.LBB2_4204:                             ;   in Loop: Header=BB2_3892 Depth=2
	v_and_b32_e32 v135, 0xffff, v134
	v_lshlrev_b32_e32 v134, 24, v134
	s_delay_alu instid0(VALU_DEP_2) | instskip(NEXT) | instid1(VALU_DEP_2)
	v_and_b32_e32 v144, 7, v135
	v_and_b32_e32 v134, 0x80000000, v134
	s_delay_alu instid0(VALU_DEP_2) | instskip(NEXT) | instid1(VALU_DEP_1)
	v_clz_i32_u32_e32 v145, v144
	v_min_u32_e32 v145, 32, v145
	s_delay_alu instid0(VALU_DEP_1) | instskip(SKIP_1) | instid1(VALU_DEP_2)
	v_subrev_nc_u32_e32 v146, 28, v145
	v_sub_nc_u32_e32 v145, 29, v145
	v_lshlrev_b32_e32 v146, v146, v135
	v_bfe_u32 v135, v135, 3, 4
	s_delay_alu instid0(VALU_DEP_2) | instskip(NEXT) | instid1(VALU_DEP_2)
	v_and_b32_e32 v146, 7, v146
	v_cmp_eq_u32_e32 vcc_lo, 0, v135
	s_delay_alu instid0(VALU_DEP_2) | instskip(NEXT) | instid1(VALU_DEP_1)
	v_dual_cndmask_b32 v135, v135, v145 :: v_dual_cndmask_b32 v144, v144, v146
	v_lshl_add_u32 v135, v135, 23, 0x3b800000
	s_delay_alu instid0(VALU_DEP_2) | instskip(NEXT) | instid1(VALU_DEP_1)
	v_lshlrev_b32_e32 v144, 20, v144
	v_or3_b32 v135, v134, v135, v144
.LBB2_4205:                             ;   in Loop: Header=BB2_3892 Depth=2
	s_or_b32 exec_lo, exec_lo, s23
	s_delay_alu instid0(VALU_DEP_1) | instskip(NEXT) | instid1(VALU_DEP_1)
	v_mul_f32_e32 v135, s22, v135
	v_and_b32_e32 v134, 0x7f800000, v135
	s_delay_alu instid0(VALU_DEP_1)
	v_cmp_ne_u32_e32 vcc_lo, 0x7f800000, v134
	v_mov_b32_e32 v134, 0x80
	s_and_saveexec_b32 s23, vcc_lo
	s_cbranch_execz .LBB2_4213
; %bb.4206:                             ;   in Loop: Header=BB2_3892 Depth=2
	v_mov_b32_e32 v134, 0
	s_mov_b32 s24, exec_lo
	v_cmpx_ne_u32_e32 0, v135
	s_cbranch_execz .LBB2_4212
; %bb.4207:                             ;   in Loop: Header=BB2_3892 Depth=2
	v_bfe_u32 v134, v135, 23, 8
	s_delay_alu instid0(VALU_DEP_1) | instskip(SKIP_1) | instid1(VALU_DEP_2)
	v_sub_nc_u32_e32 v145, 0x78, v134
	v_cmp_gt_u32_e32 vcc_lo, 0x79, v134
	v_dual_cndmask_b32 v145, 0, v145 :: v_dual_and_b32 v144, 0x7fffff, v135
	s_delay_alu instid0(VALU_DEP_1) | instskip(SKIP_2) | instid1(VALU_DEP_4)
	v_or_b32_e32 v146, 0x800000, v144
	v_cmp_eq_u32_e32 vcc_lo, 0, v134
	v_add_nc_u32_e32 v134, 0xffffff89, v134
	v_cndmask_b32_e64 v145, v145, 0x77, vcc_lo
	s_delay_alu instid0(VALU_DEP_2) | instskip(SKIP_1) | instid1(VALU_DEP_3)
	v_cndmask_b32_e64 v134, v134, 0xffffff8a, vcc_lo
	v_cndmask_b32_e32 v144, v146, v144, vcc_lo
	v_lshl_add_u32 v146, 0x100000, v145, -1
	v_lshlrev_b32_e64 v149, v145, 0x80000
	s_delay_alu instid0(VALU_DEP_3) | instskip(SKIP_1) | instid1(VALU_DEP_4)
	v_lshrrev_b32_e32 v147, v145, v144
	v_add_nc_u32_e32 v145, v145, v134
	v_and_b32_e32 v144, v146, v144
	s_delay_alu instid0(VALU_DEP_3) | instskip(NEXT) | instid1(VALU_DEP_2)
	v_bfe_u32 v148, v147, 20, 1
	v_cmp_eq_u32_e64 s10, v144, v149
	s_delay_alu instid0(VALU_DEP_2) | instskip(NEXT) | instid1(VALU_DEP_1)
	v_add_nc_u32_e32 v146, -1, v148
	v_cndmask_b32_e64 v144, 0, v146, s10
	v_lshrrev_b32_e32 v146, 23, v147
	s_mov_b32 s10, exec_lo
	s_delay_alu instid0(VALU_DEP_2) | instskip(NEXT) | instid1(VALU_DEP_2)
	v_add_nc_u32_e32 v144, v144, v147
	v_xor_b32_e32 v146, 1, v146
	s_delay_alu instid0(VALU_DEP_2) | instskip(NEXT) | instid1(VALU_DEP_1)
	v_and_b32_e32 v134, 0xfffff, v144
	v_add_nc_u32_e32 v144, v134, v147
                                        ; implicit-def: $vgpr134
	s_delay_alu instid0(VALU_DEP_3)
	v_cmpx_ne_u32_e64 v145, v146
	s_xor_b32 s10, exec_lo, s10
; %bb.4208:                             ;   in Loop: Header=BB2_3892 Depth=2
	s_delay_alu instid0(VALU_DEP_2) | instskip(SKIP_2) | instid1(VALU_DEP_2)
	v_cmp_lt_u32_e32 vcc_lo, 0xffffff, v144
	v_sub_nc_u32_e32 v134, v145, v146
	v_cndmask_b32_e64 v145, 0, 1, vcc_lo
	v_add_co_ci_u32_e32 v134, vcc_lo, 0, v134, vcc_lo
	s_delay_alu instid0(VALU_DEP_2)
	v_lshrrev_b32_e32 v144, v145, v144
; %bb.4209:                             ;   in Loop: Header=BB2_3892 Depth=2
	s_and_not1_saveexec_b32 s10, s10
; %bb.4210:                             ;   in Loop: Header=BB2_3892 Depth=2
	s_delay_alu instid0(VALU_DEP_1)
	v_bfe_u32 v134, v144, 23, 1
; %bb.4211:                             ;   in Loop: Header=BB2_3892 Depth=2
	s_or_b32 exec_lo, exec_lo, s10
	v_lshrrev_b32_e32 v144, 20, v144
	s_delay_alu instid0(VALU_DEP_2) | instskip(SKIP_2) | instid1(VALU_DEP_2)
	v_cmp_gt_i32_e32 vcc_lo, 16, v134
	v_lshrrev_b32_e32 v135, 24, v135
	v_min_i32_e32 v145, 15, v134
	v_dual_cndmask_b32 v144, 7, v144 :: v_dual_and_b32 v135, 0x80, v135
	s_delay_alu instid0(VALU_DEP_1) | instskip(SKIP_1) | instid1(VALU_DEP_2)
	v_or_b32_e32 v134, v134, v144
	v_and_b32_e32 v146, 7, v144
	v_cmp_ne_u32_e32 vcc_lo, 0, v134
	v_lshlrev_b32_e32 v145, 3, v145
	s_delay_alu instid0(VALU_DEP_1) | instskip(NEXT) | instid1(VALU_DEP_1)
	v_or3_b32 v135, v145, v135, v146
	v_cndmask_b32_e32 v134, 0, v135, vcc_lo
.LBB2_4212:                             ;   in Loop: Header=BB2_3892 Depth=2
	s_or_b32 exec_lo, exec_lo, s24
.LBB2_4213:                             ;   in Loop: Header=BB2_3892 Depth=2
	s_delay_alu instid0(SALU_CYCLE_1) | instskip(SKIP_3) | instid1(VALU_DEP_1)
	s_or_b32 exec_lo, exec_lo, s23
	v_lshrrev_b32_e32 v135, 16, v12
	s_mov_b32 s10, 0
	s_mov_b32 s24, exec_lo
                                        ; implicit-def: $sgpr23
	v_and_b32_e32 v145, 0xff, v135
	s_delay_alu instid0(VALU_DEP_1)
	v_cmpx_lt_i16_e64 0x7f, v145
	s_xor_b32 s24, exec_lo, s24
	s_cbranch_execnz .LBB2_4387
; %bb.4214:                             ;   in Loop: Header=BB2_3892 Depth=2
	s_or_saveexec_b32 s24, s24
	v_mov_b32_e32 v144, s23
	s_xor_b32 exec_lo, exec_lo, s24
	s_cbranch_execnz .LBB2_4390
.LBB2_4215:                             ;   in Loop: Header=BB2_3892 Depth=2
	s_or_b32 exec_lo, exec_lo, s24
	s_and_saveexec_b32 s23, s10
	s_cbranch_execz .LBB2_4217
.LBB2_4216:                             ;   in Loop: Header=BB2_3892 Depth=2
	v_bfe_u32 v144, v12, 16, 3
	v_lshlrev_b32_e32 v147, 8, v12
	s_delay_alu instid0(VALU_DEP_2) | instskip(NEXT) | instid1(VALU_DEP_1)
	v_clz_i32_u32_e32 v145, v144
	v_min_u32_e32 v145, 32, v145
	s_delay_alu instid0(VALU_DEP_1) | instskip(SKIP_1) | instid1(VALU_DEP_2)
	v_subrev_nc_u32_e32 v146, 28, v145
	v_sub_nc_u32_e32 v145, 29, v145
	v_lshlrev_b32_e32 v135, v146, v135
	v_bfe_u32 v146, v12, 19, 4
	s_delay_alu instid0(VALU_DEP_2) | instskip(NEXT) | instid1(VALU_DEP_2)
	v_and_b32_e32 v135, 7, v135
	v_cmp_eq_u32_e32 vcc_lo, 0, v146
	v_cndmask_b32_e32 v145, v146, v145, vcc_lo
	s_delay_alu instid0(VALU_DEP_3) | instskip(SKIP_1) | instid1(VALU_DEP_3)
	v_cndmask_b32_e32 v135, v144, v135, vcc_lo
	v_and_b32_e32 v144, 0x80000000, v147
	v_lshl_add_u32 v145, v145, 23, 0x3b800000
	s_delay_alu instid0(VALU_DEP_3) | instskip(NEXT) | instid1(VALU_DEP_1)
	v_lshlrev_b32_e32 v135, 20, v135
	v_or3_b32 v144, v144, v145, v135
.LBB2_4217:                             ;   in Loop: Header=BB2_3892 Depth=2
	s_or_b32 exec_lo, exec_lo, s23
	s_delay_alu instid0(VALU_DEP_1) | instskip(NEXT) | instid1(VALU_DEP_1)
	v_mul_f32_e32 v144, s22, v144
	v_and_b32_e32 v135, 0x7f800000, v144
	s_delay_alu instid0(VALU_DEP_1)
	v_cmp_ne_u32_e32 vcc_lo, 0x7f800000, v135
	v_mov_b32_e32 v135, 0x80
	s_and_saveexec_b32 s23, vcc_lo
	s_cbranch_execz .LBB2_4225
; %bb.4218:                             ;   in Loop: Header=BB2_3892 Depth=2
	v_mov_b32_e32 v135, 0
	s_mov_b32 s24, exec_lo
	v_cmpx_ne_u32_e32 0, v144
	s_cbranch_execz .LBB2_4224
; %bb.4219:                             ;   in Loop: Header=BB2_3892 Depth=2
	v_bfe_u32 v135, v144, 23, 8
	s_delay_alu instid0(VALU_DEP_1) | instskip(SKIP_1) | instid1(VALU_DEP_2)
	v_sub_nc_u32_e32 v146, 0x78, v135
	v_cmp_gt_u32_e32 vcc_lo, 0x79, v135
	v_dual_cndmask_b32 v146, 0, v146 :: v_dual_and_b32 v145, 0x7fffff, v144
	s_delay_alu instid0(VALU_DEP_1) | instskip(SKIP_2) | instid1(VALU_DEP_4)
	v_or_b32_e32 v147, 0x800000, v145
	v_cmp_eq_u32_e32 vcc_lo, 0, v135
	v_add_nc_u32_e32 v135, 0xffffff89, v135
	v_cndmask_b32_e64 v146, v146, 0x77, vcc_lo
	s_delay_alu instid0(VALU_DEP_2) | instskip(SKIP_1) | instid1(VALU_DEP_3)
	v_cndmask_b32_e64 v135, v135, 0xffffff8a, vcc_lo
	v_cndmask_b32_e32 v145, v147, v145, vcc_lo
	v_lshl_add_u32 v147, 0x100000, v146, -1
	v_lshlrev_b32_e64 v150, v146, 0x80000
	s_delay_alu instid0(VALU_DEP_3) | instskip(SKIP_1) | instid1(VALU_DEP_4)
	v_lshrrev_b32_e32 v148, v146, v145
	v_add_nc_u32_e32 v146, v146, v135
	v_and_b32_e32 v145, v147, v145
	s_delay_alu instid0(VALU_DEP_3) | instskip(NEXT) | instid1(VALU_DEP_2)
	v_bfe_u32 v149, v148, 20, 1
	v_cmp_eq_u32_e64 s10, v145, v150
	s_delay_alu instid0(VALU_DEP_2) | instskip(NEXT) | instid1(VALU_DEP_1)
	v_add_nc_u32_e32 v147, -1, v149
	v_cndmask_b32_e64 v145, 0, v147, s10
	v_lshrrev_b32_e32 v147, 23, v148
	s_mov_b32 s10, exec_lo
	s_delay_alu instid0(VALU_DEP_2) | instskip(NEXT) | instid1(VALU_DEP_2)
	v_add_nc_u32_e32 v145, v145, v148
	v_xor_b32_e32 v147, 1, v147
	s_delay_alu instid0(VALU_DEP_2) | instskip(NEXT) | instid1(VALU_DEP_1)
	v_and_b32_e32 v135, 0xfffff, v145
	v_add_nc_u32_e32 v145, v135, v148
                                        ; implicit-def: $vgpr135
	s_delay_alu instid0(VALU_DEP_3)
	v_cmpx_ne_u32_e64 v146, v147
	s_xor_b32 s10, exec_lo, s10
; %bb.4220:                             ;   in Loop: Header=BB2_3892 Depth=2
	s_delay_alu instid0(VALU_DEP_2) | instskip(SKIP_2) | instid1(VALU_DEP_2)
	v_cmp_lt_u32_e32 vcc_lo, 0xffffff, v145
	v_sub_nc_u32_e32 v135, v146, v147
	v_cndmask_b32_e64 v146, 0, 1, vcc_lo
	v_add_co_ci_u32_e32 v135, vcc_lo, 0, v135, vcc_lo
	s_delay_alu instid0(VALU_DEP_2)
	v_lshrrev_b32_e32 v145, v146, v145
; %bb.4221:                             ;   in Loop: Header=BB2_3892 Depth=2
	s_and_not1_saveexec_b32 s10, s10
; %bb.4222:                             ;   in Loop: Header=BB2_3892 Depth=2
	s_delay_alu instid0(VALU_DEP_1)
	v_bfe_u32 v135, v145, 23, 1
; %bb.4223:                             ;   in Loop: Header=BB2_3892 Depth=2
	s_or_b32 exec_lo, exec_lo, s10
	v_lshrrev_b32_e32 v145, 20, v145
	s_delay_alu instid0(VALU_DEP_2) | instskip(SKIP_2) | instid1(VALU_DEP_2)
	v_cmp_gt_i32_e32 vcc_lo, 16, v135
	v_lshrrev_b32_e32 v144, 24, v144
	v_min_i32_e32 v146, 15, v135
	v_dual_cndmask_b32 v145, 7, v145 :: v_dual_and_b32 v144, 0x80, v144
	s_delay_alu instid0(VALU_DEP_1) | instskip(SKIP_1) | instid1(VALU_DEP_2)
	v_or_b32_e32 v135, v135, v145
	v_and_b32_e32 v147, 7, v145
	v_cmp_ne_u32_e32 vcc_lo, 0, v135
	v_lshlrev_b32_e32 v146, 3, v146
	s_delay_alu instid0(VALU_DEP_1) | instskip(NEXT) | instid1(VALU_DEP_1)
	v_or3_b32 v144, v146, v144, v147
	v_cndmask_b32_e32 v135, 0, v144, vcc_lo
.LBB2_4224:                             ;   in Loop: Header=BB2_3892 Depth=2
	s_or_b32 exec_lo, exec_lo, s24
.LBB2_4225:                             ;   in Loop: Header=BB2_3892 Depth=2
	s_delay_alu instid0(SALU_CYCLE_1) | instskip(SKIP_3) | instid1(VALU_DEP_1)
	s_or_b32 exec_lo, exec_lo, s23
	v_lshrrev_b32_e32 v144, 24, v12
	s_mov_b32 s10, 0
	s_mov_b32 s24, exec_lo
                                        ; implicit-def: $sgpr23
	v_cmpx_lt_i16_e64 0x7f, v144
	s_xor_b32 s24, exec_lo, s24
	s_cbranch_execnz .LBB2_4391
; %bb.4226:                             ;   in Loop: Header=BB2_3892 Depth=2
	s_or_saveexec_b32 s24, s24
	v_mov_b32_e32 v145, s23
	s_xor_b32 exec_lo, exec_lo, s24
	s_cbranch_execnz .LBB2_4394
.LBB2_4227:                             ;   in Loop: Header=BB2_3892 Depth=2
	s_or_b32 exec_lo, exec_lo, s24
	s_and_saveexec_b32 s23, s10
	s_cbranch_execz .LBB2_4229
.LBB2_4228:                             ;   in Loop: Header=BB2_3892 Depth=2
	v_bfe_u32 v145, v12, 24, 3
	s_delay_alu instid0(VALU_DEP_1) | instskip(NEXT) | instid1(VALU_DEP_1)
	v_clz_i32_u32_e32 v146, v145
	v_min_u32_e32 v146, 32, v146
	s_delay_alu instid0(VALU_DEP_1) | instskip(SKIP_1) | instid1(VALU_DEP_2)
	v_subrev_nc_u32_e32 v147, 28, v146
	v_sub_nc_u32_e32 v146, 29, v146
	v_lshlrev_b32_e32 v144, v147, v144
	v_bfe_u32 v147, v12, 27, 4
	v_and_b32_e32 v12, 0x80000000, v12
	s_delay_alu instid0(VALU_DEP_3) | instskip(NEXT) | instid1(VALU_DEP_3)
	v_and_b32_e32 v144, 7, v144
	v_cmp_eq_u32_e32 vcc_lo, 0, v147
	v_cndmask_b32_e32 v146, v147, v146, vcc_lo
	s_delay_alu instid0(VALU_DEP_3) | instskip(NEXT) | instid1(VALU_DEP_2)
	v_cndmask_b32_e32 v144, v145, v144, vcc_lo
	v_lshl_add_u32 v145, v146, 23, 0x3b800000
	s_delay_alu instid0(VALU_DEP_2) | instskip(NEXT) | instid1(VALU_DEP_1)
	v_lshlrev_b32_e32 v144, 20, v144
	v_or3_b32 v145, v12, v145, v144
.LBB2_4229:                             ;   in Loop: Header=BB2_3892 Depth=2
	s_or_b32 exec_lo, exec_lo, s23
	s_delay_alu instid0(VALU_DEP_1) | instskip(NEXT) | instid1(VALU_DEP_1)
	v_mul_f32_e32 v144, s22, v145
	v_and_b32_e32 v12, 0x7f800000, v144
	s_delay_alu instid0(VALU_DEP_1)
	v_cmp_ne_u32_e32 vcc_lo, 0x7f800000, v12
	v_mov_b32_e32 v12, 0x80
	s_and_saveexec_b32 s23, vcc_lo
	s_cbranch_execz .LBB2_4237
; %bb.4230:                             ;   in Loop: Header=BB2_3892 Depth=2
	v_mov_b32_e32 v12, 0
	s_mov_b32 s24, exec_lo
	v_cmpx_ne_u32_e32 0, v144
	s_cbranch_execz .LBB2_4236
; %bb.4231:                             ;   in Loop: Header=BB2_3892 Depth=2
	v_bfe_u32 v12, v144, 23, 8
	s_delay_alu instid0(VALU_DEP_1) | instskip(SKIP_1) | instid1(VALU_DEP_2)
	v_sub_nc_u32_e32 v146, 0x78, v12
	v_cmp_gt_u32_e32 vcc_lo, 0x79, v12
	v_dual_cndmask_b32 v146, 0, v146 :: v_dual_and_b32 v145, 0x7fffff, v144
	s_delay_alu instid0(VALU_DEP_1) | instskip(SKIP_2) | instid1(VALU_DEP_4)
	v_or_b32_e32 v147, 0x800000, v145
	v_cmp_eq_u32_e32 vcc_lo, 0, v12
	v_add_nc_u32_e32 v12, 0xffffff89, v12
	v_cndmask_b32_e64 v146, v146, 0x77, vcc_lo
	s_delay_alu instid0(VALU_DEP_4) | instskip(NEXT) | instid1(VALU_DEP_3)
	v_cndmask_b32_e32 v145, v147, v145, vcc_lo
	v_cndmask_b32_e64 v12, v12, 0xffffff8a, vcc_lo
	s_delay_alu instid0(VALU_DEP_3) | instskip(NEXT) | instid1(VALU_DEP_3)
	v_lshl_add_u32 v147, 0x100000, v146, -1
	v_lshrrev_b32_e32 v148, v146, v145
	v_lshlrev_b32_e64 v150, v146, 0x80000
	s_delay_alu instid0(VALU_DEP_4) | instskip(NEXT) | instid1(VALU_DEP_4)
	v_add_nc_u32_e32 v146, v146, v12
	v_and_b32_e32 v145, v147, v145
	s_delay_alu instid0(VALU_DEP_4) | instskip(NEXT) | instid1(VALU_DEP_2)
	v_bfe_u32 v149, v148, 20, 1
	v_cmp_eq_u32_e64 s10, v145, v150
	s_delay_alu instid0(VALU_DEP_2) | instskip(NEXT) | instid1(VALU_DEP_1)
	v_add_nc_u32_e32 v147, -1, v149
	v_cndmask_b32_e64 v145, 0, v147, s10
	v_lshrrev_b32_e32 v147, 23, v148
	s_mov_b32 s10, exec_lo
	s_delay_alu instid0(VALU_DEP_2) | instskip(NEXT) | instid1(VALU_DEP_2)
	v_add_nc_u32_e32 v145, v145, v148
	v_xor_b32_e32 v147, 1, v147
	s_delay_alu instid0(VALU_DEP_2) | instskip(NEXT) | instid1(VALU_DEP_1)
	v_and_b32_e32 v12, 0xfffff, v145
	v_add_nc_u32_e32 v145, v12, v148
                                        ; implicit-def: $vgpr12
	s_delay_alu instid0(VALU_DEP_3)
	v_cmpx_ne_u32_e64 v146, v147
	s_xor_b32 s10, exec_lo, s10
; %bb.4232:                             ;   in Loop: Header=BB2_3892 Depth=2
	s_delay_alu instid0(VALU_DEP_2) | instskip(SKIP_2) | instid1(VALU_DEP_2)
	v_cmp_lt_u32_e32 vcc_lo, 0xffffff, v145
	v_sub_nc_u32_e32 v12, v146, v147
	v_cndmask_b32_e64 v146, 0, 1, vcc_lo
	v_add_co_ci_u32_e32 v12, vcc_lo, 0, v12, vcc_lo
	s_delay_alu instid0(VALU_DEP_2)
	v_lshrrev_b32_e32 v145, v146, v145
; %bb.4233:                             ;   in Loop: Header=BB2_3892 Depth=2
	s_and_not1_saveexec_b32 s10, s10
; %bb.4234:                             ;   in Loop: Header=BB2_3892 Depth=2
	s_delay_alu instid0(VALU_DEP_1)
	v_bfe_u32 v12, v145, 23, 1
; %bb.4235:                             ;   in Loop: Header=BB2_3892 Depth=2
	s_or_b32 exec_lo, exec_lo, s10
	v_lshrrev_b32_e32 v145, 20, v145
	s_delay_alu instid0(VALU_DEP_2) | instskip(SKIP_2) | instid1(VALU_DEP_2)
	v_cmp_gt_i32_e32 vcc_lo, 16, v12
	v_lshrrev_b32_e32 v144, 24, v144
	v_min_i32_e32 v146, 15, v12
	v_dual_cndmask_b32 v145, 7, v145 :: v_dual_and_b32 v144, 0x80, v144
	s_delay_alu instid0(VALU_DEP_2) | instskip(NEXT) | instid1(VALU_DEP_2)
	v_lshlrev_b32_e32 v146, 3, v146
	v_or_b32_e32 v12, v12, v145
	s_delay_alu instid0(VALU_DEP_1) | instskip(SKIP_1) | instid1(VALU_DEP_1)
	v_cmp_ne_u32_e32 vcc_lo, 0, v12
	v_and_b32_e32 v147, 7, v145
	v_or3_b32 v144, v146, v144, v147
	s_delay_alu instid0(VALU_DEP_1)
	v_cndmask_b32_e32 v12, 0, v144, vcc_lo
.LBB2_4236:                             ;   in Loop: Header=BB2_3892 Depth=2
	s_or_b32 exec_lo, exec_lo, s24
.LBB2_4237:                             ;   in Loop: Header=BB2_3892 Depth=2
	s_delay_alu instid0(SALU_CYCLE_1) | instskip(SKIP_3) | instid1(VALU_DEP_1)
	s_or_b32 exec_lo, exec_lo, s23
	v_and_b32_e32 v145, 0xff, v13
	s_mov_b32 s10, 0
	s_mov_b32 s24, exec_lo
                                        ; implicit-def: $sgpr23
	v_cmpx_lt_i16_e64 0x7f, v145
	s_xor_b32 s24, exec_lo, s24
	s_cbranch_execnz .LBB2_4395
; %bb.4238:                             ;   in Loop: Header=BB2_3892 Depth=2
	s_or_saveexec_b32 s24, s24
	v_mov_b32_e32 v144, s23
	s_xor_b32 exec_lo, exec_lo, s24
	s_cbranch_execnz .LBB2_4398
.LBB2_4239:                             ;   in Loop: Header=BB2_3892 Depth=2
	s_or_b32 exec_lo, exec_lo, s24
	s_and_saveexec_b32 s23, s10
	s_cbranch_execz .LBB2_4241
.LBB2_4240:                             ;   in Loop: Header=BB2_3892 Depth=2
	v_and_b32_e32 v144, 7, v13
	v_bfe_u32 v147, v13, 3, 4
	v_lshlrev_b32_e32 v148, 24, v13
	s_delay_alu instid0(VALU_DEP_3) | instskip(NEXT) | instid1(VALU_DEP_3)
	v_clz_i32_u32_e32 v145, v144
	v_cmp_eq_u32_e32 vcc_lo, 0, v147
	s_delay_alu instid0(VALU_DEP_2) | instskip(NEXT) | instid1(VALU_DEP_1)
	v_min_u32_e32 v145, 32, v145
	v_subrev_nc_u32_e32 v146, 28, v145
	v_sub_nc_u32_e32 v145, 29, v145
	s_delay_alu instid0(VALU_DEP_2) | instskip(NEXT) | instid1(VALU_DEP_1)
	v_lshlrev_b32_e32 v146, v146, v13
	v_dual_cndmask_b32 v145, v147, v145 :: v_dual_and_b32 v146, 7, v146
	s_delay_alu instid0(VALU_DEP_1) | instskip(NEXT) | instid1(VALU_DEP_2)
	v_lshl_add_u32 v145, v145, 23, 0x3b800000
	v_cndmask_b32_e32 v144, v144, v146, vcc_lo
	v_and_b32_e32 v146, 0x80000000, v148
	s_delay_alu instid0(VALU_DEP_2) | instskip(NEXT) | instid1(VALU_DEP_1)
	v_lshlrev_b32_e32 v144, 20, v144
	v_or3_b32 v144, v146, v145, v144
.LBB2_4241:                             ;   in Loop: Header=BB2_3892 Depth=2
	s_or_b32 exec_lo, exec_lo, s23
	s_delay_alu instid0(VALU_DEP_1) | instskip(NEXT) | instid1(VALU_DEP_1)
	v_mul_f32_e32 v145, s22, v144
	v_and_b32_e32 v144, 0x7f800000, v145
	s_delay_alu instid0(VALU_DEP_1)
	v_cmp_ne_u32_e32 vcc_lo, 0x7f800000, v144
	v_mov_b32_e32 v144, 0x80
	s_and_saveexec_b32 s23, vcc_lo
	s_cbranch_execz .LBB2_4249
; %bb.4242:                             ;   in Loop: Header=BB2_3892 Depth=2
	v_mov_b32_e32 v144, 0
	s_mov_b32 s24, exec_lo
	v_cmpx_ne_u32_e32 0, v145
	s_cbranch_execz .LBB2_4248
; %bb.4243:                             ;   in Loop: Header=BB2_3892 Depth=2
	v_bfe_u32 v144, v145, 23, 8
	s_delay_alu instid0(VALU_DEP_1) | instskip(SKIP_1) | instid1(VALU_DEP_2)
	v_sub_nc_u32_e32 v147, 0x78, v144
	v_cmp_gt_u32_e32 vcc_lo, 0x79, v144
	v_dual_cndmask_b32 v147, 0, v147 :: v_dual_and_b32 v146, 0x7fffff, v145
	s_delay_alu instid0(VALU_DEP_1) | instskip(SKIP_2) | instid1(VALU_DEP_4)
	v_or_b32_e32 v148, 0x800000, v146
	v_cmp_eq_u32_e32 vcc_lo, 0, v144
	v_add_nc_u32_e32 v144, 0xffffff89, v144
	v_cndmask_b32_e64 v147, v147, 0x77, vcc_lo
	s_delay_alu instid0(VALU_DEP_2) | instskip(SKIP_1) | instid1(VALU_DEP_3)
	v_cndmask_b32_e64 v144, v144, 0xffffff8a, vcc_lo
	v_cndmask_b32_e32 v146, v148, v146, vcc_lo
	v_lshl_add_u32 v148, 0x100000, v147, -1
	v_lshlrev_b32_e64 v151, v147, 0x80000
	s_delay_alu instid0(VALU_DEP_3) | instskip(SKIP_1) | instid1(VALU_DEP_4)
	v_lshrrev_b32_e32 v149, v147, v146
	v_add_nc_u32_e32 v147, v147, v144
	v_and_b32_e32 v146, v148, v146
	s_delay_alu instid0(VALU_DEP_3) | instskip(NEXT) | instid1(VALU_DEP_2)
	v_bfe_u32 v150, v149, 20, 1
	v_cmp_eq_u32_e64 s10, v146, v151
	s_delay_alu instid0(VALU_DEP_2) | instskip(NEXT) | instid1(VALU_DEP_1)
	v_add_nc_u32_e32 v148, -1, v150
	v_cndmask_b32_e64 v146, 0, v148, s10
	v_lshrrev_b32_e32 v148, 23, v149
	s_mov_b32 s10, exec_lo
	s_delay_alu instid0(VALU_DEP_2) | instskip(NEXT) | instid1(VALU_DEP_2)
	v_add_nc_u32_e32 v146, v146, v149
	v_xor_b32_e32 v148, 1, v148
	s_delay_alu instid0(VALU_DEP_2) | instskip(NEXT) | instid1(VALU_DEP_1)
	v_and_b32_e32 v144, 0xfffff, v146
	v_add_nc_u32_e32 v146, v144, v149
                                        ; implicit-def: $vgpr144
	s_delay_alu instid0(VALU_DEP_3)
	v_cmpx_ne_u32_e64 v147, v148
	s_xor_b32 s10, exec_lo, s10
; %bb.4244:                             ;   in Loop: Header=BB2_3892 Depth=2
	s_delay_alu instid0(VALU_DEP_2) | instskip(SKIP_2) | instid1(VALU_DEP_2)
	v_cmp_lt_u32_e32 vcc_lo, 0xffffff, v146
	v_sub_nc_u32_e32 v144, v147, v148
	v_cndmask_b32_e64 v147, 0, 1, vcc_lo
	v_add_co_ci_u32_e32 v144, vcc_lo, 0, v144, vcc_lo
	s_delay_alu instid0(VALU_DEP_2)
	v_lshrrev_b32_e32 v146, v147, v146
; %bb.4245:                             ;   in Loop: Header=BB2_3892 Depth=2
	s_and_not1_saveexec_b32 s10, s10
; %bb.4246:                             ;   in Loop: Header=BB2_3892 Depth=2
	s_delay_alu instid0(VALU_DEP_1)
	v_bfe_u32 v144, v146, 23, 1
; %bb.4247:                             ;   in Loop: Header=BB2_3892 Depth=2
	s_or_b32 exec_lo, exec_lo, s10
	v_lshrrev_b32_e32 v146, 20, v146
	s_delay_alu instid0(VALU_DEP_2) | instskip(SKIP_2) | instid1(VALU_DEP_2)
	v_cmp_gt_i32_e32 vcc_lo, 16, v144
	v_min_i32_e32 v147, 15, v144
	v_lshrrev_b32_e32 v145, 24, v145
	v_dual_cndmask_b32 v146, 7, v146 :: v_dual_lshlrev_b32 v147, 3, v147
	s_delay_alu instid0(VALU_DEP_2) | instskip(NEXT) | instid1(VALU_DEP_2)
	v_and_b32_e32 v145, 0x80, v145
	v_or_b32_e32 v144, v144, v146
	v_and_b32_e32 v148, 7, v146
	s_delay_alu instid0(VALU_DEP_2) | instskip(SKIP_1) | instid1(VALU_DEP_1)
	v_cmp_ne_u32_e32 vcc_lo, 0, v144
	v_and_b32_e32 v147, 0xf8, v147
	v_or3_b32 v145, v147, v145, v148
	s_delay_alu instid0(VALU_DEP_1)
	v_cndmask_b32_e32 v144, 0, v145, vcc_lo
.LBB2_4248:                             ;   in Loop: Header=BB2_3892 Depth=2
	s_or_b32 exec_lo, exec_lo, s24
.LBB2_4249:                             ;   in Loop: Header=BB2_3892 Depth=2
	s_delay_alu instid0(SALU_CYCLE_1) | instskip(SKIP_3) | instid1(VALU_DEP_1)
	s_or_b32 exec_lo, exec_lo, s23
	v_lshrrev_b16 v145, 8, v13
	s_mov_b32 s10, 0
	s_mov_b32 s24, exec_lo
                                        ; implicit-def: $sgpr23
	v_cmpx_lt_i16_e64 0x7f, v145
	s_xor_b32 s24, exec_lo, s24
	s_cbranch_execnz .LBB2_4399
; %bb.4250:                             ;   in Loop: Header=BB2_3892 Depth=2
	s_or_saveexec_b32 s24, s24
	v_mov_b32_e32 v146, s23
	s_xor_b32 exec_lo, exec_lo, s24
	s_cbranch_execnz .LBB2_4402
.LBB2_4251:                             ;   in Loop: Header=BB2_3892 Depth=2
	s_or_b32 exec_lo, exec_lo, s24
	s_and_saveexec_b32 s23, s10
	s_cbranch_execz .LBB2_4253
.LBB2_4252:                             ;   in Loop: Header=BB2_3892 Depth=2
	v_and_b32_e32 v146, 0xffff, v145
	v_lshlrev_b32_e32 v145, 24, v145
	s_delay_alu instid0(VALU_DEP_2) | instskip(NEXT) | instid1(VALU_DEP_2)
	v_and_b32_e32 v147, 7, v146
	v_and_b32_e32 v145, 0x80000000, v145
	s_delay_alu instid0(VALU_DEP_2) | instskip(NEXT) | instid1(VALU_DEP_1)
	v_clz_i32_u32_e32 v148, v147
	v_min_u32_e32 v148, 32, v148
	s_delay_alu instid0(VALU_DEP_1) | instskip(SKIP_1) | instid1(VALU_DEP_2)
	v_subrev_nc_u32_e32 v149, 28, v148
	v_sub_nc_u32_e32 v148, 29, v148
	v_lshlrev_b32_e32 v149, v149, v146
	v_bfe_u32 v146, v146, 3, 4
	s_delay_alu instid0(VALU_DEP_2) | instskip(NEXT) | instid1(VALU_DEP_2)
	v_and_b32_e32 v149, 7, v149
	v_cmp_eq_u32_e32 vcc_lo, 0, v146
	s_delay_alu instid0(VALU_DEP_2) | instskip(NEXT) | instid1(VALU_DEP_1)
	v_dual_cndmask_b32 v146, v146, v148 :: v_dual_cndmask_b32 v147, v147, v149
	v_lshl_add_u32 v146, v146, 23, 0x3b800000
	s_delay_alu instid0(VALU_DEP_2) | instskip(NEXT) | instid1(VALU_DEP_1)
	v_lshlrev_b32_e32 v147, 20, v147
	v_or3_b32 v146, v145, v146, v147
.LBB2_4253:                             ;   in Loop: Header=BB2_3892 Depth=2
	s_or_b32 exec_lo, exec_lo, s23
	s_delay_alu instid0(VALU_DEP_1) | instskip(NEXT) | instid1(VALU_DEP_1)
	v_mul_f32_e32 v146, s22, v146
	v_and_b32_e32 v145, 0x7f800000, v146
	s_delay_alu instid0(VALU_DEP_1)
	v_cmp_ne_u32_e32 vcc_lo, 0x7f800000, v145
	v_mov_b32_e32 v145, 0x8000
	s_and_saveexec_b32 s23, vcc_lo
	s_cbranch_execz .LBB2_4261
; %bb.4254:                             ;   in Loop: Header=BB2_3892 Depth=2
	v_mov_b32_e32 v145, 0
	s_mov_b32 s24, exec_lo
	v_cmpx_ne_u32_e32 0, v146
	s_cbranch_execz .LBB2_4260
; %bb.4255:                             ;   in Loop: Header=BB2_3892 Depth=2
	v_bfe_u32 v145, v146, 23, 8
	s_delay_alu instid0(VALU_DEP_1) | instskip(SKIP_1) | instid1(VALU_DEP_2)
	v_sub_nc_u32_e32 v148, 0x78, v145
	v_cmp_gt_u32_e32 vcc_lo, 0x79, v145
	v_dual_cndmask_b32 v148, 0, v148 :: v_dual_and_b32 v147, 0x7fffff, v146
	s_delay_alu instid0(VALU_DEP_1) | instskip(SKIP_2) | instid1(VALU_DEP_4)
	v_or_b32_e32 v149, 0x800000, v147
	v_cmp_eq_u32_e32 vcc_lo, 0, v145
	v_add_nc_u32_e32 v145, 0xffffff89, v145
	v_cndmask_b32_e64 v148, v148, 0x77, vcc_lo
	s_delay_alu instid0(VALU_DEP_2) | instskip(SKIP_1) | instid1(VALU_DEP_3)
	v_cndmask_b32_e64 v145, v145, 0xffffff8a, vcc_lo
	v_cndmask_b32_e32 v147, v149, v147, vcc_lo
	v_lshl_add_u32 v149, 0x100000, v148, -1
	v_lshlrev_b32_e64 v160, v148, 0x80000
	s_delay_alu instid0(VALU_DEP_3) | instskip(SKIP_1) | instid1(VALU_DEP_4)
	v_lshrrev_b32_e32 v150, v148, v147
	v_add_nc_u32_e32 v148, v148, v145
	v_and_b32_e32 v147, v149, v147
	s_delay_alu instid0(VALU_DEP_3) | instskip(NEXT) | instid1(VALU_DEP_2)
	v_bfe_u32 v151, v150, 20, 1
	v_cmp_eq_u32_e64 s10, v147, v160
	s_delay_alu instid0(VALU_DEP_2) | instskip(NEXT) | instid1(VALU_DEP_1)
	v_add_nc_u32_e32 v149, -1, v151
	v_cndmask_b32_e64 v147, 0, v149, s10
	v_lshrrev_b32_e32 v149, 23, v150
	s_mov_b32 s10, exec_lo
	s_delay_alu instid0(VALU_DEP_2) | instskip(NEXT) | instid1(VALU_DEP_2)
	v_add_nc_u32_e32 v147, v147, v150
	v_xor_b32_e32 v149, 1, v149
	s_delay_alu instid0(VALU_DEP_2) | instskip(NEXT) | instid1(VALU_DEP_1)
	v_and_b32_e32 v145, 0xfffff, v147
	v_add_nc_u32_e32 v147, v145, v150
                                        ; implicit-def: $vgpr145
	s_delay_alu instid0(VALU_DEP_3)
	v_cmpx_ne_u32_e64 v148, v149
	s_xor_b32 s10, exec_lo, s10
; %bb.4256:                             ;   in Loop: Header=BB2_3892 Depth=2
	s_delay_alu instid0(VALU_DEP_2) | instskip(SKIP_2) | instid1(VALU_DEP_2)
	v_cmp_lt_u32_e32 vcc_lo, 0xffffff, v147
	v_sub_nc_u32_e32 v145, v148, v149
	v_cndmask_b32_e64 v148, 0, 1, vcc_lo
	v_add_co_ci_u32_e32 v145, vcc_lo, 0, v145, vcc_lo
	s_delay_alu instid0(VALU_DEP_2)
	v_lshrrev_b32_e32 v147, v148, v147
; %bb.4257:                             ;   in Loop: Header=BB2_3892 Depth=2
	s_and_not1_saveexec_b32 s10, s10
; %bb.4258:                             ;   in Loop: Header=BB2_3892 Depth=2
	s_delay_alu instid0(VALU_DEP_1)
	v_bfe_u32 v145, v147, 23, 1
; %bb.4259:                             ;   in Loop: Header=BB2_3892 Depth=2
	s_or_b32 exec_lo, exec_lo, s10
	v_lshrrev_b32_e32 v147, 20, v147
	s_delay_alu instid0(VALU_DEP_2) | instskip(SKIP_2) | instid1(VALU_DEP_2)
	v_cmp_gt_i32_e32 vcc_lo, 16, v145
	v_min_i32_e32 v148, 15, v145
	v_lshrrev_b32_e32 v146, 24, v146
	v_dual_cndmask_b32 v147, 7, v147 :: v_dual_lshlrev_b32 v148, 3, v148
	s_delay_alu instid0(VALU_DEP_2) | instskip(NEXT) | instid1(VALU_DEP_2)
	v_and_b32_e32 v146, 0x80, v146
	v_or_b32_e32 v145, v145, v147
	v_and_b32_e32 v149, 7, v147
	s_delay_alu instid0(VALU_DEP_2) | instskip(SKIP_1) | instid1(VALU_DEP_1)
	v_cmp_ne_u32_e32 vcc_lo, 0, v145
	v_and_b32_e32 v148, 0xf8, v148
	v_or3_b32 v146, v146, v148, v149
	s_delay_alu instid0(VALU_DEP_1) | instskip(NEXT) | instid1(VALU_DEP_1)
	v_lshlrev_b32_e32 v146, 8, v146
	v_cndmask_b32_e32 v145, 0, v146, vcc_lo
.LBB2_4260:                             ;   in Loop: Header=BB2_3892 Depth=2
	s_or_b32 exec_lo, exec_lo, s24
.LBB2_4261:                             ;   in Loop: Header=BB2_3892 Depth=2
	s_delay_alu instid0(SALU_CYCLE_1) | instskip(SKIP_3) | instid1(VALU_DEP_1)
	s_or_b32 exec_lo, exec_lo, s23
	v_lshrrev_b32_e32 v146, 16, v13
	s_mov_b32 s10, 0
	s_mov_b32 s24, exec_lo
                                        ; implicit-def: $sgpr23
	v_and_b32_e32 v148, 0xff, v146
	s_delay_alu instid0(VALU_DEP_1)
	v_cmpx_lt_i16_e64 0x7f, v148
	s_xor_b32 s24, exec_lo, s24
	s_cbranch_execnz .LBB2_4403
; %bb.4262:                             ;   in Loop: Header=BB2_3892 Depth=2
	s_or_saveexec_b32 s24, s24
	v_mov_b32_e32 v147, s23
	s_xor_b32 exec_lo, exec_lo, s24
	s_cbranch_execnz .LBB2_4406
.LBB2_4263:                             ;   in Loop: Header=BB2_3892 Depth=2
	s_or_b32 exec_lo, exec_lo, s24
	s_and_saveexec_b32 s23, s10
	s_cbranch_execz .LBB2_4265
.LBB2_4264:                             ;   in Loop: Header=BB2_3892 Depth=2
	v_bfe_u32 v147, v13, 16, 3
	v_lshlrev_b32_e32 v150, 8, v13
	s_delay_alu instid0(VALU_DEP_2) | instskip(NEXT) | instid1(VALU_DEP_1)
	v_clz_i32_u32_e32 v148, v147
	v_min_u32_e32 v148, 32, v148
	s_delay_alu instid0(VALU_DEP_1) | instskip(SKIP_1) | instid1(VALU_DEP_2)
	v_subrev_nc_u32_e32 v149, 28, v148
	v_sub_nc_u32_e32 v148, 29, v148
	v_lshlrev_b32_e32 v146, v149, v146
	v_bfe_u32 v149, v13, 19, 4
	s_delay_alu instid0(VALU_DEP_2) | instskip(NEXT) | instid1(VALU_DEP_2)
	v_and_b32_e32 v146, 7, v146
	v_cmp_eq_u32_e32 vcc_lo, 0, v149
	v_cndmask_b32_e32 v148, v149, v148, vcc_lo
	s_delay_alu instid0(VALU_DEP_3) | instskip(SKIP_1) | instid1(VALU_DEP_3)
	v_cndmask_b32_e32 v146, v147, v146, vcc_lo
	v_and_b32_e32 v147, 0x80000000, v150
	v_lshl_add_u32 v148, v148, 23, 0x3b800000
	s_delay_alu instid0(VALU_DEP_3) | instskip(NEXT) | instid1(VALU_DEP_1)
	v_lshlrev_b32_e32 v146, 20, v146
	v_or3_b32 v147, v147, v148, v146
.LBB2_4265:                             ;   in Loop: Header=BB2_3892 Depth=2
	s_or_b32 exec_lo, exec_lo, s23
	s_delay_alu instid0(VALU_DEP_1) | instskip(NEXT) | instid1(VALU_DEP_1)
	v_mul_f32_e32 v147, s22, v147
	v_and_b32_e32 v146, 0x7f800000, v147
	s_delay_alu instid0(VALU_DEP_1)
	v_cmp_ne_u32_e32 vcc_lo, 0x7f800000, v146
	v_mov_b32_e32 v146, 0x80
	s_and_saveexec_b32 s23, vcc_lo
	s_cbranch_execz .LBB2_4273
; %bb.4266:                             ;   in Loop: Header=BB2_3892 Depth=2
	v_mov_b32_e32 v146, 0
	s_mov_b32 s24, exec_lo
	v_cmpx_ne_u32_e32 0, v147
	s_cbranch_execz .LBB2_4272
; %bb.4267:                             ;   in Loop: Header=BB2_3892 Depth=2
	v_bfe_u32 v146, v147, 23, 8
	s_delay_alu instid0(VALU_DEP_1) | instskip(SKIP_1) | instid1(VALU_DEP_2)
	v_sub_nc_u32_e32 v149, 0x78, v146
	v_cmp_gt_u32_e32 vcc_lo, 0x79, v146
	v_dual_cndmask_b32 v149, 0, v149 :: v_dual_and_b32 v148, 0x7fffff, v147
	s_delay_alu instid0(VALU_DEP_1) | instskip(SKIP_2) | instid1(VALU_DEP_4)
	v_or_b32_e32 v150, 0x800000, v148
	v_cmp_eq_u32_e32 vcc_lo, 0, v146
	v_add_nc_u32_e32 v146, 0xffffff89, v146
	v_cndmask_b32_e64 v149, v149, 0x77, vcc_lo
	s_delay_alu instid0(VALU_DEP_2) | instskip(SKIP_1) | instid1(VALU_DEP_3)
	v_cndmask_b32_e64 v146, v146, 0xffffff8a, vcc_lo
	v_cndmask_b32_e32 v148, v150, v148, vcc_lo
	v_lshl_add_u32 v150, 0x100000, v149, -1
	v_lshlrev_b32_e64 v161, v149, 0x80000
	s_delay_alu instid0(VALU_DEP_3) | instskip(SKIP_1) | instid1(VALU_DEP_4)
	v_lshrrev_b32_e32 v151, v149, v148
	v_add_nc_u32_e32 v149, v149, v146
	v_and_b32_e32 v148, v150, v148
	s_delay_alu instid0(VALU_DEP_3) | instskip(NEXT) | instid1(VALU_DEP_2)
	v_bfe_u32 v160, v151, 20, 1
	v_cmp_eq_u32_e64 s10, v148, v161
	s_delay_alu instid0(VALU_DEP_2) | instskip(NEXT) | instid1(VALU_DEP_1)
	v_add_nc_u32_e32 v150, -1, v160
	v_cndmask_b32_e64 v148, 0, v150, s10
	v_lshrrev_b32_e32 v150, 23, v151
	s_mov_b32 s10, exec_lo
	s_delay_alu instid0(VALU_DEP_2) | instskip(NEXT) | instid1(VALU_DEP_2)
	v_add_nc_u32_e32 v148, v148, v151
	v_xor_b32_e32 v150, 1, v150
	s_delay_alu instid0(VALU_DEP_2) | instskip(NEXT) | instid1(VALU_DEP_1)
	v_and_b32_e32 v146, 0xfffff, v148
	v_add_nc_u32_e32 v148, v146, v151
                                        ; implicit-def: $vgpr146
	s_delay_alu instid0(VALU_DEP_3)
	v_cmpx_ne_u32_e64 v149, v150
	s_xor_b32 s10, exec_lo, s10
; %bb.4268:                             ;   in Loop: Header=BB2_3892 Depth=2
	s_delay_alu instid0(VALU_DEP_2) | instskip(SKIP_2) | instid1(VALU_DEP_2)
	v_cmp_lt_u32_e32 vcc_lo, 0xffffff, v148
	v_sub_nc_u32_e32 v146, v149, v150
	v_cndmask_b32_e64 v149, 0, 1, vcc_lo
	v_add_co_ci_u32_e32 v146, vcc_lo, 0, v146, vcc_lo
	s_delay_alu instid0(VALU_DEP_2)
	v_lshrrev_b32_e32 v148, v149, v148
; %bb.4269:                             ;   in Loop: Header=BB2_3892 Depth=2
	s_and_not1_saveexec_b32 s10, s10
; %bb.4270:                             ;   in Loop: Header=BB2_3892 Depth=2
	s_delay_alu instid0(VALU_DEP_1)
	v_bfe_u32 v146, v148, 23, 1
; %bb.4271:                             ;   in Loop: Header=BB2_3892 Depth=2
	s_or_b32 exec_lo, exec_lo, s10
	v_lshrrev_b32_e32 v148, 20, v148
	s_delay_alu instid0(VALU_DEP_2) | instskip(SKIP_2) | instid1(VALU_DEP_2)
	v_cmp_gt_i32_e32 vcc_lo, 16, v146
	v_min_i32_e32 v149, 15, v146
	v_lshrrev_b32_e32 v147, 24, v147
	v_dual_cndmask_b32 v148, 7, v148 :: v_dual_lshlrev_b32 v149, 3, v149
	s_delay_alu instid0(VALU_DEP_2) | instskip(NEXT) | instid1(VALU_DEP_2)
	v_and_b32_e32 v147, 0x80, v147
	v_or_b32_e32 v146, v146, v148
	v_and_b32_e32 v150, 7, v148
	s_delay_alu instid0(VALU_DEP_2) | instskip(SKIP_1) | instid1(VALU_DEP_1)
	v_cmp_ne_u32_e32 vcc_lo, 0, v146
	v_and_b32_e32 v149, 0xf8, v149
	v_or3_b32 v147, v149, v147, v150
	s_delay_alu instid0(VALU_DEP_1)
	v_cndmask_b32_e32 v146, 0, v147, vcc_lo
.LBB2_4272:                             ;   in Loop: Header=BB2_3892 Depth=2
	s_or_b32 exec_lo, exec_lo, s24
.LBB2_4273:                             ;   in Loop: Header=BB2_3892 Depth=2
	s_delay_alu instid0(SALU_CYCLE_1) | instskip(SKIP_3) | instid1(VALU_DEP_1)
	s_or_b32 exec_lo, exec_lo, s23
	v_lshrrev_b32_e32 v147, 24, v13
	s_mov_b32 s10, 0
	s_mov_b32 s24, exec_lo
                                        ; implicit-def: $sgpr23
	v_cmpx_lt_i16_e64 0x7f, v147
	s_xor_b32 s24, exec_lo, s24
	s_cbranch_execnz .LBB2_4407
; %bb.4274:                             ;   in Loop: Header=BB2_3892 Depth=2
	s_or_saveexec_b32 s24, s24
	v_mov_b32_e32 v148, s23
	s_xor_b32 exec_lo, exec_lo, s24
	s_cbranch_execnz .LBB2_4410
.LBB2_4275:                             ;   in Loop: Header=BB2_3892 Depth=2
	s_or_b32 exec_lo, exec_lo, s24
	s_and_saveexec_b32 s23, s10
	s_cbranch_execz .LBB2_4277
.LBB2_4276:                             ;   in Loop: Header=BB2_3892 Depth=2
	v_bfe_u32 v148, v13, 24, 3
	s_delay_alu instid0(VALU_DEP_1) | instskip(NEXT) | instid1(VALU_DEP_1)
	v_clz_i32_u32_e32 v149, v148
	v_min_u32_e32 v149, 32, v149
	s_delay_alu instid0(VALU_DEP_1) | instskip(SKIP_1) | instid1(VALU_DEP_2)
	v_subrev_nc_u32_e32 v150, 28, v149
	v_sub_nc_u32_e32 v149, 29, v149
	v_lshlrev_b32_e32 v147, v150, v147
	v_bfe_u32 v150, v13, 27, 4
	v_and_b32_e32 v13, 0x80000000, v13
	s_delay_alu instid0(VALU_DEP_3) | instskip(NEXT) | instid1(VALU_DEP_3)
	v_and_b32_e32 v147, 7, v147
	v_cmp_eq_u32_e32 vcc_lo, 0, v150
	v_cndmask_b32_e32 v149, v150, v149, vcc_lo
	s_delay_alu instid0(VALU_DEP_3) | instskip(NEXT) | instid1(VALU_DEP_2)
	v_cndmask_b32_e32 v147, v148, v147, vcc_lo
	v_lshl_add_u32 v148, v149, 23, 0x3b800000
	s_delay_alu instid0(VALU_DEP_2) | instskip(NEXT) | instid1(VALU_DEP_1)
	v_lshlrev_b32_e32 v147, 20, v147
	v_or3_b32 v148, v13, v148, v147
.LBB2_4277:                             ;   in Loop: Header=BB2_3892 Depth=2
	s_or_b32 exec_lo, exec_lo, s23
	s_delay_alu instid0(VALU_DEP_1) | instskip(NEXT) | instid1(VALU_DEP_1)
	v_mul_f32_e32 v13, s22, v148
	v_and_b32_e32 v147, 0x7f800000, v13
	s_delay_alu instid0(VALU_DEP_1)
	v_cmp_ne_u32_e32 vcc_lo, 0x7f800000, v147
	v_mov_b32_e32 v147, 0x8000
	s_and_saveexec_b32 s22, vcc_lo
	s_cbranch_execz .LBB2_3891
; %bb.4278:                             ;   in Loop: Header=BB2_3892 Depth=2
	v_mov_b32_e32 v147, 0
	s_mov_b32 s23, exec_lo
	v_cmpx_ne_u32_e32 0, v13
	s_cbranch_execz .LBB2_3890
; %bb.4279:                             ;   in Loop: Header=BB2_3892 Depth=2
	v_bfe_u32 v147, v13, 23, 8
	v_and_b32_e32 v148, 0x7fffff, v13
	s_delay_alu instid0(VALU_DEP_2) | instskip(SKIP_1) | instid1(VALU_DEP_3)
	v_sub_nc_u32_e32 v149, 0x78, v147
	v_cmp_gt_u32_e32 vcc_lo, 0x79, v147
	v_or_b32_e32 v150, 0x800000, v148
	s_delay_alu instid0(VALU_DEP_3) | instskip(SKIP_1) | instid1(VALU_DEP_3)
	v_cndmask_b32_e32 v149, 0, v149, vcc_lo
	v_cmp_eq_u32_e32 vcc_lo, 0, v147
	v_dual_cndmask_b32 v148, v150, v148 :: v_dual_add_nc_u32 v147, 0xffffff89, v147
	s_delay_alu instid0(VALU_DEP_3) | instskip(NEXT) | instid1(VALU_DEP_2)
	v_cndmask_b32_e64 v149, v149, 0x77, vcc_lo
	v_cndmask_b32_e64 v147, v147, 0xffffff8a, vcc_lo
	s_delay_alu instid0(VALU_DEP_2) | instskip(SKIP_2) | instid1(VALU_DEP_4)
	v_lshrrev_b32_e32 v151, v149, v148
	v_lshl_add_u32 v150, 0x100000, v149, -1
	v_lshlrev_b32_e64 v161, v149, 0x80000
	v_add_nc_u32_e32 v149, v149, v147
	s_delay_alu instid0(VALU_DEP_4) | instskip(NEXT) | instid1(VALU_DEP_4)
	v_bfe_u32 v160, v151, 20, 1
	v_and_b32_e32 v148, v150, v148
	s_delay_alu instid0(VALU_DEP_2) | instskip(NEXT) | instid1(VALU_DEP_2)
	v_add_nc_u32_e32 v150, -1, v160
	v_cmp_eq_u32_e64 s10, v148, v161
	s_delay_alu instid0(VALU_DEP_1) | instskip(SKIP_2) | instid1(VALU_DEP_2)
	v_cndmask_b32_e64 v148, 0, v150, s10
	v_lshrrev_b32_e32 v150, 23, v151
	s_mov_b32 s10, exec_lo
	v_add_nc_u32_e32 v148, v148, v151
	s_delay_alu instid0(VALU_DEP_2) | instskip(NEXT) | instid1(VALU_DEP_2)
	v_xor_b32_e32 v150, 1, v150
	v_and_b32_e32 v147, 0xfffff, v148
	s_delay_alu instid0(VALU_DEP_1) | instskip(NEXT) | instid1(VALU_DEP_3)
	v_add_nc_u32_e32 v148, v147, v151
                                        ; implicit-def: $vgpr147
	v_cmpx_ne_u32_e64 v149, v150
	s_xor_b32 s10, exec_lo, s10
; %bb.4280:                             ;   in Loop: Header=BB2_3892 Depth=2
	s_delay_alu instid0(VALU_DEP_2) | instskip(SKIP_2) | instid1(VALU_DEP_2)
	v_cmp_lt_u32_e32 vcc_lo, 0xffffff, v148
	v_sub_nc_u32_e32 v147, v149, v150
	v_cndmask_b32_e64 v149, 0, 1, vcc_lo
	v_add_co_ci_u32_e32 v147, vcc_lo, 0, v147, vcc_lo
	s_delay_alu instid0(VALU_DEP_2)
	v_lshrrev_b32_e32 v148, v149, v148
; %bb.4281:                             ;   in Loop: Header=BB2_3892 Depth=2
	s_and_not1_saveexec_b32 s10, s10
	s_cbranch_execz .LBB2_3889
; %bb.4282:                             ;   in Loop: Header=BB2_3892 Depth=2
	s_delay_alu instid0(VALU_DEP_1)
	v_bfe_u32 v147, v148, 23, 1
	s_branch .LBB2_3889
.LBB2_4283:                             ;   in Loop: Header=BB2_3892 Depth=2
	s_mov_b32 s10, -1
	s_mov_b32 s25, exec_lo
                                        ; implicit-def: $sgpr23
	v_cmpx_eq_u16_e32 0x80, v96
; %bb.4284:                             ;   in Loop: Header=BB2_3892 Depth=2
	s_mov_b32 s23, 0x7f800001
	s_xor_b32 s10, exec_lo, -1
; %bb.4285:                             ;   in Loop: Header=BB2_3892 Depth=2
	s_or_b32 exec_lo, exec_lo, s25
	s_delay_alu instid0(SALU_CYCLE_1)
	s_and_b32 s10, s10, exec_lo
                                        ; implicit-def: $vgpr96
	s_or_saveexec_b32 s24, s24
	v_mov_b32_e32 v87, s23
	s_xor_b32 exec_lo, exec_lo, s24
	s_cbranch_execz .LBB2_3903
.LBB2_4286:                             ;   in Loop: Header=BB2_3892 Depth=2
	v_cmp_ne_u16_e32 vcc_lo, 0, v96
	v_mov_b32_e32 v87, 0
	s_and_not1_b32 s10, s10, exec_lo
	s_and_b32 s23, vcc_lo, exec_lo
	s_delay_alu instid0(SALU_CYCLE_1)
	s_or_b32 s10, s10, s23
	s_or_b32 exec_lo, exec_lo, s24
	s_and_saveexec_b32 s23, s10
	s_cbranch_execnz .LBB2_3904
	s_branch .LBB2_3905
.LBB2_4287:                             ;   in Loop: Header=BB2_3892 Depth=2
	s_mov_b32 s10, -1
	s_mov_b32 s25, exec_lo
                                        ; implicit-def: $sgpr23
	v_cmpx_eq_u16_e32 0x80, v96
; %bb.4288:                             ;   in Loop: Header=BB2_3892 Depth=2
	s_mov_b32 s23, 0x7f800001
	s_xor_b32 s10, exec_lo, -1
; %bb.4289:                             ;   in Loop: Header=BB2_3892 Depth=2
	s_or_b32 exec_lo, exec_lo, s25
	s_delay_alu instid0(SALU_CYCLE_1)
	s_and_b32 s10, s10, exec_lo
	s_or_saveexec_b32 s24, s24
	v_mov_b32_e32 v97, s23
	s_xor_b32 exec_lo, exec_lo, s24
	s_cbranch_execz .LBB2_3915
.LBB2_4290:                             ;   in Loop: Header=BB2_3892 Depth=2
	v_cmp_ne_u16_e32 vcc_lo, 0, v96
	v_mov_b32_e32 v97, 0
	s_and_not1_b32 s10, s10, exec_lo
	s_and_b32 s23, vcc_lo, exec_lo
	s_delay_alu instid0(SALU_CYCLE_1)
	s_or_b32 s10, s10, s23
	s_or_b32 exec_lo, exec_lo, s24
	s_and_saveexec_b32 s23, s10
	s_cbranch_execnz .LBB2_3916
	s_branch .LBB2_3917
.LBB2_4291:                             ;   in Loop: Header=BB2_3892 Depth=2
	s_mov_b32 s10, -1
	s_mov_b32 s25, exec_lo
                                        ; implicit-def: $sgpr23
	v_cmpx_eq_u16_e32 0x80, v99
; %bb.4292:                             ;   in Loop: Header=BB2_3892 Depth=2
	s_mov_b32 s23, 0x7f800001
	s_xor_b32 s10, exec_lo, -1
; %bb.4293:                             ;   in Loop: Header=BB2_3892 Depth=2
	s_or_b32 exec_lo, exec_lo, s25
	s_delay_alu instid0(SALU_CYCLE_1)
	s_and_b32 s10, s10, exec_lo
                                        ; implicit-def: $vgpr99
	s_or_saveexec_b32 s24, s24
	v_mov_b32_e32 v98, s23
	s_xor_b32 exec_lo, exec_lo, s24
	s_cbranch_execz .LBB2_3927
.LBB2_4294:                             ;   in Loop: Header=BB2_3892 Depth=2
	v_cmp_ne_u16_e32 vcc_lo, 0, v99
	v_mov_b32_e32 v98, 0
	s_and_not1_b32 s10, s10, exec_lo
	s_and_b32 s23, vcc_lo, exec_lo
	s_delay_alu instid0(SALU_CYCLE_1)
	s_or_b32 s10, s10, s23
	s_or_b32 exec_lo, exec_lo, s24
	s_and_saveexec_b32 s23, s10
	s_cbranch_execnz .LBB2_3928
	s_branch .LBB2_3929
.LBB2_4295:                             ;   in Loop: Header=BB2_3892 Depth=2
	s_mov_b32 s10, -1
	s_mov_b32 s25, exec_lo
                                        ; implicit-def: $sgpr23
	v_cmpx_eq_u16_e32 0x80, v98
; %bb.4296:                             ;   in Loop: Header=BB2_3892 Depth=2
	s_mov_b32 s23, 0x7f800001
	s_xor_b32 s10, exec_lo, -1
; %bb.4297:                             ;   in Loop: Header=BB2_3892 Depth=2
	s_or_b32 exec_lo, exec_lo, s25
	s_delay_alu instid0(SALU_CYCLE_1)
	s_and_b32 s10, s10, exec_lo
	s_or_saveexec_b32 s24, s24
	v_mov_b32_e32 v99, s23
	s_xor_b32 exec_lo, exec_lo, s24
	s_cbranch_execz .LBB2_3939
.LBB2_4298:                             ;   in Loop: Header=BB2_3892 Depth=2
	v_cmp_ne_u16_e32 vcc_lo, 0, v98
	v_mov_b32_e32 v99, 0
	s_and_not1_b32 s10, s10, exec_lo
	s_and_b32 s23, vcc_lo, exec_lo
	s_delay_alu instid0(SALU_CYCLE_1)
	s_or_b32 s10, s10, s23
	s_or_b32 exec_lo, exec_lo, s24
	s_and_saveexec_b32 s23, s10
	s_cbranch_execnz .LBB2_3940
	s_branch .LBB2_3941
.LBB2_4299:                             ;   in Loop: Header=BB2_3892 Depth=2
	s_mov_b32 s10, -1
	s_mov_b32 s25, exec_lo
                                        ; implicit-def: $sgpr23
	v_cmpx_eq_u16_e32 0x80, v99
; %bb.4300:                             ;   in Loop: Header=BB2_3892 Depth=2
	s_mov_b32 s23, 0x7f800001
	s_xor_b32 s10, exec_lo, -1
; %bb.4301:                             ;   in Loop: Header=BB2_3892 Depth=2
	s_or_b32 exec_lo, exec_lo, s25
	s_delay_alu instid0(SALU_CYCLE_1)
	s_and_b32 s10, s10, exec_lo
                                        ; implicit-def: $vgpr99
	s_or_saveexec_b32 s24, s24
	v_mov_b32_e32 v10, s23
	s_xor_b32 exec_lo, exec_lo, s24
	s_cbranch_execz .LBB2_3951
.LBB2_4302:                             ;   in Loop: Header=BB2_3892 Depth=2
	v_cmp_ne_u16_e32 vcc_lo, 0, v99
	v_mov_b32_e32 v10, 0
	s_and_not1_b32 s10, s10, exec_lo
	s_and_b32 s23, vcc_lo, exec_lo
	s_delay_alu instid0(SALU_CYCLE_1)
	s_or_b32 s10, s10, s23
	s_or_b32 exec_lo, exec_lo, s24
	s_and_saveexec_b32 s23, s10
	s_cbranch_execnz .LBB2_3952
	s_branch .LBB2_3953
.LBB2_4303:                             ;   in Loop: Header=BB2_3892 Depth=2
	s_mov_b32 s10, -1
	s_mov_b32 s25, exec_lo
                                        ; implicit-def: $sgpr23
	v_cmpx_eq_u16_e32 0x80, v10
; %bb.4304:                             ;   in Loop: Header=BB2_3892 Depth=2
	s_mov_b32 s23, 0x7f800001
	s_xor_b32 s10, exec_lo, -1
; %bb.4305:                             ;   in Loop: Header=BB2_3892 Depth=2
	s_or_b32 exec_lo, exec_lo, s25
	s_delay_alu instid0(SALU_CYCLE_1)
	s_and_b32 s10, s10, exec_lo
	s_or_saveexec_b32 s24, s24
	v_mov_b32_e32 v100, s23
	s_xor_b32 exec_lo, exec_lo, s24
	s_cbranch_execz .LBB2_3963
.LBB2_4306:                             ;   in Loop: Header=BB2_3892 Depth=2
	v_cmp_ne_u16_e32 vcc_lo, 0, v10
	v_mov_b32_e32 v100, 0
	s_and_not1_b32 s10, s10, exec_lo
	s_and_b32 s23, vcc_lo, exec_lo
	s_delay_alu instid0(SALU_CYCLE_1)
	s_or_b32 s10, s10, s23
	s_or_b32 exec_lo, exec_lo, s24
	s_and_saveexec_b32 s23, s10
	s_cbranch_execnz .LBB2_3964
	s_branch .LBB2_3965
.LBB2_4307:                             ;   in Loop: Header=BB2_3892 Depth=2
	s_mov_b32 s10, -1
	s_mov_b32 s25, exec_lo
                                        ; implicit-def: $sgpr23
	v_cmpx_eq_u16_e32 0x80, v102
; %bb.4308:                             ;   in Loop: Header=BB2_3892 Depth=2
	s_mov_b32 s23, 0x7f800001
	s_xor_b32 s10, exec_lo, -1
; %bb.4309:                             ;   in Loop: Header=BB2_3892 Depth=2
	s_or_b32 exec_lo, exec_lo, s25
	s_delay_alu instid0(SALU_CYCLE_1)
	s_and_b32 s10, s10, exec_lo
                                        ; implicit-def: $vgpr102
	s_or_saveexec_b32 s24, s24
	v_mov_b32_e32 v101, s23
	s_xor_b32 exec_lo, exec_lo, s24
	s_cbranch_execz .LBB2_3975
.LBB2_4310:                             ;   in Loop: Header=BB2_3892 Depth=2
	v_cmp_ne_u16_e32 vcc_lo, 0, v102
	v_mov_b32_e32 v101, 0
	s_and_not1_b32 s10, s10, exec_lo
	s_and_b32 s23, vcc_lo, exec_lo
	s_delay_alu instid0(SALU_CYCLE_1)
	s_or_b32 s10, s10, s23
	s_or_b32 exec_lo, exec_lo, s24
	s_and_saveexec_b32 s23, s10
	s_cbranch_execnz .LBB2_3976
	s_branch .LBB2_3977
.LBB2_4311:                             ;   in Loop: Header=BB2_3892 Depth=2
	s_mov_b32 s10, -1
	s_mov_b32 s25, exec_lo
                                        ; implicit-def: $sgpr23
	v_cmpx_eq_u16_e32 0x80, v10
; %bb.4312:                             ;   in Loop: Header=BB2_3892 Depth=2
	s_mov_b32 s23, 0x7f800001
	s_xor_b32 s10, exec_lo, -1
; %bb.4313:                             ;   in Loop: Header=BB2_3892 Depth=2
	s_or_b32 exec_lo, exec_lo, s25
	s_delay_alu instid0(SALU_CYCLE_1)
	s_and_b32 s10, s10, exec_lo
	s_or_saveexec_b32 s24, s24
	v_mov_b32_e32 v102, s23
	s_xor_b32 exec_lo, exec_lo, s24
	s_cbranch_execz .LBB2_3987
.LBB2_4314:                             ;   in Loop: Header=BB2_3892 Depth=2
	v_cmp_ne_u16_e32 vcc_lo, 0, v10
	v_mov_b32_e32 v102, 0
	s_and_not1_b32 s10, s10, exec_lo
	s_and_b32 s23, vcc_lo, exec_lo
	s_delay_alu instid0(SALU_CYCLE_1)
	s_or_b32 s10, s10, s23
	s_or_b32 exec_lo, exec_lo, s24
	s_and_saveexec_b32 s23, s10
	s_cbranch_execnz .LBB2_3988
	s_branch .LBB2_3989
.LBB2_4315:                             ;   in Loop: Header=BB2_3892 Depth=2
	s_mov_b32 s10, -1
	s_mov_b32 s25, exec_lo
                                        ; implicit-def: $sgpr23
	v_cmpx_eq_u16_e32 0x80, v11
; %bb.4316:                             ;   in Loop: Header=BB2_3892 Depth=2
	s_mov_b32 s23, 0x7f800001
	s_xor_b32 s10, exec_lo, -1
; %bb.4317:                             ;   in Loop: Header=BB2_3892 Depth=2
	s_or_b32 exec_lo, exec_lo, s25
	s_delay_alu instid0(SALU_CYCLE_1)
	s_and_b32 s10, s10, exec_lo
                                        ; implicit-def: $vgpr11
	s_or_saveexec_b32 s24, s24
	v_mov_b32_e32 v10, s23
	s_xor_b32 exec_lo, exec_lo, s24
	s_cbranch_execz .LBB2_3999
.LBB2_4318:                             ;   in Loop: Header=BB2_3892 Depth=2
	v_cmp_ne_u16_e32 vcc_lo, 0, v11
	v_mov_b32_e32 v10, 0
	s_and_not1_b32 s10, s10, exec_lo
	s_and_b32 s23, vcc_lo, exec_lo
	s_delay_alu instid0(SALU_CYCLE_1)
	s_or_b32 s10, s10, s23
	s_or_b32 exec_lo, exec_lo, s24
	s_and_saveexec_b32 s23, s10
	s_cbranch_execnz .LBB2_4000
	s_branch .LBB2_4001
.LBB2_4319:                             ;   in Loop: Header=BB2_3892 Depth=2
	s_mov_b32 s10, -1
	s_mov_b32 s25, exec_lo
                                        ; implicit-def: $sgpr23
	v_cmpx_eq_u16_e32 0x80, v10
; %bb.4320:                             ;   in Loop: Header=BB2_3892 Depth=2
	s_mov_b32 s23, 0x7f800001
	s_xor_b32 s10, exec_lo, -1
; %bb.4321:                             ;   in Loop: Header=BB2_3892 Depth=2
	s_or_b32 exec_lo, exec_lo, s25
	s_delay_alu instid0(SALU_CYCLE_1)
	s_and_b32 s10, s10, exec_lo
	s_or_saveexec_b32 s24, s24
	v_mov_b32_e32 v11, s23
	s_xor_b32 exec_lo, exec_lo, s24
	s_cbranch_execz .LBB2_4011
.LBB2_4322:                             ;   in Loop: Header=BB2_3892 Depth=2
	v_cmp_ne_u16_e32 vcc_lo, 0, v10
	v_mov_b32_e32 v11, 0
	s_and_not1_b32 s10, s10, exec_lo
	s_and_b32 s23, vcc_lo, exec_lo
	s_delay_alu instid0(SALU_CYCLE_1)
	s_or_b32 s10, s10, s23
	s_or_b32 exec_lo, exec_lo, s24
	s_and_saveexec_b32 s23, s10
	s_cbranch_execnz .LBB2_4012
	s_branch .LBB2_4013
.LBB2_4323:                             ;   in Loop: Header=BB2_3892 Depth=2
	s_mov_b32 s10, -1
	s_mov_b32 s25, exec_lo
                                        ; implicit-def: $sgpr23
	v_cmpx_eq_u16_e32 0x80, v113
; %bb.4324:                             ;   in Loop: Header=BB2_3892 Depth=2
	s_mov_b32 s23, 0x7f800001
	s_xor_b32 s10, exec_lo, -1
; %bb.4325:                             ;   in Loop: Header=BB2_3892 Depth=2
	s_or_b32 exec_lo, exec_lo, s25
	s_delay_alu instid0(SALU_CYCLE_1)
	s_and_b32 s10, s10, exec_lo
                                        ; implicit-def: $vgpr113
	s_or_saveexec_b32 s24, s24
	v_mov_b32_e32 v11, s23
	s_xor_b32 exec_lo, exec_lo, s24
	s_cbranch_execz .LBB2_4023
.LBB2_4326:                             ;   in Loop: Header=BB2_3892 Depth=2
	v_cmp_ne_u16_e32 vcc_lo, 0, v113
	v_mov_b32_e32 v11, 0
	s_and_not1_b32 s10, s10, exec_lo
	s_and_b32 s23, vcc_lo, exec_lo
	s_delay_alu instid0(SALU_CYCLE_1)
	s_or_b32 s10, s10, s23
	s_or_b32 exec_lo, exec_lo, s24
	s_and_saveexec_b32 s23, s10
	s_cbranch_execnz .LBB2_4024
	s_branch .LBB2_4025
.LBB2_4327:                             ;   in Loop: Header=BB2_3892 Depth=2
	s_mov_b32 s10, -1
	s_mov_b32 s25, exec_lo
                                        ; implicit-def: $sgpr23
	v_cmpx_eq_u16_e32 0x80, v10
; %bb.4328:                             ;   in Loop: Header=BB2_3892 Depth=2
	s_mov_b32 s23, 0x7f800001
	s_xor_b32 s10, exec_lo, -1
; %bb.4329:                             ;   in Loop: Header=BB2_3892 Depth=2
	s_or_b32 exec_lo, exec_lo, s25
	s_delay_alu instid0(SALU_CYCLE_1)
	s_and_b32 s10, s10, exec_lo
	s_or_saveexec_b32 s24, s24
	v_mov_b32_e32 v11, s23
	s_xor_b32 exec_lo, exec_lo, s24
	s_cbranch_execz .LBB2_4035
.LBB2_4330:                             ;   in Loop: Header=BB2_3892 Depth=2
	v_cmp_ne_u16_e32 vcc_lo, 0, v10
	v_mov_b32_e32 v11, 0
	s_and_not1_b32 s10, s10, exec_lo
	s_and_b32 s23, vcc_lo, exec_lo
	s_delay_alu instid0(SALU_CYCLE_1)
	s_or_b32 s10, s10, s23
	s_or_b32 exec_lo, exec_lo, s24
	s_and_saveexec_b32 s23, s10
	s_cbranch_execnz .LBB2_4036
	s_branch .LBB2_4037
.LBB2_4331:                             ;   in Loop: Header=BB2_3892 Depth=2
	s_mov_b32 s10, -1
	s_mov_b32 s25, exec_lo
                                        ; implicit-def: $sgpr23
	v_cmpx_eq_u16_e32 0x80, v11
; %bb.4332:                             ;   in Loop: Header=BB2_3892 Depth=2
	s_mov_b32 s23, 0x7f800001
	s_xor_b32 s10, exec_lo, -1
; %bb.4333:                             ;   in Loop: Header=BB2_3892 Depth=2
	s_or_b32 exec_lo, exec_lo, s25
	s_delay_alu instid0(SALU_CYCLE_1)
	s_and_b32 s10, s10, exec_lo
                                        ; implicit-def: $vgpr11
	s_or_saveexec_b32 s24, s24
	v_mov_b32_e32 v10, s23
	s_xor_b32 exec_lo, exec_lo, s24
	s_cbranch_execz .LBB2_4047
.LBB2_4334:                             ;   in Loop: Header=BB2_3892 Depth=2
	v_cmp_ne_u16_e32 vcc_lo, 0, v11
	v_mov_b32_e32 v10, 0
	s_and_not1_b32 s10, s10, exec_lo
	s_and_b32 s23, vcc_lo, exec_lo
	s_delay_alu instid0(SALU_CYCLE_1)
	s_or_b32 s10, s10, s23
	s_or_b32 exec_lo, exec_lo, s24
	s_and_saveexec_b32 s23, s10
	s_cbranch_execnz .LBB2_4048
	s_branch .LBB2_4049
.LBB2_4335:                             ;   in Loop: Header=BB2_3892 Depth=2
	s_mov_b32 s10, -1
	s_mov_b32 s25, exec_lo
                                        ; implicit-def: $sgpr23
	v_cmpx_eq_u16_e32 0x80, v10
; %bb.4336:                             ;   in Loop: Header=BB2_3892 Depth=2
	s_mov_b32 s23, 0x7f800001
	s_xor_b32 s10, exec_lo, -1
; %bb.4337:                             ;   in Loop: Header=BB2_3892 Depth=2
	s_or_b32 exec_lo, exec_lo, s25
	s_delay_alu instid0(SALU_CYCLE_1)
	s_and_b32 s10, s10, exec_lo
	s_or_saveexec_b32 s24, s24
	v_mov_b32_e32 v11, s23
	s_xor_b32 exec_lo, exec_lo, s24
	s_cbranch_execz .LBB2_4059
.LBB2_4338:                             ;   in Loop: Header=BB2_3892 Depth=2
	v_cmp_ne_u16_e32 vcc_lo, 0, v10
	v_mov_b32_e32 v11, 0
	s_and_not1_b32 s10, s10, exec_lo
	s_and_b32 s23, vcc_lo, exec_lo
	s_delay_alu instid0(SALU_CYCLE_1)
	s_or_b32 s10, s10, s23
	s_or_b32 exec_lo, exec_lo, s24
	s_and_saveexec_b32 s23, s10
	s_cbranch_execnz .LBB2_4060
	s_branch .LBB2_4061
.LBB2_4339:                             ;   in Loop: Header=BB2_3892 Depth=2
	s_mov_b32 s10, -1
	s_mov_b32 s25, exec_lo
                                        ; implicit-def: $sgpr23
	v_cmpx_eq_u16_e32 0x80, v12
; %bb.4340:                             ;   in Loop: Header=BB2_3892 Depth=2
	s_mov_b32 s23, 0x7f800001
	s_xor_b32 s10, exec_lo, -1
; %bb.4341:                             ;   in Loop: Header=BB2_3892 Depth=2
	s_or_b32 exec_lo, exec_lo, s25
	s_delay_alu instid0(SALU_CYCLE_1)
	s_and_b32 s10, s10, exec_lo
                                        ; implicit-def: $vgpr12
	s_or_saveexec_b32 s24, s24
	v_mov_b32_e32 v11, s23
	s_xor_b32 exec_lo, exec_lo, s24
	s_cbranch_execz .LBB2_4071
.LBB2_4342:                             ;   in Loop: Header=BB2_3892 Depth=2
	v_cmp_ne_u16_e32 vcc_lo, 0, v12
	v_mov_b32_e32 v11, 0
	s_and_not1_b32 s10, s10, exec_lo
	s_and_b32 s23, vcc_lo, exec_lo
	s_delay_alu instid0(SALU_CYCLE_1)
	s_or_b32 s10, s10, s23
	s_or_b32 exec_lo, exec_lo, s24
	s_and_saveexec_b32 s23, s10
	s_cbranch_execnz .LBB2_4072
	s_branch .LBB2_4073
.LBB2_4343:                             ;   in Loop: Header=BB2_3892 Depth=2
	s_mov_b32 s10, -1
	s_mov_b32 s25, exec_lo
                                        ; implicit-def: $sgpr23
	v_cmpx_eq_u16_e32 0x80, v10
; %bb.4344:                             ;   in Loop: Header=BB2_3892 Depth=2
	s_mov_b32 s23, 0x7f800001
	s_xor_b32 s10, exec_lo, -1
; %bb.4345:                             ;   in Loop: Header=BB2_3892 Depth=2
	s_or_b32 exec_lo, exec_lo, s25
	s_delay_alu instid0(SALU_CYCLE_1)
	s_and_b32 s10, s10, exec_lo
	s_or_saveexec_b32 s24, s24
	v_mov_b32_e32 v11, s23
	s_xor_b32 exec_lo, exec_lo, s24
	s_cbranch_execz .LBB2_4083
.LBB2_4346:                             ;   in Loop: Header=BB2_3892 Depth=2
	v_cmp_ne_u16_e32 vcc_lo, 0, v10
	v_mov_b32_e32 v11, 0
	s_and_not1_b32 s10, s10, exec_lo
	s_and_b32 s23, vcc_lo, exec_lo
	s_delay_alu instid0(SALU_CYCLE_1)
	s_or_b32 s10, s10, s23
	s_or_b32 exec_lo, exec_lo, s24
	s_and_saveexec_b32 s23, s10
	s_cbranch_execnz .LBB2_4084
	s_branch .LBB2_4085
.LBB2_4347:                             ;   in Loop: Header=BB2_3892 Depth=2
	s_mov_b32 s10, -1
	s_mov_b32 s25, exec_lo
                                        ; implicit-def: $sgpr23
	v_cmpx_eq_u16_e64 0x80, v128
; %bb.4348:                             ;   in Loop: Header=BB2_3892 Depth=2
	s_mov_b32 s23, 0x7f800001
	s_xor_b32 s10, exec_lo, -1
; %bb.4349:                             ;   in Loop: Header=BB2_3892 Depth=2
	s_or_b32 exec_lo, exec_lo, s25
	s_delay_alu instid0(SALU_CYCLE_1)
	s_and_b32 s10, s10, exec_lo
                                        ; implicit-def: $vgpr128
	s_or_saveexec_b32 s24, s24
	v_mov_b32_e32 v119, s23
	s_xor_b32 exec_lo, exec_lo, s24
	s_cbranch_execz .LBB2_4095
.LBB2_4350:                             ;   in Loop: Header=BB2_3892 Depth=2
	v_cmp_ne_u16_e64 vcc_lo, 0, v128
	v_mov_b32_e32 v119, 0
	s_and_not1_b32 s10, s10, exec_lo
	s_delay_alu instid0(VALU_DEP_2) | instskip(NEXT) | instid1(SALU_CYCLE_1)
	s_and_b32 s23, vcc_lo, exec_lo
	s_or_b32 s10, s10, s23
	s_or_b32 exec_lo, exec_lo, s24
	s_and_saveexec_b32 s23, s10
	s_cbranch_execnz .LBB2_4096
	s_branch .LBB2_4097
.LBB2_4351:                             ;   in Loop: Header=BB2_3892 Depth=2
	s_mov_b32 s10, -1
	s_mov_b32 s25, exec_lo
                                        ; implicit-def: $sgpr23
	v_cmpx_eq_u16_e64 0x80, v128
; %bb.4352:                             ;   in Loop: Header=BB2_3892 Depth=2
	s_mov_b32 s23, 0x7f800001
	s_xor_b32 s10, exec_lo, -1
; %bb.4353:                             ;   in Loop: Header=BB2_3892 Depth=2
	s_or_b32 exec_lo, exec_lo, s25
	s_delay_alu instid0(SALU_CYCLE_1)
	s_and_b32 s10, s10, exec_lo
	s_or_saveexec_b32 s24, s24
	v_mov_b32_e32 v129, s23
	s_xor_b32 exec_lo, exec_lo, s24
	s_cbranch_execz .LBB2_4107
.LBB2_4354:                             ;   in Loop: Header=BB2_3892 Depth=2
	v_cmp_ne_u16_e64 vcc_lo, 0, v128
	v_mov_b32_e32 v129, 0
	s_and_not1_b32 s10, s10, exec_lo
	s_delay_alu instid0(VALU_DEP_2) | instskip(NEXT) | instid1(SALU_CYCLE_1)
	s_and_b32 s23, vcc_lo, exec_lo
	s_or_b32 s10, s10, s23
	s_or_b32 exec_lo, exec_lo, s24
	s_and_saveexec_b32 s23, s10
	s_cbranch_execnz .LBB2_4108
	s_branch .LBB2_4109
.LBB2_4355:                             ;   in Loop: Header=BB2_3892 Depth=2
	s_mov_b32 s10, -1
	s_mov_b32 s25, exec_lo
                                        ; implicit-def: $sgpr23
	v_cmpx_eq_u16_e64 0x80, v131
; %bb.4356:                             ;   in Loop: Header=BB2_3892 Depth=2
	s_mov_b32 s23, 0x7f800001
	s_xor_b32 s10, exec_lo, -1
; %bb.4357:                             ;   in Loop: Header=BB2_3892 Depth=2
	s_or_b32 exec_lo, exec_lo, s25
	s_delay_alu instid0(SALU_CYCLE_1)
	s_and_b32 s10, s10, exec_lo
                                        ; implicit-def: $vgpr131
	s_or_saveexec_b32 s24, s24
	v_mov_b32_e32 v130, s23
	s_xor_b32 exec_lo, exec_lo, s24
	s_cbranch_execz .LBB2_4119
.LBB2_4358:                             ;   in Loop: Header=BB2_3892 Depth=2
	v_cmp_ne_u16_e64 vcc_lo, 0, v131
	v_mov_b32_e32 v130, 0
	s_and_not1_b32 s10, s10, exec_lo
	s_delay_alu instid0(VALU_DEP_2) | instskip(NEXT) | instid1(SALU_CYCLE_1)
	s_and_b32 s23, vcc_lo, exec_lo
	s_or_b32 s10, s10, s23
	s_or_b32 exec_lo, exec_lo, s24
	s_and_saveexec_b32 s23, s10
	s_cbranch_execnz .LBB2_4120
	s_branch .LBB2_4121
.LBB2_4359:                             ;   in Loop: Header=BB2_3892 Depth=2
	s_mov_b32 s10, -1
	s_mov_b32 s25, exec_lo
                                        ; implicit-def: $sgpr23
	v_cmpx_eq_u16_e64 0x80, v130
; %bb.4360:                             ;   in Loop: Header=BB2_3892 Depth=2
	s_mov_b32 s23, 0x7f800001
	s_xor_b32 s10, exec_lo, -1
; %bb.4361:                             ;   in Loop: Header=BB2_3892 Depth=2
	s_or_b32 exec_lo, exec_lo, s25
	s_delay_alu instid0(SALU_CYCLE_1)
	s_and_b32 s10, s10, exec_lo
	s_or_saveexec_b32 s24, s24
	v_mov_b32_e32 v131, s23
	s_xor_b32 exec_lo, exec_lo, s24
	s_cbranch_execz .LBB2_4131
.LBB2_4362:                             ;   in Loop: Header=BB2_3892 Depth=2
	v_cmp_ne_u16_e64 vcc_lo, 0, v130
	v_mov_b32_e32 v131, 0
	s_and_not1_b32 s10, s10, exec_lo
	s_delay_alu instid0(VALU_DEP_2) | instskip(NEXT) | instid1(SALU_CYCLE_1)
	s_and_b32 s23, vcc_lo, exec_lo
	s_or_b32 s10, s10, s23
	s_or_b32 exec_lo, exec_lo, s24
	s_and_saveexec_b32 s23, s10
	s_cbranch_execnz .LBB2_4132
	s_branch .LBB2_4133
.LBB2_4363:                             ;   in Loop: Header=BB2_3892 Depth=2
	s_mov_b32 s10, -1
	s_mov_b32 s25, exec_lo
                                        ; implicit-def: $sgpr23
	v_cmpx_eq_u16_e64 0x80, v131
; %bb.4364:                             ;   in Loop: Header=BB2_3892 Depth=2
	s_mov_b32 s23, 0x7f800001
	s_xor_b32 s10, exec_lo, -1
; %bb.4365:                             ;   in Loop: Header=BB2_3892 Depth=2
	s_or_b32 exec_lo, exec_lo, s25
	s_delay_alu instid0(SALU_CYCLE_1)
	s_and_b32 s10, s10, exec_lo
                                        ; implicit-def: $vgpr131
	s_or_saveexec_b32 s24, s24
	v_mov_b32_e32 v130, s23
	s_xor_b32 exec_lo, exec_lo, s24
	s_cbranch_execz .LBB2_4143
.LBB2_4366:                             ;   in Loop: Header=BB2_3892 Depth=2
	v_cmp_ne_u16_e64 vcc_lo, 0, v131
	v_mov_b32_e32 v130, 0
	s_and_not1_b32 s10, s10, exec_lo
	s_delay_alu instid0(VALU_DEP_2) | instskip(NEXT) | instid1(SALU_CYCLE_1)
	s_and_b32 s23, vcc_lo, exec_lo
	s_or_b32 s10, s10, s23
	s_or_b32 exec_lo, exec_lo, s24
	s_and_saveexec_b32 s23, s10
	s_cbranch_execnz .LBB2_4144
	s_branch .LBB2_4145
.LBB2_4367:                             ;   in Loop: Header=BB2_3892 Depth=2
	s_mov_b32 s10, -1
	s_mov_b32 s25, exec_lo
                                        ; implicit-def: $sgpr23
	v_cmpx_eq_u16_e64 0x80, v131
; %bb.4368:                             ;   in Loop: Header=BB2_3892 Depth=2
	s_mov_b32 s23, 0x7f800001
	s_xor_b32 s10, exec_lo, -1
; %bb.4369:                             ;   in Loop: Header=BB2_3892 Depth=2
	s_or_b32 exec_lo, exec_lo, s25
	s_delay_alu instid0(SALU_CYCLE_1)
	s_and_b32 s10, s10, exec_lo
	s_or_saveexec_b32 s24, s24
	v_mov_b32_e32 v132, s23
	s_xor_b32 exec_lo, exec_lo, s24
	s_cbranch_execz .LBB2_4155
.LBB2_4370:                             ;   in Loop: Header=BB2_3892 Depth=2
	v_cmp_ne_u16_e64 vcc_lo, 0, v131
	v_mov_b32_e32 v132, 0
	s_and_not1_b32 s10, s10, exec_lo
	s_delay_alu instid0(VALU_DEP_2) | instskip(NEXT) | instid1(SALU_CYCLE_1)
	s_and_b32 s23, vcc_lo, exec_lo
	s_or_b32 s10, s10, s23
	s_or_b32 exec_lo, exec_lo, s24
	s_and_saveexec_b32 s23, s10
	s_cbranch_execnz .LBB2_4156
	s_branch .LBB2_4157
.LBB2_4371:                             ;   in Loop: Header=BB2_3892 Depth=2
	s_mov_b32 s10, -1
	s_mov_b32 s25, exec_lo
                                        ; implicit-def: $sgpr23
	v_cmpx_eq_u16_e64 0x80, v134
; %bb.4372:                             ;   in Loop: Header=BB2_3892 Depth=2
	s_mov_b32 s23, 0x7f800001
	s_xor_b32 s10, exec_lo, -1
; %bb.4373:                             ;   in Loop: Header=BB2_3892 Depth=2
	s_or_b32 exec_lo, exec_lo, s25
	s_delay_alu instid0(SALU_CYCLE_1)
	s_and_b32 s10, s10, exec_lo
                                        ; implicit-def: $vgpr134
	s_or_saveexec_b32 s24, s24
	v_mov_b32_e32 v133, s23
	s_xor_b32 exec_lo, exec_lo, s24
	s_cbranch_execz .LBB2_4167
.LBB2_4374:                             ;   in Loop: Header=BB2_3892 Depth=2
	v_cmp_ne_u16_e64 vcc_lo, 0, v134
	v_mov_b32_e32 v133, 0
	s_and_not1_b32 s10, s10, exec_lo
	s_delay_alu instid0(VALU_DEP_2) | instskip(NEXT) | instid1(SALU_CYCLE_1)
	s_and_b32 s23, vcc_lo, exec_lo
	s_or_b32 s10, s10, s23
	s_or_b32 exec_lo, exec_lo, s24
	s_and_saveexec_b32 s23, s10
	s_cbranch_execnz .LBB2_4168
	s_branch .LBB2_4169
.LBB2_4375:                             ;   in Loop: Header=BB2_3892 Depth=2
	s_mov_b32 s10, -1
	s_mov_b32 s25, exec_lo
                                        ; implicit-def: $sgpr23
	v_cmpx_eq_u16_e64 0x80, v133
; %bb.4376:                             ;   in Loop: Header=BB2_3892 Depth=2
	s_mov_b32 s23, 0x7f800001
	s_xor_b32 s10, exec_lo, -1
; %bb.4377:                             ;   in Loop: Header=BB2_3892 Depth=2
	s_or_b32 exec_lo, exec_lo, s25
	s_delay_alu instid0(SALU_CYCLE_1)
	s_and_b32 s10, s10, exec_lo
	s_or_saveexec_b32 s24, s24
	v_mov_b32_e32 v134, s23
	s_xor_b32 exec_lo, exec_lo, s24
	s_cbranch_execz .LBB2_4179
.LBB2_4378:                             ;   in Loop: Header=BB2_3892 Depth=2
	v_cmp_ne_u16_e64 vcc_lo, 0, v133
	v_mov_b32_e32 v134, 0
	s_and_not1_b32 s10, s10, exec_lo
	s_delay_alu instid0(VALU_DEP_2) | instskip(NEXT) | instid1(SALU_CYCLE_1)
	s_and_b32 s23, vcc_lo, exec_lo
	s_or_b32 s10, s10, s23
	s_or_b32 exec_lo, exec_lo, s24
	s_and_saveexec_b32 s23, s10
	s_cbranch_execnz .LBB2_4180
	s_branch .LBB2_4181
.LBB2_4379:                             ;   in Loop: Header=BB2_3892 Depth=2
	s_mov_b32 s10, -1
	s_mov_b32 s25, exec_lo
                                        ; implicit-def: $sgpr23
	v_cmpx_eq_u16_e64 0x80, v134
; %bb.4380:                             ;   in Loop: Header=BB2_3892 Depth=2
	s_mov_b32 s23, 0x7f800001
	s_xor_b32 s10, exec_lo, -1
; %bb.4381:                             ;   in Loop: Header=BB2_3892 Depth=2
	s_or_b32 exec_lo, exec_lo, s25
	s_delay_alu instid0(SALU_CYCLE_1)
	s_and_b32 s10, s10, exec_lo
                                        ; implicit-def: $vgpr134
	s_or_saveexec_b32 s24, s24
	v_mov_b32_e32 v133, s23
	s_xor_b32 exec_lo, exec_lo, s24
	s_cbranch_execz .LBB2_4191
.LBB2_4382:                             ;   in Loop: Header=BB2_3892 Depth=2
	v_cmp_ne_u16_e64 vcc_lo, 0, v134
	v_mov_b32_e32 v133, 0
	s_and_not1_b32 s10, s10, exec_lo
	s_delay_alu instid0(VALU_DEP_2) | instskip(NEXT) | instid1(SALU_CYCLE_1)
	s_and_b32 s23, vcc_lo, exec_lo
	s_or_b32 s10, s10, s23
	s_or_b32 exec_lo, exec_lo, s24
	s_and_saveexec_b32 s23, s10
	s_cbranch_execnz .LBB2_4192
	s_branch .LBB2_4193
.LBB2_4383:                             ;   in Loop: Header=BB2_3892 Depth=2
	s_mov_b32 s10, -1
	s_mov_b32 s25, exec_lo
                                        ; implicit-def: $sgpr23
	v_cmpx_eq_u16_e64 0x80, v134
; %bb.4384:                             ;   in Loop: Header=BB2_3892 Depth=2
	s_mov_b32 s23, 0x7f800001
	s_xor_b32 s10, exec_lo, -1
; %bb.4385:                             ;   in Loop: Header=BB2_3892 Depth=2
	s_or_b32 exec_lo, exec_lo, s25
	s_delay_alu instid0(SALU_CYCLE_1)
	s_and_b32 s10, s10, exec_lo
	s_or_saveexec_b32 s24, s24
	v_mov_b32_e32 v135, s23
	s_xor_b32 exec_lo, exec_lo, s24
	s_cbranch_execz .LBB2_4203
.LBB2_4386:                             ;   in Loop: Header=BB2_3892 Depth=2
	v_cmp_ne_u16_e64 vcc_lo, 0, v134
	v_mov_b32_e32 v135, 0
	s_and_not1_b32 s10, s10, exec_lo
	s_delay_alu instid0(VALU_DEP_2) | instskip(NEXT) | instid1(SALU_CYCLE_1)
	s_and_b32 s23, vcc_lo, exec_lo
	s_or_b32 s10, s10, s23
	s_or_b32 exec_lo, exec_lo, s24
	s_and_saveexec_b32 s23, s10
	s_cbranch_execnz .LBB2_4204
	s_branch .LBB2_4205
.LBB2_4387:                             ;   in Loop: Header=BB2_3892 Depth=2
	s_mov_b32 s10, -1
	s_mov_b32 s25, exec_lo
                                        ; implicit-def: $sgpr23
	v_cmpx_eq_u16_e64 0x80, v145
; %bb.4388:                             ;   in Loop: Header=BB2_3892 Depth=2
	s_mov_b32 s23, 0x7f800001
	s_xor_b32 s10, exec_lo, -1
; %bb.4389:                             ;   in Loop: Header=BB2_3892 Depth=2
	s_or_b32 exec_lo, exec_lo, s25
	s_delay_alu instid0(SALU_CYCLE_1)
	s_and_b32 s10, s10, exec_lo
                                        ; implicit-def: $vgpr145
	s_or_saveexec_b32 s24, s24
	v_mov_b32_e32 v144, s23
	s_xor_b32 exec_lo, exec_lo, s24
	s_cbranch_execz .LBB2_4215
.LBB2_4390:                             ;   in Loop: Header=BB2_3892 Depth=2
	v_cmp_ne_u16_e64 vcc_lo, 0, v145
	v_mov_b32_e32 v144, 0
	s_and_not1_b32 s10, s10, exec_lo
	s_delay_alu instid0(VALU_DEP_2) | instskip(NEXT) | instid1(SALU_CYCLE_1)
	s_and_b32 s23, vcc_lo, exec_lo
	s_or_b32 s10, s10, s23
	s_or_b32 exec_lo, exec_lo, s24
	s_and_saveexec_b32 s23, s10
	s_cbranch_execnz .LBB2_4216
	s_branch .LBB2_4217
.LBB2_4391:                             ;   in Loop: Header=BB2_3892 Depth=2
	s_mov_b32 s10, -1
	s_mov_b32 s25, exec_lo
                                        ; implicit-def: $sgpr23
	v_cmpx_eq_u16_e64 0x80, v144
; %bb.4392:                             ;   in Loop: Header=BB2_3892 Depth=2
	s_mov_b32 s23, 0x7f800001
	s_xor_b32 s10, exec_lo, -1
; %bb.4393:                             ;   in Loop: Header=BB2_3892 Depth=2
	s_or_b32 exec_lo, exec_lo, s25
	s_delay_alu instid0(SALU_CYCLE_1)
	s_and_b32 s10, s10, exec_lo
	s_or_saveexec_b32 s24, s24
	v_mov_b32_e32 v145, s23
	s_xor_b32 exec_lo, exec_lo, s24
	s_cbranch_execz .LBB2_4227
.LBB2_4394:                             ;   in Loop: Header=BB2_3892 Depth=2
	v_cmp_ne_u16_e64 vcc_lo, 0, v144
	v_mov_b32_e32 v145, 0
	s_and_not1_b32 s10, s10, exec_lo
	s_delay_alu instid0(VALU_DEP_2) | instskip(NEXT) | instid1(SALU_CYCLE_1)
	s_and_b32 s23, vcc_lo, exec_lo
	s_or_b32 s10, s10, s23
	s_or_b32 exec_lo, exec_lo, s24
	s_and_saveexec_b32 s23, s10
	s_cbranch_execnz .LBB2_4228
	s_branch .LBB2_4229
.LBB2_4395:                             ;   in Loop: Header=BB2_3892 Depth=2
	s_mov_b32 s10, -1
	s_mov_b32 s25, exec_lo
                                        ; implicit-def: $sgpr23
	v_cmpx_eq_u16_e64 0x80, v145
; %bb.4396:                             ;   in Loop: Header=BB2_3892 Depth=2
	s_mov_b32 s23, 0x7f800001
	s_xor_b32 s10, exec_lo, -1
; %bb.4397:                             ;   in Loop: Header=BB2_3892 Depth=2
	s_or_b32 exec_lo, exec_lo, s25
	s_delay_alu instid0(SALU_CYCLE_1)
	s_and_b32 s10, s10, exec_lo
                                        ; implicit-def: $vgpr145
	s_or_saveexec_b32 s24, s24
	v_mov_b32_e32 v144, s23
	s_xor_b32 exec_lo, exec_lo, s24
	s_cbranch_execz .LBB2_4239
.LBB2_4398:                             ;   in Loop: Header=BB2_3892 Depth=2
	v_cmp_ne_u16_e64 vcc_lo, 0, v145
	v_mov_b32_e32 v144, 0
	s_and_not1_b32 s10, s10, exec_lo
	s_delay_alu instid0(VALU_DEP_2) | instskip(NEXT) | instid1(SALU_CYCLE_1)
	s_and_b32 s23, vcc_lo, exec_lo
	s_or_b32 s10, s10, s23
	s_or_b32 exec_lo, exec_lo, s24
	s_and_saveexec_b32 s23, s10
	s_cbranch_execnz .LBB2_4240
	s_branch .LBB2_4241
.LBB2_4399:                             ;   in Loop: Header=BB2_3892 Depth=2
	s_mov_b32 s10, -1
	s_mov_b32 s25, exec_lo
                                        ; implicit-def: $sgpr23
	v_cmpx_eq_u16_e64 0x80, v145
; %bb.4400:                             ;   in Loop: Header=BB2_3892 Depth=2
	s_mov_b32 s23, 0x7f800001
	s_xor_b32 s10, exec_lo, -1
; %bb.4401:                             ;   in Loop: Header=BB2_3892 Depth=2
	s_or_b32 exec_lo, exec_lo, s25
	s_delay_alu instid0(SALU_CYCLE_1)
	s_and_b32 s10, s10, exec_lo
	s_or_saveexec_b32 s24, s24
	v_mov_b32_e32 v146, s23
	s_xor_b32 exec_lo, exec_lo, s24
	s_cbranch_execz .LBB2_4251
.LBB2_4402:                             ;   in Loop: Header=BB2_3892 Depth=2
	v_cmp_ne_u16_e64 vcc_lo, 0, v145
	v_mov_b32_e32 v146, 0
	s_and_not1_b32 s10, s10, exec_lo
	s_delay_alu instid0(VALU_DEP_2) | instskip(NEXT) | instid1(SALU_CYCLE_1)
	s_and_b32 s23, vcc_lo, exec_lo
	s_or_b32 s10, s10, s23
	s_or_b32 exec_lo, exec_lo, s24
	s_and_saveexec_b32 s23, s10
	s_cbranch_execnz .LBB2_4252
	s_branch .LBB2_4253
.LBB2_4403:                             ;   in Loop: Header=BB2_3892 Depth=2
	s_mov_b32 s10, -1
	s_mov_b32 s25, exec_lo
                                        ; implicit-def: $sgpr23
	v_cmpx_eq_u16_e64 0x80, v148
; %bb.4404:                             ;   in Loop: Header=BB2_3892 Depth=2
	s_mov_b32 s23, 0x7f800001
	s_xor_b32 s10, exec_lo, -1
; %bb.4405:                             ;   in Loop: Header=BB2_3892 Depth=2
	s_or_b32 exec_lo, exec_lo, s25
	s_delay_alu instid0(SALU_CYCLE_1)
	s_and_b32 s10, s10, exec_lo
                                        ; implicit-def: $vgpr148
	s_or_saveexec_b32 s24, s24
	v_mov_b32_e32 v147, s23
	s_xor_b32 exec_lo, exec_lo, s24
	s_cbranch_execz .LBB2_4263
.LBB2_4406:                             ;   in Loop: Header=BB2_3892 Depth=2
	v_cmp_ne_u16_e64 vcc_lo, 0, v148
	v_mov_b32_e32 v147, 0
	s_and_not1_b32 s10, s10, exec_lo
	s_delay_alu instid0(VALU_DEP_2) | instskip(NEXT) | instid1(SALU_CYCLE_1)
	s_and_b32 s23, vcc_lo, exec_lo
	s_or_b32 s10, s10, s23
	s_or_b32 exec_lo, exec_lo, s24
	s_and_saveexec_b32 s23, s10
	s_cbranch_execnz .LBB2_4264
	s_branch .LBB2_4265
.LBB2_4407:                             ;   in Loop: Header=BB2_3892 Depth=2
	s_mov_b32 s10, -1
	s_mov_b32 s25, exec_lo
                                        ; implicit-def: $sgpr23
	v_cmpx_eq_u16_e64 0x80, v147
; %bb.4408:                             ;   in Loop: Header=BB2_3892 Depth=2
	s_mov_b32 s23, 0x7f800001
	s_xor_b32 s10, exec_lo, -1
; %bb.4409:                             ;   in Loop: Header=BB2_3892 Depth=2
	s_or_b32 exec_lo, exec_lo, s25
	s_delay_alu instid0(SALU_CYCLE_1)
	s_and_b32 s10, s10, exec_lo
	s_or_saveexec_b32 s24, s24
	v_mov_b32_e32 v148, s23
	s_xor_b32 exec_lo, exec_lo, s24
	s_cbranch_execz .LBB2_4275
.LBB2_4410:                             ;   in Loop: Header=BB2_3892 Depth=2
	v_cmp_ne_u16_e64 vcc_lo, 0, v147
	v_mov_b32_e32 v148, 0
	s_and_not1_b32 s10, s10, exec_lo
	s_delay_alu instid0(VALU_DEP_2) | instskip(NEXT) | instid1(SALU_CYCLE_1)
	s_and_b32 s23, vcc_lo, exec_lo
	s_or_b32 s10, s10, s23
	s_or_b32 exec_lo, exec_lo, s24
	s_and_saveexec_b32 s23, s10
	s_cbranch_execnz .LBB2_4276
	s_branch .LBB2_4277
.LBB2_4411:                             ;   in Loop: Header=BB2_3806 Depth=1
	s_or_b32 exec_lo, exec_lo, s20
.LBB2_4412:                             ;   in Loop: Header=BB2_3806 Depth=1
	s_delay_alu instid0(SALU_CYCLE_1) | instskip(SKIP_3) | instid1(VALU_DEP_1)
	s_or_b32 exec_lo, exec_lo, s11
	v_dual_mov_b32 v51, 0 :: v_dual_and_b32 v10, 0x3ffffc00, v39
	s_mov_b32 s10, 0
	s_mov_b32 s20, exec_lo
                                        ; implicit-def: $vgpr50
                                        ; implicit-def: $vgpr86
                                        ; implicit-def: $vgpr12
	v_cmpx_ne_u32_e64 v10, v39
	s_cbranch_execz .LBB2_4686
; %bb.4413:                             ;   in Loop: Header=BB2_3806 Depth=1
	v_lshlrev_b32_e32 v11, 5, v85
	v_bfe_u32 v49, v39, 9, 1
	s_mov_b32 s21, exec_lo
	s_delay_alu instid0(VALU_DEP_2) | instskip(NEXT) | instid1(VALU_DEP_1)
	v_sub_nc_u32_e32 v11, v67, v11
	v_ashrrev_i32_e32 v12, 31, v11
	s_delay_alu instid0(VALU_DEP_1) | instskip(NEXT) | instid1(VALU_DEP_1)
	v_lshrrev_b32_e32 v12, 27, v12
	v_add_nc_u32_e32 v12, v11, v12
	s_delay_alu instid0(VALU_DEP_1) | instskip(SKIP_1) | instid1(VALU_DEP_2)
	v_and_b32_e32 v13, 0xffffffe0, v12
	v_ashrrev_i32_e32 v12, 5, v12
	v_sub_nc_u32_e32 v52, v11, v13
	v_and_b32_e32 v13, 0x3ff, v39
	v_and_b32_e32 v11, 0x200, v39
	s_delay_alu instid0(VALU_DEP_3) | instskip(NEXT) | instid1(VALU_DEP_2)
	v_lshlrev_b32_e32 v48, 4, v52
	v_sub_nc_u32_e32 v53, v13, v11
	s_delay_alu instid0(VALU_DEP_2) | instskip(NEXT) | instid1(VALU_DEP_2)
	v_lshl_add_u32 v11, v12, 9, v48
	v_cmp_lt_i32_e64 s10, 15, v53
	s_delay_alu instid0(VALU_DEP_2) | instskip(NEXT) | instid1(VALU_DEP_2)
	v_sub_nc_u32_e32 v86, v13, v11
	v_add_co_ci_u32_e64 v48, vcc_lo, 0, v49, s10
	s_delay_alu instid0(VALU_DEP_1) | instskip(NEXT) | instid1(VALU_DEP_3)
	v_sub_nc_u32_e32 v85, v48, v12
	v_cmpx_lt_i32_e32 15, v86
	s_cbranch_execz .LBB2_4683
; %bb.4414:                             ;   in Loop: Header=BB2_3806 Depth=1
	s_cbranch_execnz .LBB2_5179
; %bb.4415:                             ;   in Loop: Header=BB2_3806 Depth=1
	ds_load_b64 v[48:49], v0
	v_add_nc_u32_e32 v87, v11, v10
	s_delay_alu instid0(VALU_DEP_1) | instskip(SKIP_3) | instid1(VALU_DEP_2)
	v_ashrrev_i32_e32 v96, 31, v87
	s_waitcnt lgkmcnt(0)
	v_readfirstlane_b32 s11, v48
	v_and_b32_e32 v97, 0xff, v48
	s_and_b32 s22, s11, 7
	s_bfe_u32 s25, s11, 0x40003
	s_clz_i32_u32 s23, s22
	s_delay_alu instid0(SALU_CYCLE_1) | instskip(NEXT) | instid1(SALU_CYCLE_1)
	s_min_u32 s23, s23, 32
	s_sub_i32 s24, s23, 28
	s_sub_i32 s23, 29, s23
	s_lshl_b32 s24, s11, s24
	s_delay_alu instid0(SALU_CYCLE_1)
	s_and_b32 s24, s24, 7
	s_cmp_eq_u32 s25, 0
	s_cselect_b32 s23, s23, s25
	s_cselect_b32 s22, s24, s22
	s_lshl_b32 s11, s11, 24
	s_lshl_b32 s24, s22, 20
	;; [unrolled: 1-line block ×3, first 2 shown]
	s_and_b32 s11, s11, 0x80000000
	s_add_i32 s22, s22, 0x3b800000
	s_delay_alu instid0(SALU_CYCLE_1)
	s_or_b32 s11, s11, s22
	s_mov_b32 s22, 0
	s_or_b32 s23, s11, s24
	s_branch .LBB2_4419
.LBB2_4416:                             ;   in Loop: Header=BB2_4419 Depth=2
	s_or_b32 exec_lo, exec_lo, s11
	s_delay_alu instid0(VALU_DEP_1) | instskip(NEXT) | instid1(VALU_DEP_2)
	v_lshrrev_b32_e32 v119, 20, v119
	v_cmp_gt_i32_e32 vcc_lo, 16, v118
	v_min_i32_e32 v128, 15, v118
	v_lshrrev_b32_e32 v13, 24, v13
	s_delay_alu instid0(VALU_DEP_2) | instskip(NEXT) | instid1(VALU_DEP_2)
	v_dual_cndmask_b32 v119, 7, v119 :: v_dual_lshlrev_b32 v128, 3, v128
	v_and_b32_e32 v13, 0x80, v13
	s_delay_alu instid0(VALU_DEP_2) | instskip(NEXT) | instid1(VALU_DEP_3)
	v_or_b32_e32 v118, v118, v119
	v_and_b32_e32 v128, 0xf8, v128
	s_delay_alu instid0(VALU_DEP_2) | instskip(SKIP_1) | instid1(VALU_DEP_1)
	v_cmp_ne_u32_e32 vcc_lo, 0, v118
	v_and_b32_e32 v129, 7, v119
	v_or3_b32 v13, v13, v128, v129
	s_delay_alu instid0(VALU_DEP_1) | instskip(NEXT) | instid1(VALU_DEP_1)
	v_lshlrev_b32_e32 v13, 8, v13
	v_cndmask_b32_e32 v118, 0, v13, vcc_lo
.LBB2_4417:                             ;   in Loop: Header=BB2_4419 Depth=2
	s_or_b32 exec_lo, exec_lo, s25
.LBB2_4418:                             ;   in Loop: Header=BB2_4419 Depth=2
	s_delay_alu instid0(SALU_CYCLE_1)
	s_or_b32 exec_lo, exec_lo, s24
	v_or_b32_e32 v11, v11, v103
	v_and_b32_e32 v13, 0xff, v100
	v_lshlrev_b32_e32 v99, 8, v99
	v_and_b32_e32 v100, 0xff, v114
	v_lshlrev_b32_e32 v103, 8, v113
	v_or_b32_e32 v113, v118, v117
	v_sub_nc_u32_e32 v86, v86, v66
	v_lshlrev_b32_e32 v10, 24, v10
	v_lshlrev_b32_e32 v11, 16, v11
	;; [unrolled: 1-line block ×3, first 2 shown]
	v_perm_b32 v98, v99, v98, 0xc0c0500
	v_lshlrev_b32_e32 v12, 24, v12
	v_lshlrev_b32_e32 v99, 16, v100
	v_perm_b32 v100, v103, v112, 0xc0c0500
	v_lshlrev_b32_e32 v103, 16, v113
	v_cmp_gt_i32_e32 vcc_lo, 16, v86
	v_add_co_u32 v87, s11, v87, v70
	v_or3_b32 v11, v102, v101, v11
	v_or3_b32 v10, v10, v13, v98
	;; [unrolled: 1-line block ×4, first 2 shown]
	v_sub_nc_u32_e32 v85, v85, v64
	v_add_co_ci_u32_e64 v96, s11, v96, v71, s11
	s_or_b32 s22, vcc_lo, s22
	global_store_b128 v[50:51], v[10:13], off glc slc dlc
	s_and_not1_b32 exec_lo, exec_lo, s22
	s_cbranch_execz .LBB2_4682
.LBB2_4419:                             ;   Parent Loop BB2_3806 Depth=1
                                        ; =>  This Inner Loop Header: Depth=2
	v_cmp_gt_i16_e32 vcc_lo, 0x80, v97
	s_cbranch_vccnz .LBB2_4423
; %bb.4420:                             ;   in Loop: Header=BB2_4419 Depth=2
	v_cmp_eq_u16_e32 vcc_lo, 0x80, v97
	s_mov_b32 s11, -1
                                        ; implicit-def: $sgpr24
	s_cbranch_vccz .LBB2_4422
; %bb.4421:                             ;   in Loop: Header=BB2_4419 Depth=2
	s_mov_b32 s11, 0
	s_mov_b32 s24, 0x7f800001
.LBB2_4422:                             ;   in Loop: Header=BB2_4419 Depth=2
	s_mov_b32 s25, 0
	s_branch .LBB2_4424
.LBB2_4423:                             ;   in Loop: Header=BB2_4419 Depth=2
	s_mov_b32 s25, -1
	s_mov_b32 s11, 0
                                        ; implicit-def: $sgpr24
.LBB2_4424:                             ;   in Loop: Header=BB2_4419 Depth=2
	s_and_b32 vcc_lo, exec_lo, s25
	s_cbranch_vccz .LBB2_4426
; %bb.4425:                             ;   in Loop: Header=BB2_4419 Depth=2
	v_cmp_ne_u16_e64 s11, 0, v97
	s_mov_b32 s24, 0
.LBB2_4426:                             ;   in Loop: Header=BB2_4419 Depth=2
	s_delay_alu instid0(VALU_DEP_1)
	s_and_not1_b32 vcc_lo, exec_lo, s11
	s_cbranch_vccnz .LBB2_4428
; %bb.4427:                             ;   in Loop: Header=BB2_4419 Depth=2
	s_mov_b32 s24, s23
.LBB2_4428:                             ;   in Loop: Header=BB2_4419 Depth=2
	v_add_co_u32 v50, vcc_lo, v48, v87
	v_add_co_ci_u32_e32 v51, vcc_lo, v49, v96, vcc_lo
	s_mov_b32 s11, 0
	s_mov_b32 s26, exec_lo
                                        ; implicit-def: $sgpr25
	global_load_b128 v[10:13], v[50:51], off slc dlc
	s_waitcnt vmcnt(0)
	v_and_b32_e32 v99, 0xff, v10
	s_delay_alu instid0(VALU_DEP_1)
	v_cmpx_lt_i16_e32 0x7f, v99
	s_xor_b32 s26, exec_lo, s26
	s_cbranch_execnz .LBB2_4618
; %bb.4429:                             ;   in Loop: Header=BB2_4419 Depth=2
	s_or_saveexec_b32 s26, s26
	v_mov_b32_e32 v98, s25
	s_xor_b32 exec_lo, exec_lo, s26
	s_cbranch_execnz .LBB2_4621
.LBB2_4430:                             ;   in Loop: Header=BB2_4419 Depth=2
	s_or_b32 exec_lo, exec_lo, s26
	s_and_saveexec_b32 s25, s11
	s_cbranch_execz .LBB2_4432
.LBB2_4431:                             ;   in Loop: Header=BB2_4419 Depth=2
	v_bfe_u32 v101, v10, 3, 4
	v_lshlrev_b32_e32 v102, 24, v10
	s_delay_alu instid0(VALU_DEP_2) | instskip(SKIP_1) | instid1(VALU_DEP_1)
	v_cmp_eq_u32_e32 vcc_lo, 0, v101
	v_and_b32_e32 v98, 7, v10
	v_clz_i32_u32_e32 v99, v98
	s_delay_alu instid0(VALU_DEP_1) | instskip(NEXT) | instid1(VALU_DEP_1)
	v_min_u32_e32 v99, 32, v99
	v_subrev_nc_u32_e32 v100, 28, v99
	v_sub_nc_u32_e32 v99, 29, v99
	s_delay_alu instid0(VALU_DEP_1) | instskip(NEXT) | instid1(VALU_DEP_1)
	v_dual_cndmask_b32 v99, v101, v99 :: v_dual_lshlrev_b32 v100, v100, v10
	v_and_b32_e32 v100, 7, v100
	s_delay_alu instid0(VALU_DEP_2) | instskip(NEXT) | instid1(VALU_DEP_2)
	v_lshl_add_u32 v99, v99, 23, 0x3b800000
	v_cndmask_b32_e32 v98, v98, v100, vcc_lo
	v_and_b32_e32 v100, 0x80000000, v102
	s_delay_alu instid0(VALU_DEP_2) | instskip(NEXT) | instid1(VALU_DEP_1)
	v_lshlrev_b32_e32 v98, 20, v98
	v_or3_b32 v98, v100, v99, v98
.LBB2_4432:                             ;   in Loop: Header=BB2_4419 Depth=2
	s_or_b32 exec_lo, exec_lo, s25
	s_delay_alu instid0(VALU_DEP_1) | instskip(NEXT) | instid1(VALU_DEP_1)
	v_mul_f32_e32 v99, s24, v98
	v_and_b32_e32 v98, 0x7f800000, v99
	s_delay_alu instid0(VALU_DEP_1)
	v_cmp_ne_u32_e32 vcc_lo, 0x7f800000, v98
	v_mov_b32_e32 v98, 0x80
	s_and_saveexec_b32 s25, vcc_lo
	s_cbranch_execz .LBB2_4440
; %bb.4433:                             ;   in Loop: Header=BB2_4419 Depth=2
	v_mov_b32_e32 v98, 0
	s_mov_b32 s26, exec_lo
	v_cmpx_ne_u32_e32 0, v99
	s_cbranch_execz .LBB2_4439
; %bb.4434:                             ;   in Loop: Header=BB2_4419 Depth=2
	v_bfe_u32 v98, v99, 23, 8
	s_delay_alu instid0(VALU_DEP_1) | instskip(SKIP_1) | instid1(VALU_DEP_2)
	v_sub_nc_u32_e32 v101, 0x78, v98
	v_cmp_gt_u32_e32 vcc_lo, 0x79, v98
	v_dual_cndmask_b32 v101, 0, v101 :: v_dual_and_b32 v100, 0x7fffff, v99
	s_delay_alu instid0(VALU_DEP_1) | instskip(SKIP_2) | instid1(VALU_DEP_4)
	v_or_b32_e32 v102, 0x800000, v100
	v_cmp_eq_u32_e32 vcc_lo, 0, v98
	v_add_nc_u32_e32 v98, 0xffffff89, v98
	v_cndmask_b32_e64 v101, v101, 0x77, vcc_lo
	s_delay_alu instid0(VALU_DEP_2) | instskip(SKIP_1) | instid1(VALU_DEP_3)
	v_cndmask_b32_e64 v98, v98, 0xffffff8a, vcc_lo
	v_cndmask_b32_e32 v100, v102, v100, vcc_lo
	v_lshl_add_u32 v102, 0x100000, v101, -1
	v_lshlrev_b32_e64 v113, v101, 0x80000
	s_delay_alu instid0(VALU_DEP_3) | instskip(SKIP_1) | instid1(VALU_DEP_4)
	v_lshrrev_b32_e32 v103, v101, v100
	v_add_nc_u32_e32 v101, v101, v98
	v_and_b32_e32 v100, v102, v100
	s_delay_alu instid0(VALU_DEP_3) | instskip(NEXT) | instid1(VALU_DEP_2)
	v_bfe_u32 v112, v103, 20, 1
	v_cmp_eq_u32_e64 s11, v100, v113
	s_delay_alu instid0(VALU_DEP_2) | instskip(NEXT) | instid1(VALU_DEP_1)
	v_add_nc_u32_e32 v102, -1, v112
	v_cndmask_b32_e64 v100, 0, v102, s11
	v_lshrrev_b32_e32 v102, 23, v103
	s_mov_b32 s11, exec_lo
	s_delay_alu instid0(VALU_DEP_2) | instskip(NEXT) | instid1(VALU_DEP_2)
	v_add_nc_u32_e32 v100, v100, v103
	v_xor_b32_e32 v102, 1, v102
	s_delay_alu instid0(VALU_DEP_2) | instskip(NEXT) | instid1(VALU_DEP_1)
	v_and_b32_e32 v98, 0xfffff, v100
	v_add_nc_u32_e32 v100, v98, v103
                                        ; implicit-def: $vgpr98
	s_delay_alu instid0(VALU_DEP_3)
	v_cmpx_ne_u32_e64 v101, v102
	s_xor_b32 s11, exec_lo, s11
; %bb.4435:                             ;   in Loop: Header=BB2_4419 Depth=2
	s_delay_alu instid0(VALU_DEP_2) | instskip(SKIP_2) | instid1(VALU_DEP_2)
	v_cmp_lt_u32_e32 vcc_lo, 0xffffff, v100
	v_sub_nc_u32_e32 v98, v101, v102
	v_cndmask_b32_e64 v101, 0, 1, vcc_lo
	v_add_co_ci_u32_e32 v98, vcc_lo, 0, v98, vcc_lo
	s_delay_alu instid0(VALU_DEP_2)
	v_lshrrev_b32_e32 v100, v101, v100
; %bb.4436:                             ;   in Loop: Header=BB2_4419 Depth=2
	s_and_not1_saveexec_b32 s11, s11
; %bb.4437:                             ;   in Loop: Header=BB2_4419 Depth=2
	s_delay_alu instid0(VALU_DEP_1)
	v_bfe_u32 v98, v100, 23, 1
; %bb.4438:                             ;   in Loop: Header=BB2_4419 Depth=2
	s_or_b32 exec_lo, exec_lo, s11
	v_lshrrev_b32_e32 v100, 20, v100
	s_delay_alu instid0(VALU_DEP_2) | instskip(SKIP_2) | instid1(VALU_DEP_2)
	v_cmp_gt_i32_e32 vcc_lo, 16, v98
	v_lshrrev_b32_e32 v99, 24, v99
	v_min_i32_e32 v101, 15, v98
	v_dual_cndmask_b32 v100, 7, v100 :: v_dual_and_b32 v99, 0x80, v99
	s_delay_alu instid0(VALU_DEP_1) | instskip(SKIP_1) | instid1(VALU_DEP_2)
	v_or_b32_e32 v98, v98, v100
	v_and_b32_e32 v102, 7, v100
	v_cmp_ne_u32_e32 vcc_lo, 0, v98
	v_lshlrev_b32_e32 v101, 3, v101
	s_delay_alu instid0(VALU_DEP_1) | instskip(NEXT) | instid1(VALU_DEP_1)
	v_or3_b32 v99, v101, v99, v102
	v_cndmask_b32_e32 v98, 0, v99, vcc_lo
.LBB2_4439:                             ;   in Loop: Header=BB2_4419 Depth=2
	s_or_b32 exec_lo, exec_lo, s26
.LBB2_4440:                             ;   in Loop: Header=BB2_4419 Depth=2
	s_delay_alu instid0(SALU_CYCLE_1) | instskip(SKIP_3) | instid1(VALU_DEP_1)
	s_or_b32 exec_lo, exec_lo, s25
	v_lshrrev_b16 v99, 8, v10
	s_mov_b32 s11, 0
	s_mov_b32 s26, exec_lo
                                        ; implicit-def: $sgpr25
	v_cmpx_lt_i16_e32 0x7f, v99
	s_xor_b32 s26, exec_lo, s26
	s_cbranch_execnz .LBB2_4622
; %bb.4441:                             ;   in Loop: Header=BB2_4419 Depth=2
	s_or_saveexec_b32 s26, s26
	v_mov_b32_e32 v100, s25
	s_xor_b32 exec_lo, exec_lo, s26
	s_cbranch_execnz .LBB2_4625
.LBB2_4442:                             ;   in Loop: Header=BB2_4419 Depth=2
	s_or_b32 exec_lo, exec_lo, s26
	s_and_saveexec_b32 s25, s11
	s_cbranch_execz .LBB2_4444
.LBB2_4443:                             ;   in Loop: Header=BB2_4419 Depth=2
	v_and_b32_e32 v100, 0xffff, v99
	v_lshlrev_b32_e32 v99, 24, v99
	s_delay_alu instid0(VALU_DEP_2) | instskip(NEXT) | instid1(VALU_DEP_2)
	v_and_b32_e32 v101, 7, v100
	v_and_b32_e32 v99, 0x80000000, v99
	s_delay_alu instid0(VALU_DEP_2) | instskip(NEXT) | instid1(VALU_DEP_1)
	v_clz_i32_u32_e32 v102, v101
	v_min_u32_e32 v102, 32, v102
	s_delay_alu instid0(VALU_DEP_1) | instskip(SKIP_1) | instid1(VALU_DEP_2)
	v_subrev_nc_u32_e32 v103, 28, v102
	v_sub_nc_u32_e32 v102, 29, v102
	v_lshlrev_b32_e32 v103, v103, v100
	v_bfe_u32 v100, v100, 3, 4
	s_delay_alu instid0(VALU_DEP_2) | instskip(NEXT) | instid1(VALU_DEP_2)
	v_and_b32_e32 v103, 7, v103
	v_cmp_eq_u32_e32 vcc_lo, 0, v100
	s_delay_alu instid0(VALU_DEP_2) | instskip(NEXT) | instid1(VALU_DEP_1)
	v_dual_cndmask_b32 v100, v100, v102 :: v_dual_cndmask_b32 v101, v101, v103
	v_lshl_add_u32 v100, v100, 23, 0x3b800000
	s_delay_alu instid0(VALU_DEP_2) | instskip(NEXT) | instid1(VALU_DEP_1)
	v_lshlrev_b32_e32 v101, 20, v101
	v_or3_b32 v100, v99, v100, v101
.LBB2_4444:                             ;   in Loop: Header=BB2_4419 Depth=2
	s_or_b32 exec_lo, exec_lo, s25
	s_delay_alu instid0(VALU_DEP_1) | instskip(NEXT) | instid1(VALU_DEP_1)
	v_mul_f32_e32 v100, s24, v100
	v_and_b32_e32 v99, 0x7f800000, v100
	s_delay_alu instid0(VALU_DEP_1)
	v_cmp_ne_u32_e32 vcc_lo, 0x7f800000, v99
	v_mov_b32_e32 v99, 0x80
	s_and_saveexec_b32 s25, vcc_lo
	s_cbranch_execz .LBB2_4452
; %bb.4445:                             ;   in Loop: Header=BB2_4419 Depth=2
	v_mov_b32_e32 v99, 0
	s_mov_b32 s26, exec_lo
	v_cmpx_ne_u32_e32 0, v100
	s_cbranch_execz .LBB2_4451
; %bb.4446:                             ;   in Loop: Header=BB2_4419 Depth=2
	v_bfe_u32 v99, v100, 23, 8
	s_delay_alu instid0(VALU_DEP_1) | instskip(SKIP_1) | instid1(VALU_DEP_2)
	v_sub_nc_u32_e32 v102, 0x78, v99
	v_cmp_gt_u32_e32 vcc_lo, 0x79, v99
	v_dual_cndmask_b32 v102, 0, v102 :: v_dual_and_b32 v101, 0x7fffff, v100
	s_delay_alu instid0(VALU_DEP_1) | instskip(SKIP_2) | instid1(VALU_DEP_4)
	v_or_b32_e32 v103, 0x800000, v101
	v_cmp_eq_u32_e32 vcc_lo, 0, v99
	v_add_nc_u32_e32 v99, 0xffffff89, v99
	v_cndmask_b32_e64 v102, v102, 0x77, vcc_lo
	s_delay_alu instid0(VALU_DEP_2) | instskip(SKIP_1) | instid1(VALU_DEP_3)
	v_cndmask_b32_e64 v99, v99, 0xffffff8a, vcc_lo
	v_cndmask_b32_e32 v101, v103, v101, vcc_lo
	v_lshl_add_u32 v103, 0x100000, v102, -1
	v_lshlrev_b32_e64 v114, v102, 0x80000
	s_delay_alu instid0(VALU_DEP_3) | instskip(SKIP_1) | instid1(VALU_DEP_4)
	v_lshrrev_b32_e32 v112, v102, v101
	v_add_nc_u32_e32 v102, v102, v99
	v_and_b32_e32 v101, v103, v101
	s_delay_alu instid0(VALU_DEP_3) | instskip(NEXT) | instid1(VALU_DEP_2)
	v_bfe_u32 v113, v112, 20, 1
	v_cmp_eq_u32_e64 s11, v101, v114
	s_delay_alu instid0(VALU_DEP_2) | instskip(NEXT) | instid1(VALU_DEP_1)
	v_add_nc_u32_e32 v103, -1, v113
	v_cndmask_b32_e64 v101, 0, v103, s11
	v_lshrrev_b32_e32 v103, 23, v112
	s_mov_b32 s11, exec_lo
	s_delay_alu instid0(VALU_DEP_2) | instskip(NEXT) | instid1(VALU_DEP_2)
	v_add_nc_u32_e32 v101, v101, v112
	v_xor_b32_e32 v103, 1, v103
	s_delay_alu instid0(VALU_DEP_2) | instskip(NEXT) | instid1(VALU_DEP_1)
	v_and_b32_e32 v99, 0xfffff, v101
	v_add_nc_u32_e32 v101, v99, v112
                                        ; implicit-def: $vgpr99
	s_delay_alu instid0(VALU_DEP_3)
	v_cmpx_ne_u32_e64 v102, v103
	s_xor_b32 s11, exec_lo, s11
; %bb.4447:                             ;   in Loop: Header=BB2_4419 Depth=2
	s_delay_alu instid0(VALU_DEP_2) | instskip(SKIP_2) | instid1(VALU_DEP_2)
	v_cmp_lt_u32_e32 vcc_lo, 0xffffff, v101
	v_sub_nc_u32_e32 v99, v102, v103
	v_cndmask_b32_e64 v102, 0, 1, vcc_lo
	v_add_co_ci_u32_e32 v99, vcc_lo, 0, v99, vcc_lo
	s_delay_alu instid0(VALU_DEP_2)
	v_lshrrev_b32_e32 v101, v102, v101
; %bb.4448:                             ;   in Loop: Header=BB2_4419 Depth=2
	s_and_not1_saveexec_b32 s11, s11
; %bb.4449:                             ;   in Loop: Header=BB2_4419 Depth=2
	s_delay_alu instid0(VALU_DEP_1)
	v_bfe_u32 v99, v101, 23, 1
; %bb.4450:                             ;   in Loop: Header=BB2_4419 Depth=2
	s_or_b32 exec_lo, exec_lo, s11
	v_lshrrev_b32_e32 v101, 20, v101
	s_delay_alu instid0(VALU_DEP_2) | instskip(SKIP_2) | instid1(VALU_DEP_2)
	v_cmp_gt_i32_e32 vcc_lo, 16, v99
	v_lshrrev_b32_e32 v100, 24, v100
	v_min_i32_e32 v102, 15, v99
	v_dual_cndmask_b32 v101, 7, v101 :: v_dual_and_b32 v100, 0x80, v100
	s_delay_alu instid0(VALU_DEP_1) | instskip(SKIP_1) | instid1(VALU_DEP_2)
	v_or_b32_e32 v99, v99, v101
	v_and_b32_e32 v103, 7, v101
	v_cmp_ne_u32_e32 vcc_lo, 0, v99
	v_lshlrev_b32_e32 v102, 3, v102
	s_delay_alu instid0(VALU_DEP_1) | instskip(NEXT) | instid1(VALU_DEP_1)
	v_or3_b32 v100, v102, v100, v103
	v_cndmask_b32_e32 v99, 0, v100, vcc_lo
.LBB2_4451:                             ;   in Loop: Header=BB2_4419 Depth=2
	s_or_b32 exec_lo, exec_lo, s26
.LBB2_4452:                             ;   in Loop: Header=BB2_4419 Depth=2
	s_delay_alu instid0(SALU_CYCLE_1) | instskip(SKIP_3) | instid1(VALU_DEP_1)
	s_or_b32 exec_lo, exec_lo, s25
	v_lshrrev_b32_e32 v100, 16, v10
	s_mov_b32 s11, 0
	s_mov_b32 s26, exec_lo
                                        ; implicit-def: $sgpr25
	v_and_b32_e32 v102, 0xff, v100
	s_delay_alu instid0(VALU_DEP_1)
	v_cmpx_lt_i16_e32 0x7f, v102
	s_xor_b32 s26, exec_lo, s26
	s_cbranch_execnz .LBB2_4626
; %bb.4453:                             ;   in Loop: Header=BB2_4419 Depth=2
	s_or_saveexec_b32 s26, s26
	v_mov_b32_e32 v101, s25
	s_xor_b32 exec_lo, exec_lo, s26
	s_cbranch_execnz .LBB2_4629
.LBB2_4454:                             ;   in Loop: Header=BB2_4419 Depth=2
	s_or_b32 exec_lo, exec_lo, s26
	s_and_saveexec_b32 s25, s11
	s_cbranch_execz .LBB2_4456
.LBB2_4455:                             ;   in Loop: Header=BB2_4419 Depth=2
	v_bfe_u32 v101, v10, 16, 3
	v_lshlrev_b32_e32 v112, 8, v10
	s_delay_alu instid0(VALU_DEP_2) | instskip(NEXT) | instid1(VALU_DEP_1)
	v_clz_i32_u32_e32 v102, v101
	v_min_u32_e32 v102, 32, v102
	s_delay_alu instid0(VALU_DEP_1) | instskip(SKIP_1) | instid1(VALU_DEP_2)
	v_subrev_nc_u32_e32 v103, 28, v102
	v_sub_nc_u32_e32 v102, 29, v102
	v_lshlrev_b32_e32 v100, v103, v100
	v_bfe_u32 v103, v10, 19, 4
	s_delay_alu instid0(VALU_DEP_2) | instskip(NEXT) | instid1(VALU_DEP_2)
	v_and_b32_e32 v100, 7, v100
	v_cmp_eq_u32_e32 vcc_lo, 0, v103
	v_cndmask_b32_e32 v102, v103, v102, vcc_lo
	s_delay_alu instid0(VALU_DEP_3) | instskip(SKIP_1) | instid1(VALU_DEP_3)
	v_cndmask_b32_e32 v100, v101, v100, vcc_lo
	v_and_b32_e32 v101, 0x80000000, v112
	v_lshl_add_u32 v102, v102, 23, 0x3b800000
	s_delay_alu instid0(VALU_DEP_3) | instskip(NEXT) | instid1(VALU_DEP_1)
	v_lshlrev_b32_e32 v100, 20, v100
	v_or3_b32 v101, v101, v102, v100
.LBB2_4456:                             ;   in Loop: Header=BB2_4419 Depth=2
	s_or_b32 exec_lo, exec_lo, s25
	s_delay_alu instid0(VALU_DEP_1) | instskip(NEXT) | instid1(VALU_DEP_1)
	v_mul_f32_e32 v101, s24, v101
	v_and_b32_e32 v100, 0x7f800000, v101
	s_delay_alu instid0(VALU_DEP_1)
	v_cmp_ne_u32_e32 vcc_lo, 0x7f800000, v100
	v_mov_b32_e32 v100, 0x80
	s_and_saveexec_b32 s25, vcc_lo
	s_cbranch_execz .LBB2_4464
; %bb.4457:                             ;   in Loop: Header=BB2_4419 Depth=2
	v_mov_b32_e32 v100, 0
	s_mov_b32 s26, exec_lo
	v_cmpx_ne_u32_e32 0, v101
	s_cbranch_execz .LBB2_4463
; %bb.4458:                             ;   in Loop: Header=BB2_4419 Depth=2
	v_bfe_u32 v100, v101, 23, 8
	s_delay_alu instid0(VALU_DEP_1) | instskip(SKIP_1) | instid1(VALU_DEP_2)
	v_sub_nc_u32_e32 v103, 0x78, v100
	v_cmp_gt_u32_e32 vcc_lo, 0x79, v100
	v_dual_cndmask_b32 v103, 0, v103 :: v_dual_and_b32 v102, 0x7fffff, v101
	s_delay_alu instid0(VALU_DEP_1) | instskip(SKIP_2) | instid1(VALU_DEP_4)
	v_or_b32_e32 v112, 0x800000, v102
	v_cmp_eq_u32_e32 vcc_lo, 0, v100
	v_add_nc_u32_e32 v100, 0xffffff89, v100
	v_cndmask_b32_e64 v103, v103, 0x77, vcc_lo
	s_delay_alu instid0(VALU_DEP_2) | instskip(SKIP_1) | instid1(VALU_DEP_3)
	v_cndmask_b32_e64 v100, v100, 0xffffff8a, vcc_lo
	v_cndmask_b32_e32 v102, v112, v102, vcc_lo
	v_lshl_add_u32 v112, 0x100000, v103, -1
	v_lshlrev_b32_e64 v115, v103, 0x80000
	s_delay_alu instid0(VALU_DEP_3) | instskip(SKIP_1) | instid1(VALU_DEP_4)
	v_lshrrev_b32_e32 v113, v103, v102
	v_add_nc_u32_e32 v103, v103, v100
	v_and_b32_e32 v102, v112, v102
	s_delay_alu instid0(VALU_DEP_3) | instskip(NEXT) | instid1(VALU_DEP_2)
	v_bfe_u32 v114, v113, 20, 1
	v_cmp_eq_u32_e64 s11, v102, v115
	s_delay_alu instid0(VALU_DEP_2) | instskip(NEXT) | instid1(VALU_DEP_1)
	v_add_nc_u32_e32 v112, -1, v114
	v_cndmask_b32_e64 v102, 0, v112, s11
	v_lshrrev_b32_e32 v112, 23, v113
	s_mov_b32 s11, exec_lo
	s_delay_alu instid0(VALU_DEP_2) | instskip(NEXT) | instid1(VALU_DEP_2)
	v_add_nc_u32_e32 v102, v102, v113
	v_xor_b32_e32 v112, 1, v112
	s_delay_alu instid0(VALU_DEP_2) | instskip(NEXT) | instid1(VALU_DEP_1)
	v_and_b32_e32 v100, 0xfffff, v102
	v_add_nc_u32_e32 v102, v100, v113
                                        ; implicit-def: $vgpr100
	s_delay_alu instid0(VALU_DEP_3)
	v_cmpx_ne_u32_e64 v103, v112
	s_xor_b32 s11, exec_lo, s11
; %bb.4459:                             ;   in Loop: Header=BB2_4419 Depth=2
	s_delay_alu instid0(VALU_DEP_2) | instskip(SKIP_2) | instid1(VALU_DEP_2)
	v_cmp_lt_u32_e32 vcc_lo, 0xffffff, v102
	v_sub_nc_u32_e32 v100, v103, v112
	v_cndmask_b32_e64 v103, 0, 1, vcc_lo
	v_add_co_ci_u32_e32 v100, vcc_lo, 0, v100, vcc_lo
	s_delay_alu instid0(VALU_DEP_2)
	v_lshrrev_b32_e32 v102, v103, v102
; %bb.4460:                             ;   in Loop: Header=BB2_4419 Depth=2
	s_and_not1_saveexec_b32 s11, s11
; %bb.4461:                             ;   in Loop: Header=BB2_4419 Depth=2
	s_delay_alu instid0(VALU_DEP_1)
	v_bfe_u32 v100, v102, 23, 1
; %bb.4462:                             ;   in Loop: Header=BB2_4419 Depth=2
	s_or_b32 exec_lo, exec_lo, s11
	v_lshrrev_b32_e32 v102, 20, v102
	s_delay_alu instid0(VALU_DEP_2) | instskip(SKIP_2) | instid1(VALU_DEP_2)
	v_cmp_gt_i32_e32 vcc_lo, 16, v100
	v_lshrrev_b32_e32 v101, 24, v101
	v_min_i32_e32 v103, 15, v100
	v_dual_cndmask_b32 v102, 7, v102 :: v_dual_and_b32 v101, 0x80, v101
	s_delay_alu instid0(VALU_DEP_1) | instskip(SKIP_1) | instid1(VALU_DEP_2)
	v_or_b32_e32 v100, v100, v102
	v_and_b32_e32 v112, 7, v102
	v_cmp_ne_u32_e32 vcc_lo, 0, v100
	v_lshlrev_b32_e32 v103, 3, v103
	s_delay_alu instid0(VALU_DEP_1) | instskip(NEXT) | instid1(VALU_DEP_1)
	v_or3_b32 v101, v103, v101, v112
	v_cndmask_b32_e32 v100, 0, v101, vcc_lo
.LBB2_4463:                             ;   in Loop: Header=BB2_4419 Depth=2
	s_or_b32 exec_lo, exec_lo, s26
.LBB2_4464:                             ;   in Loop: Header=BB2_4419 Depth=2
	s_delay_alu instid0(SALU_CYCLE_1) | instskip(SKIP_3) | instid1(VALU_DEP_1)
	s_or_b32 exec_lo, exec_lo, s25
	v_lshrrev_b32_e32 v101, 24, v10
	s_mov_b32 s11, 0
	s_mov_b32 s26, exec_lo
                                        ; implicit-def: $sgpr25
	v_cmpx_lt_i16_e32 0x7f, v101
	s_xor_b32 s26, exec_lo, s26
	s_cbranch_execnz .LBB2_4630
; %bb.4465:                             ;   in Loop: Header=BB2_4419 Depth=2
	s_or_saveexec_b32 s26, s26
	v_mov_b32_e32 v102, s25
	s_xor_b32 exec_lo, exec_lo, s26
	s_cbranch_execnz .LBB2_4633
.LBB2_4466:                             ;   in Loop: Header=BB2_4419 Depth=2
	s_or_b32 exec_lo, exec_lo, s26
	s_and_saveexec_b32 s25, s11
	s_cbranch_execz .LBB2_4468
.LBB2_4467:                             ;   in Loop: Header=BB2_4419 Depth=2
	v_bfe_u32 v102, v10, 24, 3
	s_delay_alu instid0(VALU_DEP_1) | instskip(NEXT) | instid1(VALU_DEP_1)
	v_clz_i32_u32_e32 v103, v102
	v_min_u32_e32 v103, 32, v103
	s_delay_alu instid0(VALU_DEP_1) | instskip(SKIP_1) | instid1(VALU_DEP_2)
	v_subrev_nc_u32_e32 v112, 28, v103
	v_sub_nc_u32_e32 v103, 29, v103
	v_lshlrev_b32_e32 v101, v112, v101
	v_bfe_u32 v112, v10, 27, 4
	v_and_b32_e32 v10, 0x80000000, v10
	s_delay_alu instid0(VALU_DEP_3) | instskip(NEXT) | instid1(VALU_DEP_3)
	v_and_b32_e32 v101, 7, v101
	v_cmp_eq_u32_e32 vcc_lo, 0, v112
	v_cndmask_b32_e32 v103, v112, v103, vcc_lo
	s_delay_alu instid0(VALU_DEP_3) | instskip(NEXT) | instid1(VALU_DEP_2)
	v_cndmask_b32_e32 v101, v102, v101, vcc_lo
	v_lshl_add_u32 v102, v103, 23, 0x3b800000
	s_delay_alu instid0(VALU_DEP_2) | instskip(NEXT) | instid1(VALU_DEP_1)
	v_lshlrev_b32_e32 v101, 20, v101
	v_or3_b32 v102, v10, v102, v101
.LBB2_4468:                             ;   in Loop: Header=BB2_4419 Depth=2
	s_or_b32 exec_lo, exec_lo, s25
	s_delay_alu instid0(VALU_DEP_1) | instskip(NEXT) | instid1(VALU_DEP_1)
	v_mul_f32_e32 v101, s24, v102
	v_and_b32_e32 v10, 0x7f800000, v101
	s_delay_alu instid0(VALU_DEP_1)
	v_cmp_ne_u32_e32 vcc_lo, 0x7f800000, v10
	v_mov_b32_e32 v10, 0x80
	s_and_saveexec_b32 s25, vcc_lo
	s_cbranch_execz .LBB2_4476
; %bb.4469:                             ;   in Loop: Header=BB2_4419 Depth=2
	v_mov_b32_e32 v10, 0
	s_mov_b32 s26, exec_lo
	v_cmpx_ne_u32_e32 0, v101
	s_cbranch_execz .LBB2_4475
; %bb.4470:                             ;   in Loop: Header=BB2_4419 Depth=2
	v_bfe_u32 v10, v101, 23, 8
	s_delay_alu instid0(VALU_DEP_1) | instskip(SKIP_1) | instid1(VALU_DEP_2)
	v_sub_nc_u32_e32 v103, 0x78, v10
	v_cmp_gt_u32_e32 vcc_lo, 0x79, v10
	v_dual_cndmask_b32 v103, 0, v103 :: v_dual_and_b32 v102, 0x7fffff, v101
	s_delay_alu instid0(VALU_DEP_1) | instskip(SKIP_2) | instid1(VALU_DEP_4)
	v_or_b32_e32 v112, 0x800000, v102
	v_cmp_eq_u32_e32 vcc_lo, 0, v10
	v_add_nc_u32_e32 v10, 0xffffff89, v10
	v_cndmask_b32_e64 v103, v103, 0x77, vcc_lo
	s_delay_alu instid0(VALU_DEP_4) | instskip(NEXT) | instid1(VALU_DEP_3)
	v_cndmask_b32_e32 v102, v112, v102, vcc_lo
	v_cndmask_b32_e64 v10, v10, 0xffffff8a, vcc_lo
	s_delay_alu instid0(VALU_DEP_3) | instskip(NEXT) | instid1(VALU_DEP_3)
	v_lshl_add_u32 v112, 0x100000, v103, -1
	v_lshrrev_b32_e32 v113, v103, v102
	v_lshlrev_b32_e64 v115, v103, 0x80000
	s_delay_alu instid0(VALU_DEP_4) | instskip(NEXT) | instid1(VALU_DEP_4)
	v_add_nc_u32_e32 v103, v103, v10
	v_and_b32_e32 v102, v112, v102
	s_delay_alu instid0(VALU_DEP_4) | instskip(NEXT) | instid1(VALU_DEP_2)
	v_bfe_u32 v114, v113, 20, 1
	v_cmp_eq_u32_e64 s11, v102, v115
	s_delay_alu instid0(VALU_DEP_2) | instskip(NEXT) | instid1(VALU_DEP_1)
	v_add_nc_u32_e32 v112, -1, v114
	v_cndmask_b32_e64 v102, 0, v112, s11
	v_lshrrev_b32_e32 v112, 23, v113
	s_mov_b32 s11, exec_lo
	s_delay_alu instid0(VALU_DEP_2) | instskip(NEXT) | instid1(VALU_DEP_2)
	v_add_nc_u32_e32 v102, v102, v113
	v_xor_b32_e32 v112, 1, v112
	s_delay_alu instid0(VALU_DEP_2) | instskip(NEXT) | instid1(VALU_DEP_1)
	v_and_b32_e32 v10, 0xfffff, v102
	v_add_nc_u32_e32 v102, v10, v113
                                        ; implicit-def: $vgpr10
	s_delay_alu instid0(VALU_DEP_3)
	v_cmpx_ne_u32_e64 v103, v112
	s_xor_b32 s11, exec_lo, s11
; %bb.4471:                             ;   in Loop: Header=BB2_4419 Depth=2
	s_delay_alu instid0(VALU_DEP_2) | instskip(SKIP_2) | instid1(VALU_DEP_2)
	v_cmp_lt_u32_e32 vcc_lo, 0xffffff, v102
	v_sub_nc_u32_e32 v10, v103, v112
	v_cndmask_b32_e64 v103, 0, 1, vcc_lo
	v_add_co_ci_u32_e32 v10, vcc_lo, 0, v10, vcc_lo
	s_delay_alu instid0(VALU_DEP_2)
	v_lshrrev_b32_e32 v102, v103, v102
; %bb.4472:                             ;   in Loop: Header=BB2_4419 Depth=2
	s_and_not1_saveexec_b32 s11, s11
; %bb.4473:                             ;   in Loop: Header=BB2_4419 Depth=2
	s_delay_alu instid0(VALU_DEP_1)
	v_bfe_u32 v10, v102, 23, 1
; %bb.4474:                             ;   in Loop: Header=BB2_4419 Depth=2
	s_or_b32 exec_lo, exec_lo, s11
	v_lshrrev_b32_e32 v102, 20, v102
	s_delay_alu instid0(VALU_DEP_2) | instskip(SKIP_2) | instid1(VALU_DEP_2)
	v_cmp_gt_i32_e32 vcc_lo, 16, v10
	v_lshrrev_b32_e32 v101, 24, v101
	v_min_i32_e32 v103, 15, v10
	v_dual_cndmask_b32 v102, 7, v102 :: v_dual_and_b32 v101, 0x80, v101
	s_delay_alu instid0(VALU_DEP_1) | instskip(SKIP_1) | instid1(VALU_DEP_2)
	v_or_b32_e32 v10, v10, v102
	v_and_b32_e32 v112, 7, v102
	v_cmp_ne_u32_e32 vcc_lo, 0, v10
	v_lshlrev_b32_e32 v103, 3, v103
	s_delay_alu instid0(VALU_DEP_1) | instskip(NEXT) | instid1(VALU_DEP_1)
	v_or3_b32 v101, v103, v101, v112
	v_cndmask_b32_e32 v10, 0, v101, vcc_lo
.LBB2_4475:                             ;   in Loop: Header=BB2_4419 Depth=2
	s_or_b32 exec_lo, exec_lo, s26
.LBB2_4476:                             ;   in Loop: Header=BB2_4419 Depth=2
	s_delay_alu instid0(SALU_CYCLE_1) | instskip(SKIP_3) | instid1(VALU_DEP_1)
	s_or_b32 exec_lo, exec_lo, s25
	v_and_b32_e32 v102, 0xff, v11
	s_mov_b32 s11, 0
	s_mov_b32 s26, exec_lo
                                        ; implicit-def: $sgpr25
	v_cmpx_lt_i16_e32 0x7f, v102
	s_xor_b32 s26, exec_lo, s26
	s_cbranch_execnz .LBB2_4634
; %bb.4477:                             ;   in Loop: Header=BB2_4419 Depth=2
	s_or_saveexec_b32 s26, s26
	v_mov_b32_e32 v101, s25
	s_xor_b32 exec_lo, exec_lo, s26
	s_cbranch_execnz .LBB2_4637
.LBB2_4478:                             ;   in Loop: Header=BB2_4419 Depth=2
	s_or_b32 exec_lo, exec_lo, s26
	s_and_saveexec_b32 s25, s11
	s_cbranch_execz .LBB2_4480
.LBB2_4479:                             ;   in Loop: Header=BB2_4419 Depth=2
	v_bfe_u32 v112, v11, 3, 4
	v_lshlrev_b32_e32 v113, 24, v11
	s_delay_alu instid0(VALU_DEP_2) | instskip(SKIP_1) | instid1(VALU_DEP_1)
	v_cmp_eq_u32_e32 vcc_lo, 0, v112
	v_and_b32_e32 v101, 7, v11
	v_clz_i32_u32_e32 v102, v101
	s_delay_alu instid0(VALU_DEP_1) | instskip(NEXT) | instid1(VALU_DEP_1)
	v_min_u32_e32 v102, 32, v102
	v_subrev_nc_u32_e32 v103, 28, v102
	v_sub_nc_u32_e32 v102, 29, v102
	s_delay_alu instid0(VALU_DEP_1) | instskip(NEXT) | instid1(VALU_DEP_1)
	v_dual_cndmask_b32 v102, v112, v102 :: v_dual_lshlrev_b32 v103, v103, v11
	v_and_b32_e32 v103, 7, v103
	s_delay_alu instid0(VALU_DEP_2) | instskip(NEXT) | instid1(VALU_DEP_2)
	v_lshl_add_u32 v102, v102, 23, 0x3b800000
	v_cndmask_b32_e32 v101, v101, v103, vcc_lo
	v_and_b32_e32 v103, 0x80000000, v113
	s_delay_alu instid0(VALU_DEP_2) | instskip(NEXT) | instid1(VALU_DEP_1)
	v_lshlrev_b32_e32 v101, 20, v101
	v_or3_b32 v101, v103, v102, v101
.LBB2_4480:                             ;   in Loop: Header=BB2_4419 Depth=2
	s_or_b32 exec_lo, exec_lo, s25
	s_delay_alu instid0(VALU_DEP_1) | instskip(NEXT) | instid1(VALU_DEP_1)
	v_mul_f32_e32 v102, s24, v101
	v_and_b32_e32 v101, 0x7f800000, v102
	s_delay_alu instid0(VALU_DEP_1)
	v_cmp_ne_u32_e32 vcc_lo, 0x7f800000, v101
	v_mov_b32_e32 v101, 0x80
	s_and_saveexec_b32 s25, vcc_lo
	s_cbranch_execz .LBB2_4488
; %bb.4481:                             ;   in Loop: Header=BB2_4419 Depth=2
	v_mov_b32_e32 v101, 0
	s_mov_b32 s26, exec_lo
	v_cmpx_ne_u32_e32 0, v102
	s_cbranch_execz .LBB2_4487
; %bb.4482:                             ;   in Loop: Header=BB2_4419 Depth=2
	v_bfe_u32 v101, v102, 23, 8
	s_delay_alu instid0(VALU_DEP_1) | instskip(SKIP_1) | instid1(VALU_DEP_2)
	v_sub_nc_u32_e32 v112, 0x78, v101
	v_cmp_gt_u32_e32 vcc_lo, 0x79, v101
	v_dual_cndmask_b32 v112, 0, v112 :: v_dual_and_b32 v103, 0x7fffff, v102
	s_delay_alu instid0(VALU_DEP_1) | instskip(SKIP_2) | instid1(VALU_DEP_4)
	v_or_b32_e32 v113, 0x800000, v103
	v_cmp_eq_u32_e32 vcc_lo, 0, v101
	v_add_nc_u32_e32 v101, 0xffffff89, v101
	v_cndmask_b32_e64 v112, v112, 0x77, vcc_lo
	s_delay_alu instid0(VALU_DEP_2) | instskip(SKIP_1) | instid1(VALU_DEP_3)
	v_cndmask_b32_e64 v101, v101, 0xffffff8a, vcc_lo
	v_cndmask_b32_e32 v103, v113, v103, vcc_lo
	v_lshl_add_u32 v113, 0x100000, v112, -1
	v_lshlrev_b32_e64 v116, v112, 0x80000
	s_delay_alu instid0(VALU_DEP_3) | instskip(SKIP_1) | instid1(VALU_DEP_4)
	v_lshrrev_b32_e32 v114, v112, v103
	v_add_nc_u32_e32 v112, v112, v101
	v_and_b32_e32 v103, v113, v103
	s_delay_alu instid0(VALU_DEP_3) | instskip(NEXT) | instid1(VALU_DEP_2)
	v_bfe_u32 v115, v114, 20, 1
	v_cmp_eq_u32_e64 s11, v103, v116
	s_delay_alu instid0(VALU_DEP_2) | instskip(NEXT) | instid1(VALU_DEP_1)
	v_add_nc_u32_e32 v113, -1, v115
	v_cndmask_b32_e64 v103, 0, v113, s11
	v_lshrrev_b32_e32 v113, 23, v114
	s_mov_b32 s11, exec_lo
	s_delay_alu instid0(VALU_DEP_2) | instskip(NEXT) | instid1(VALU_DEP_2)
	v_add_nc_u32_e32 v103, v103, v114
	v_xor_b32_e32 v113, 1, v113
	s_delay_alu instid0(VALU_DEP_2) | instskip(NEXT) | instid1(VALU_DEP_1)
	v_and_b32_e32 v101, 0xfffff, v103
	v_add_nc_u32_e32 v103, v101, v114
                                        ; implicit-def: $vgpr101
	s_delay_alu instid0(VALU_DEP_3)
	v_cmpx_ne_u32_e64 v112, v113
	s_xor_b32 s11, exec_lo, s11
; %bb.4483:                             ;   in Loop: Header=BB2_4419 Depth=2
	s_delay_alu instid0(VALU_DEP_2) | instskip(SKIP_2) | instid1(VALU_DEP_2)
	v_cmp_lt_u32_e32 vcc_lo, 0xffffff, v103
	v_sub_nc_u32_e32 v101, v112, v113
	v_cndmask_b32_e64 v112, 0, 1, vcc_lo
	v_add_co_ci_u32_e32 v101, vcc_lo, 0, v101, vcc_lo
	s_delay_alu instid0(VALU_DEP_2)
	v_lshrrev_b32_e32 v103, v112, v103
; %bb.4484:                             ;   in Loop: Header=BB2_4419 Depth=2
	s_and_not1_saveexec_b32 s11, s11
; %bb.4485:                             ;   in Loop: Header=BB2_4419 Depth=2
	s_delay_alu instid0(VALU_DEP_1)
	v_bfe_u32 v101, v103, 23, 1
; %bb.4486:                             ;   in Loop: Header=BB2_4419 Depth=2
	s_or_b32 exec_lo, exec_lo, s11
	v_lshrrev_b32_e32 v103, 20, v103
	s_delay_alu instid0(VALU_DEP_2) | instskip(SKIP_2) | instid1(VALU_DEP_2)
	v_cmp_gt_i32_e32 vcc_lo, 16, v101
	v_min_i32_e32 v112, 15, v101
	v_lshrrev_b32_e32 v102, 24, v102
	v_dual_cndmask_b32 v103, 7, v103 :: v_dual_lshlrev_b32 v112, 3, v112
	s_delay_alu instid0(VALU_DEP_2) | instskip(NEXT) | instid1(VALU_DEP_2)
	v_and_b32_e32 v102, 0x80, v102
	v_or_b32_e32 v101, v101, v103
	v_and_b32_e32 v113, 7, v103
	s_delay_alu instid0(VALU_DEP_2) | instskip(SKIP_1) | instid1(VALU_DEP_1)
	v_cmp_ne_u32_e32 vcc_lo, 0, v101
	v_and_b32_e32 v112, 0xf8, v112
	v_or3_b32 v102, v112, v102, v113
	s_delay_alu instid0(VALU_DEP_1)
	v_cndmask_b32_e32 v101, 0, v102, vcc_lo
.LBB2_4487:                             ;   in Loop: Header=BB2_4419 Depth=2
	s_or_b32 exec_lo, exec_lo, s26
.LBB2_4488:                             ;   in Loop: Header=BB2_4419 Depth=2
	s_delay_alu instid0(SALU_CYCLE_1) | instskip(SKIP_3) | instid1(VALU_DEP_1)
	s_or_b32 exec_lo, exec_lo, s25
	v_lshrrev_b16 v102, 8, v11
	s_mov_b32 s11, 0
	s_mov_b32 s26, exec_lo
                                        ; implicit-def: $sgpr25
	v_cmpx_lt_i16_e32 0x7f, v102
	s_xor_b32 s26, exec_lo, s26
	s_cbranch_execnz .LBB2_4638
; %bb.4489:                             ;   in Loop: Header=BB2_4419 Depth=2
	s_or_saveexec_b32 s26, s26
	v_mov_b32_e32 v103, s25
	s_xor_b32 exec_lo, exec_lo, s26
	s_cbranch_execnz .LBB2_4641
.LBB2_4490:                             ;   in Loop: Header=BB2_4419 Depth=2
	s_or_b32 exec_lo, exec_lo, s26
	s_and_saveexec_b32 s25, s11
	s_cbranch_execz .LBB2_4492
.LBB2_4491:                             ;   in Loop: Header=BB2_4419 Depth=2
	v_and_b32_e32 v103, 0xffff, v102
	v_lshlrev_b32_e32 v102, 24, v102
	s_delay_alu instid0(VALU_DEP_2) | instskip(NEXT) | instid1(VALU_DEP_2)
	v_and_b32_e32 v112, 7, v103
	v_and_b32_e32 v102, 0x80000000, v102
	s_delay_alu instid0(VALU_DEP_2) | instskip(NEXT) | instid1(VALU_DEP_1)
	v_clz_i32_u32_e32 v113, v112
	v_min_u32_e32 v113, 32, v113
	s_delay_alu instid0(VALU_DEP_1) | instskip(SKIP_1) | instid1(VALU_DEP_2)
	v_subrev_nc_u32_e32 v114, 28, v113
	v_sub_nc_u32_e32 v113, 29, v113
	v_lshlrev_b32_e32 v114, v114, v103
	v_bfe_u32 v103, v103, 3, 4
	s_delay_alu instid0(VALU_DEP_2) | instskip(NEXT) | instid1(VALU_DEP_2)
	v_and_b32_e32 v114, 7, v114
	v_cmp_eq_u32_e32 vcc_lo, 0, v103
	s_delay_alu instid0(VALU_DEP_2) | instskip(NEXT) | instid1(VALU_DEP_1)
	v_dual_cndmask_b32 v103, v103, v113 :: v_dual_cndmask_b32 v112, v112, v114
	v_lshl_add_u32 v103, v103, 23, 0x3b800000
	s_delay_alu instid0(VALU_DEP_2) | instskip(NEXT) | instid1(VALU_DEP_1)
	v_lshlrev_b32_e32 v112, 20, v112
	v_or3_b32 v103, v102, v103, v112
.LBB2_4492:                             ;   in Loop: Header=BB2_4419 Depth=2
	s_or_b32 exec_lo, exec_lo, s25
	s_delay_alu instid0(VALU_DEP_1) | instskip(NEXT) | instid1(VALU_DEP_1)
	v_mul_f32_e32 v103, s24, v103
	v_and_b32_e32 v102, 0x7f800000, v103
	s_delay_alu instid0(VALU_DEP_1)
	v_cmp_ne_u32_e32 vcc_lo, 0x7f800000, v102
	v_mov_b32_e32 v102, 0x8000
	s_and_saveexec_b32 s25, vcc_lo
	s_cbranch_execz .LBB2_4500
; %bb.4493:                             ;   in Loop: Header=BB2_4419 Depth=2
	v_mov_b32_e32 v102, 0
	s_mov_b32 s26, exec_lo
	v_cmpx_ne_u32_e32 0, v103
	s_cbranch_execz .LBB2_4499
; %bb.4494:                             ;   in Loop: Header=BB2_4419 Depth=2
	v_bfe_u32 v102, v103, 23, 8
	s_delay_alu instid0(VALU_DEP_1) | instskip(SKIP_1) | instid1(VALU_DEP_2)
	v_sub_nc_u32_e32 v113, 0x78, v102
	v_cmp_gt_u32_e32 vcc_lo, 0x79, v102
	v_dual_cndmask_b32 v113, 0, v113 :: v_dual_and_b32 v112, 0x7fffff, v103
	s_delay_alu instid0(VALU_DEP_1) | instskip(SKIP_2) | instid1(VALU_DEP_4)
	v_or_b32_e32 v114, 0x800000, v112
	v_cmp_eq_u32_e32 vcc_lo, 0, v102
	v_add_nc_u32_e32 v102, 0xffffff89, v102
	v_cndmask_b32_e64 v113, v113, 0x77, vcc_lo
	s_delay_alu instid0(VALU_DEP_2) | instskip(SKIP_1) | instid1(VALU_DEP_3)
	v_cndmask_b32_e64 v102, v102, 0xffffff8a, vcc_lo
	v_cndmask_b32_e32 v112, v114, v112, vcc_lo
	v_lshl_add_u32 v114, 0x100000, v113, -1
	v_lshlrev_b32_e64 v117, v113, 0x80000
	s_delay_alu instid0(VALU_DEP_3) | instskip(SKIP_1) | instid1(VALU_DEP_4)
	v_lshrrev_b32_e32 v115, v113, v112
	v_add_nc_u32_e32 v113, v113, v102
	v_and_b32_e32 v112, v114, v112
	s_delay_alu instid0(VALU_DEP_3) | instskip(NEXT) | instid1(VALU_DEP_2)
	v_bfe_u32 v116, v115, 20, 1
	v_cmp_eq_u32_e64 s11, v112, v117
	s_delay_alu instid0(VALU_DEP_2) | instskip(NEXT) | instid1(VALU_DEP_1)
	v_add_nc_u32_e32 v114, -1, v116
	v_cndmask_b32_e64 v112, 0, v114, s11
	v_lshrrev_b32_e32 v114, 23, v115
	s_mov_b32 s11, exec_lo
	s_delay_alu instid0(VALU_DEP_2) | instskip(NEXT) | instid1(VALU_DEP_2)
	v_add_nc_u32_e32 v112, v112, v115
	v_xor_b32_e32 v114, 1, v114
	s_delay_alu instid0(VALU_DEP_2) | instskip(NEXT) | instid1(VALU_DEP_1)
	v_and_b32_e32 v102, 0xfffff, v112
	v_add_nc_u32_e32 v112, v102, v115
                                        ; implicit-def: $vgpr102
	s_delay_alu instid0(VALU_DEP_3)
	v_cmpx_ne_u32_e64 v113, v114
	s_xor_b32 s11, exec_lo, s11
; %bb.4495:                             ;   in Loop: Header=BB2_4419 Depth=2
	s_delay_alu instid0(VALU_DEP_2) | instskip(SKIP_2) | instid1(VALU_DEP_2)
	v_cmp_lt_u32_e32 vcc_lo, 0xffffff, v112
	v_sub_nc_u32_e32 v102, v113, v114
	v_cndmask_b32_e64 v113, 0, 1, vcc_lo
	v_add_co_ci_u32_e32 v102, vcc_lo, 0, v102, vcc_lo
	s_delay_alu instid0(VALU_DEP_2)
	v_lshrrev_b32_e32 v112, v113, v112
; %bb.4496:                             ;   in Loop: Header=BB2_4419 Depth=2
	s_and_not1_saveexec_b32 s11, s11
; %bb.4497:                             ;   in Loop: Header=BB2_4419 Depth=2
	s_delay_alu instid0(VALU_DEP_1)
	v_bfe_u32 v102, v112, 23, 1
; %bb.4498:                             ;   in Loop: Header=BB2_4419 Depth=2
	s_or_b32 exec_lo, exec_lo, s11
	v_lshrrev_b32_e32 v112, 20, v112
	s_delay_alu instid0(VALU_DEP_2) | instskip(SKIP_2) | instid1(VALU_DEP_2)
	v_cmp_gt_i32_e32 vcc_lo, 16, v102
	v_min_i32_e32 v113, 15, v102
	v_lshrrev_b32_e32 v103, 24, v103
	v_dual_cndmask_b32 v112, 7, v112 :: v_dual_lshlrev_b32 v113, 3, v113
	s_delay_alu instid0(VALU_DEP_2) | instskip(NEXT) | instid1(VALU_DEP_2)
	v_and_b32_e32 v103, 0x80, v103
	v_or_b32_e32 v102, v102, v112
	v_and_b32_e32 v114, 7, v112
	s_delay_alu instid0(VALU_DEP_2) | instskip(SKIP_1) | instid1(VALU_DEP_1)
	v_cmp_ne_u32_e32 vcc_lo, 0, v102
	v_and_b32_e32 v113, 0xf8, v113
	v_or3_b32 v103, v103, v113, v114
	s_delay_alu instid0(VALU_DEP_1) | instskip(NEXT) | instid1(VALU_DEP_1)
	v_lshlrev_b32_e32 v103, 8, v103
	v_cndmask_b32_e32 v102, 0, v103, vcc_lo
.LBB2_4499:                             ;   in Loop: Header=BB2_4419 Depth=2
	s_or_b32 exec_lo, exec_lo, s26
.LBB2_4500:                             ;   in Loop: Header=BB2_4419 Depth=2
	s_delay_alu instid0(SALU_CYCLE_1) | instskip(SKIP_3) | instid1(VALU_DEP_1)
	s_or_b32 exec_lo, exec_lo, s25
	v_lshrrev_b32_e32 v103, 16, v11
	s_mov_b32 s11, 0
	s_mov_b32 s26, exec_lo
                                        ; implicit-def: $sgpr25
	v_and_b32_e32 v113, 0xff, v103
	s_delay_alu instid0(VALU_DEP_1)
	v_cmpx_lt_i16_e32 0x7f, v113
	s_xor_b32 s26, exec_lo, s26
	s_cbranch_execnz .LBB2_4642
; %bb.4501:                             ;   in Loop: Header=BB2_4419 Depth=2
	s_or_saveexec_b32 s26, s26
	v_mov_b32_e32 v112, s25
	s_xor_b32 exec_lo, exec_lo, s26
	s_cbranch_execnz .LBB2_4645
.LBB2_4502:                             ;   in Loop: Header=BB2_4419 Depth=2
	s_or_b32 exec_lo, exec_lo, s26
	s_and_saveexec_b32 s25, s11
	s_cbranch_execz .LBB2_4504
.LBB2_4503:                             ;   in Loop: Header=BB2_4419 Depth=2
	v_bfe_u32 v112, v11, 16, 3
	v_lshlrev_b32_e32 v115, 8, v11
	s_delay_alu instid0(VALU_DEP_2) | instskip(NEXT) | instid1(VALU_DEP_1)
	v_clz_i32_u32_e32 v113, v112
	v_min_u32_e32 v113, 32, v113
	s_delay_alu instid0(VALU_DEP_1) | instskip(SKIP_1) | instid1(VALU_DEP_2)
	v_subrev_nc_u32_e32 v114, 28, v113
	v_sub_nc_u32_e32 v113, 29, v113
	v_lshlrev_b32_e32 v103, v114, v103
	v_bfe_u32 v114, v11, 19, 4
	s_delay_alu instid0(VALU_DEP_2) | instskip(NEXT) | instid1(VALU_DEP_2)
	v_and_b32_e32 v103, 7, v103
	v_cmp_eq_u32_e32 vcc_lo, 0, v114
	v_cndmask_b32_e32 v113, v114, v113, vcc_lo
	s_delay_alu instid0(VALU_DEP_3) | instskip(SKIP_1) | instid1(VALU_DEP_3)
	v_cndmask_b32_e32 v103, v112, v103, vcc_lo
	v_and_b32_e32 v112, 0x80000000, v115
	v_lshl_add_u32 v113, v113, 23, 0x3b800000
	s_delay_alu instid0(VALU_DEP_3) | instskip(NEXT) | instid1(VALU_DEP_1)
	v_lshlrev_b32_e32 v103, 20, v103
	v_or3_b32 v112, v112, v113, v103
.LBB2_4504:                             ;   in Loop: Header=BB2_4419 Depth=2
	s_or_b32 exec_lo, exec_lo, s25
	s_delay_alu instid0(VALU_DEP_1) | instskip(NEXT) | instid1(VALU_DEP_1)
	v_mul_f32_e32 v112, s24, v112
	v_and_b32_e32 v103, 0x7f800000, v112
	s_delay_alu instid0(VALU_DEP_1)
	v_cmp_ne_u32_e32 vcc_lo, 0x7f800000, v103
	v_mov_b32_e32 v103, 0x80
	s_and_saveexec_b32 s25, vcc_lo
	s_cbranch_execz .LBB2_4512
; %bb.4505:                             ;   in Loop: Header=BB2_4419 Depth=2
	v_mov_b32_e32 v103, 0
	s_mov_b32 s26, exec_lo
	v_cmpx_ne_u32_e32 0, v112
	s_cbranch_execz .LBB2_4511
; %bb.4506:                             ;   in Loop: Header=BB2_4419 Depth=2
	v_bfe_u32 v103, v112, 23, 8
	s_delay_alu instid0(VALU_DEP_1) | instskip(SKIP_1) | instid1(VALU_DEP_2)
	v_sub_nc_u32_e32 v114, 0x78, v103
	v_cmp_gt_u32_e32 vcc_lo, 0x79, v103
	v_dual_cndmask_b32 v114, 0, v114 :: v_dual_and_b32 v113, 0x7fffff, v112
	s_delay_alu instid0(VALU_DEP_1) | instskip(SKIP_2) | instid1(VALU_DEP_4)
	v_or_b32_e32 v115, 0x800000, v113
	v_cmp_eq_u32_e32 vcc_lo, 0, v103
	v_add_nc_u32_e32 v103, 0xffffff89, v103
	v_cndmask_b32_e64 v114, v114, 0x77, vcc_lo
	s_delay_alu instid0(VALU_DEP_2) | instskip(SKIP_1) | instid1(VALU_DEP_3)
	v_cndmask_b32_e64 v103, v103, 0xffffff8a, vcc_lo
	v_cndmask_b32_e32 v113, v115, v113, vcc_lo
	v_lshl_add_u32 v115, 0x100000, v114, -1
	v_lshlrev_b32_e64 v118, v114, 0x80000
	s_delay_alu instid0(VALU_DEP_3) | instskip(SKIP_1) | instid1(VALU_DEP_4)
	v_lshrrev_b32_e32 v116, v114, v113
	v_add_nc_u32_e32 v114, v114, v103
	v_and_b32_e32 v113, v115, v113
	s_delay_alu instid0(VALU_DEP_3) | instskip(NEXT) | instid1(VALU_DEP_2)
	v_bfe_u32 v117, v116, 20, 1
	v_cmp_eq_u32_e64 s11, v113, v118
	s_delay_alu instid0(VALU_DEP_2) | instskip(NEXT) | instid1(VALU_DEP_1)
	v_add_nc_u32_e32 v115, -1, v117
	v_cndmask_b32_e64 v113, 0, v115, s11
	v_lshrrev_b32_e32 v115, 23, v116
	s_mov_b32 s11, exec_lo
	s_delay_alu instid0(VALU_DEP_2) | instskip(NEXT) | instid1(VALU_DEP_2)
	v_add_nc_u32_e32 v113, v113, v116
	v_xor_b32_e32 v115, 1, v115
	s_delay_alu instid0(VALU_DEP_2) | instskip(NEXT) | instid1(VALU_DEP_1)
	v_and_b32_e32 v103, 0xfffff, v113
	v_add_nc_u32_e32 v113, v103, v116
                                        ; implicit-def: $vgpr103
	s_delay_alu instid0(VALU_DEP_3)
	v_cmpx_ne_u32_e64 v114, v115
	s_xor_b32 s11, exec_lo, s11
; %bb.4507:                             ;   in Loop: Header=BB2_4419 Depth=2
	s_delay_alu instid0(VALU_DEP_2) | instskip(SKIP_2) | instid1(VALU_DEP_2)
	v_cmp_lt_u32_e32 vcc_lo, 0xffffff, v113
	v_sub_nc_u32_e32 v103, v114, v115
	v_cndmask_b32_e64 v114, 0, 1, vcc_lo
	v_add_co_ci_u32_e32 v103, vcc_lo, 0, v103, vcc_lo
	s_delay_alu instid0(VALU_DEP_2)
	v_lshrrev_b32_e32 v113, v114, v113
; %bb.4508:                             ;   in Loop: Header=BB2_4419 Depth=2
	s_and_not1_saveexec_b32 s11, s11
; %bb.4509:                             ;   in Loop: Header=BB2_4419 Depth=2
	s_delay_alu instid0(VALU_DEP_1)
	v_bfe_u32 v103, v113, 23, 1
; %bb.4510:                             ;   in Loop: Header=BB2_4419 Depth=2
	s_or_b32 exec_lo, exec_lo, s11
	v_lshrrev_b32_e32 v113, 20, v113
	s_delay_alu instid0(VALU_DEP_2) | instskip(SKIP_2) | instid1(VALU_DEP_2)
	v_cmp_gt_i32_e32 vcc_lo, 16, v103
	v_min_i32_e32 v114, 15, v103
	v_lshrrev_b32_e32 v112, 24, v112
	v_dual_cndmask_b32 v113, 7, v113 :: v_dual_lshlrev_b32 v114, 3, v114
	s_delay_alu instid0(VALU_DEP_2) | instskip(NEXT) | instid1(VALU_DEP_2)
	v_and_b32_e32 v112, 0x80, v112
	v_or_b32_e32 v103, v103, v113
	v_and_b32_e32 v115, 7, v113
	s_delay_alu instid0(VALU_DEP_2) | instskip(SKIP_1) | instid1(VALU_DEP_1)
	v_cmp_ne_u32_e32 vcc_lo, 0, v103
	v_and_b32_e32 v114, 0xf8, v114
	v_or3_b32 v112, v114, v112, v115
	s_delay_alu instid0(VALU_DEP_1)
	v_cndmask_b32_e32 v103, 0, v112, vcc_lo
.LBB2_4511:                             ;   in Loop: Header=BB2_4419 Depth=2
	s_or_b32 exec_lo, exec_lo, s26
.LBB2_4512:                             ;   in Loop: Header=BB2_4419 Depth=2
	s_delay_alu instid0(SALU_CYCLE_1) | instskip(SKIP_3) | instid1(VALU_DEP_1)
	s_or_b32 exec_lo, exec_lo, s25
	v_lshrrev_b32_e32 v112, 24, v11
	s_mov_b32 s11, 0
	s_mov_b32 s26, exec_lo
                                        ; implicit-def: $sgpr25
	v_cmpx_lt_i16_e32 0x7f, v112
	s_xor_b32 s26, exec_lo, s26
	s_cbranch_execnz .LBB2_4646
; %bb.4513:                             ;   in Loop: Header=BB2_4419 Depth=2
	s_or_saveexec_b32 s26, s26
	v_mov_b32_e32 v113, s25
	s_xor_b32 exec_lo, exec_lo, s26
	s_cbranch_execnz .LBB2_4649
.LBB2_4514:                             ;   in Loop: Header=BB2_4419 Depth=2
	s_or_b32 exec_lo, exec_lo, s26
	s_and_saveexec_b32 s25, s11
	s_cbranch_execz .LBB2_4516
.LBB2_4515:                             ;   in Loop: Header=BB2_4419 Depth=2
	v_bfe_u32 v113, v11, 24, 3
	s_delay_alu instid0(VALU_DEP_1) | instskip(NEXT) | instid1(VALU_DEP_1)
	v_clz_i32_u32_e32 v114, v113
	v_min_u32_e32 v114, 32, v114
	s_delay_alu instid0(VALU_DEP_1) | instskip(SKIP_1) | instid1(VALU_DEP_2)
	v_subrev_nc_u32_e32 v115, 28, v114
	v_sub_nc_u32_e32 v114, 29, v114
	v_lshlrev_b32_e32 v112, v115, v112
	v_bfe_u32 v115, v11, 27, 4
	v_and_b32_e32 v11, 0x80000000, v11
	s_delay_alu instid0(VALU_DEP_3) | instskip(NEXT) | instid1(VALU_DEP_3)
	v_and_b32_e32 v112, 7, v112
	v_cmp_eq_u32_e32 vcc_lo, 0, v115
	v_cndmask_b32_e32 v114, v115, v114, vcc_lo
	s_delay_alu instid0(VALU_DEP_3) | instskip(NEXT) | instid1(VALU_DEP_2)
	v_cndmask_b32_e32 v112, v113, v112, vcc_lo
	v_lshl_add_u32 v113, v114, 23, 0x3b800000
	s_delay_alu instid0(VALU_DEP_2) | instskip(NEXT) | instid1(VALU_DEP_1)
	v_lshlrev_b32_e32 v112, 20, v112
	v_or3_b32 v113, v11, v113, v112
.LBB2_4516:                             ;   in Loop: Header=BB2_4419 Depth=2
	s_or_b32 exec_lo, exec_lo, s25
	s_delay_alu instid0(VALU_DEP_1) | instskip(NEXT) | instid1(VALU_DEP_1)
	v_mul_f32_e32 v112, s24, v113
	v_and_b32_e32 v11, 0x7f800000, v112
	s_delay_alu instid0(VALU_DEP_1)
	v_cmp_ne_u32_e32 vcc_lo, 0x7f800000, v11
	v_mov_b32_e32 v11, 0x8000
	s_and_saveexec_b32 s25, vcc_lo
	s_cbranch_execz .LBB2_4524
; %bb.4517:                             ;   in Loop: Header=BB2_4419 Depth=2
	v_mov_b32_e32 v11, 0
	s_mov_b32 s26, exec_lo
	v_cmpx_ne_u32_e32 0, v112
	s_cbranch_execz .LBB2_4523
; %bb.4518:                             ;   in Loop: Header=BB2_4419 Depth=2
	v_bfe_u32 v11, v112, 23, 8
	s_delay_alu instid0(VALU_DEP_1) | instskip(SKIP_1) | instid1(VALU_DEP_2)
	v_sub_nc_u32_e32 v114, 0x78, v11
	v_cmp_gt_u32_e32 vcc_lo, 0x79, v11
	v_dual_cndmask_b32 v114, 0, v114 :: v_dual_and_b32 v113, 0x7fffff, v112
	s_delay_alu instid0(VALU_DEP_1) | instskip(SKIP_2) | instid1(VALU_DEP_4)
	v_or_b32_e32 v115, 0x800000, v113
	v_cmp_eq_u32_e32 vcc_lo, 0, v11
	v_add_nc_u32_e32 v11, 0xffffff89, v11
	v_cndmask_b32_e64 v114, v114, 0x77, vcc_lo
	s_delay_alu instid0(VALU_DEP_2) | instskip(SKIP_1) | instid1(VALU_DEP_3)
	v_cndmask_b32_e64 v11, v11, 0xffffff8a, vcc_lo
	v_cndmask_b32_e32 v113, v115, v113, vcc_lo
	v_lshl_add_u32 v115, 0x100000, v114, -1
	v_lshlrev_b32_e64 v118, v114, 0x80000
	s_delay_alu instid0(VALU_DEP_3) | instskip(SKIP_1) | instid1(VALU_DEP_4)
	v_lshrrev_b32_e32 v116, v114, v113
	v_add_nc_u32_e32 v114, v114, v11
	v_and_b32_e32 v113, v115, v113
	s_delay_alu instid0(VALU_DEP_3) | instskip(NEXT) | instid1(VALU_DEP_2)
	v_bfe_u32 v117, v116, 20, 1
	v_cmp_eq_u32_e64 s11, v113, v118
	s_delay_alu instid0(VALU_DEP_2) | instskip(NEXT) | instid1(VALU_DEP_1)
	v_add_nc_u32_e32 v115, -1, v117
	v_cndmask_b32_e64 v113, 0, v115, s11
	v_lshrrev_b32_e32 v115, 23, v116
	s_mov_b32 s11, exec_lo
	s_delay_alu instid0(VALU_DEP_2) | instskip(NEXT) | instid1(VALU_DEP_2)
	v_add_nc_u32_e32 v113, v113, v116
	v_xor_b32_e32 v115, 1, v115
	s_delay_alu instid0(VALU_DEP_2) | instskip(NEXT) | instid1(VALU_DEP_1)
	v_and_b32_e32 v11, 0xfffff, v113
	v_add_nc_u32_e32 v113, v11, v116
                                        ; implicit-def: $vgpr11
	s_delay_alu instid0(VALU_DEP_3)
	v_cmpx_ne_u32_e64 v114, v115
	s_xor_b32 s11, exec_lo, s11
; %bb.4519:                             ;   in Loop: Header=BB2_4419 Depth=2
	s_delay_alu instid0(VALU_DEP_2) | instskip(SKIP_2) | instid1(VALU_DEP_2)
	v_cmp_lt_u32_e32 vcc_lo, 0xffffff, v113
	v_sub_nc_u32_e32 v11, v114, v115
	v_cndmask_b32_e64 v114, 0, 1, vcc_lo
	v_add_co_ci_u32_e32 v11, vcc_lo, 0, v11, vcc_lo
	s_delay_alu instid0(VALU_DEP_2)
	v_lshrrev_b32_e32 v113, v114, v113
; %bb.4520:                             ;   in Loop: Header=BB2_4419 Depth=2
	s_and_not1_saveexec_b32 s11, s11
; %bb.4521:                             ;   in Loop: Header=BB2_4419 Depth=2
	s_delay_alu instid0(VALU_DEP_1)
	v_bfe_u32 v11, v113, 23, 1
; %bb.4522:                             ;   in Loop: Header=BB2_4419 Depth=2
	s_or_b32 exec_lo, exec_lo, s11
	v_lshrrev_b32_e32 v113, 20, v113
	s_delay_alu instid0(VALU_DEP_2) | instskip(SKIP_2) | instid1(VALU_DEP_2)
	v_cmp_gt_i32_e32 vcc_lo, 16, v11
	v_min_i32_e32 v114, 15, v11
	v_lshrrev_b32_e32 v112, 24, v112
	v_dual_cndmask_b32 v113, 7, v113 :: v_dual_lshlrev_b32 v114, 3, v114
	s_delay_alu instid0(VALU_DEP_2) | instskip(NEXT) | instid1(VALU_DEP_2)
	v_and_b32_e32 v112, 0x80, v112
	v_or_b32_e32 v11, v11, v113
	v_and_b32_e32 v115, 7, v113
	s_delay_alu instid0(VALU_DEP_2) | instskip(SKIP_1) | instid1(VALU_DEP_1)
	v_cmp_ne_u32_e32 vcc_lo, 0, v11
	v_and_b32_e32 v114, 0xf8, v114
	v_or3_b32 v112, v112, v114, v115
	s_delay_alu instid0(VALU_DEP_1) | instskip(NEXT) | instid1(VALU_DEP_1)
	v_lshlrev_b32_e32 v112, 8, v112
	v_cndmask_b32_e32 v11, 0, v112, vcc_lo
.LBB2_4523:                             ;   in Loop: Header=BB2_4419 Depth=2
	s_or_b32 exec_lo, exec_lo, s26
.LBB2_4524:                             ;   in Loop: Header=BB2_4419 Depth=2
	s_delay_alu instid0(SALU_CYCLE_1) | instskip(SKIP_3) | instid1(VALU_DEP_1)
	s_or_b32 exec_lo, exec_lo, s25
	v_and_b32_e32 v113, 0xff, v12
	s_mov_b32 s11, 0
	s_mov_b32 s26, exec_lo
                                        ; implicit-def: $sgpr25
	v_cmpx_lt_i16_e32 0x7f, v113
	s_xor_b32 s26, exec_lo, s26
	s_cbranch_execnz .LBB2_4650
; %bb.4525:                             ;   in Loop: Header=BB2_4419 Depth=2
	s_or_saveexec_b32 s26, s26
	v_mov_b32_e32 v112, s25
	s_xor_b32 exec_lo, exec_lo, s26
	s_cbranch_execnz .LBB2_4653
.LBB2_4526:                             ;   in Loop: Header=BB2_4419 Depth=2
	s_or_b32 exec_lo, exec_lo, s26
	s_and_saveexec_b32 s25, s11
	s_cbranch_execz .LBB2_4528
.LBB2_4527:                             ;   in Loop: Header=BB2_4419 Depth=2
	v_bfe_u32 v115, v12, 3, 4
	v_lshlrev_b32_e32 v116, 24, v12
	s_delay_alu instid0(VALU_DEP_2) | instskip(SKIP_1) | instid1(VALU_DEP_1)
	v_cmp_eq_u32_e32 vcc_lo, 0, v115
	v_and_b32_e32 v112, 7, v12
	v_clz_i32_u32_e32 v113, v112
	s_delay_alu instid0(VALU_DEP_1) | instskip(NEXT) | instid1(VALU_DEP_1)
	v_min_u32_e32 v113, 32, v113
	v_subrev_nc_u32_e32 v114, 28, v113
	v_sub_nc_u32_e32 v113, 29, v113
	s_delay_alu instid0(VALU_DEP_1) | instskip(NEXT) | instid1(VALU_DEP_1)
	v_dual_cndmask_b32 v113, v115, v113 :: v_dual_lshlrev_b32 v114, v114, v12
	v_and_b32_e32 v114, 7, v114
	s_delay_alu instid0(VALU_DEP_2) | instskip(NEXT) | instid1(VALU_DEP_2)
	v_lshl_add_u32 v113, v113, 23, 0x3b800000
	v_cndmask_b32_e32 v112, v112, v114, vcc_lo
	v_and_b32_e32 v114, 0x80000000, v116
	s_delay_alu instid0(VALU_DEP_2) | instskip(NEXT) | instid1(VALU_DEP_1)
	v_lshlrev_b32_e32 v112, 20, v112
	v_or3_b32 v112, v114, v113, v112
.LBB2_4528:                             ;   in Loop: Header=BB2_4419 Depth=2
	s_or_b32 exec_lo, exec_lo, s25
	s_delay_alu instid0(VALU_DEP_1) | instskip(NEXT) | instid1(VALU_DEP_1)
	v_mul_f32_e32 v113, s24, v112
	v_and_b32_e32 v112, 0x7f800000, v113
	s_delay_alu instid0(VALU_DEP_1)
	v_cmp_ne_u32_e32 vcc_lo, 0x7f800000, v112
	v_mov_b32_e32 v112, 0x80
	s_and_saveexec_b32 s25, vcc_lo
	s_cbranch_execz .LBB2_4536
; %bb.4529:                             ;   in Loop: Header=BB2_4419 Depth=2
	v_mov_b32_e32 v112, 0
	s_mov_b32 s26, exec_lo
	v_cmpx_ne_u32_e32 0, v113
	s_cbranch_execz .LBB2_4535
; %bb.4530:                             ;   in Loop: Header=BB2_4419 Depth=2
	v_bfe_u32 v112, v113, 23, 8
	s_delay_alu instid0(VALU_DEP_1) | instskip(SKIP_1) | instid1(VALU_DEP_2)
	v_sub_nc_u32_e32 v115, 0x78, v112
	v_cmp_gt_u32_e32 vcc_lo, 0x79, v112
	v_dual_cndmask_b32 v115, 0, v115 :: v_dual_and_b32 v114, 0x7fffff, v113
	s_delay_alu instid0(VALU_DEP_1) | instskip(SKIP_2) | instid1(VALU_DEP_4)
	v_or_b32_e32 v116, 0x800000, v114
	v_cmp_eq_u32_e32 vcc_lo, 0, v112
	v_add_nc_u32_e32 v112, 0xffffff89, v112
	v_cndmask_b32_e64 v115, v115, 0x77, vcc_lo
	s_delay_alu instid0(VALU_DEP_2) | instskip(SKIP_1) | instid1(VALU_DEP_3)
	v_cndmask_b32_e64 v112, v112, 0xffffff8a, vcc_lo
	v_cndmask_b32_e32 v114, v116, v114, vcc_lo
	v_lshl_add_u32 v116, 0x100000, v115, -1
	v_lshlrev_b32_e64 v119, v115, 0x80000
	s_delay_alu instid0(VALU_DEP_3) | instskip(SKIP_1) | instid1(VALU_DEP_4)
	v_lshrrev_b32_e32 v117, v115, v114
	v_add_nc_u32_e32 v115, v115, v112
	v_and_b32_e32 v114, v116, v114
	s_delay_alu instid0(VALU_DEP_3) | instskip(NEXT) | instid1(VALU_DEP_2)
	v_bfe_u32 v118, v117, 20, 1
	v_cmp_eq_u32_e64 s11, v114, v119
	s_delay_alu instid0(VALU_DEP_2) | instskip(NEXT) | instid1(VALU_DEP_1)
	v_add_nc_u32_e32 v116, -1, v118
	v_cndmask_b32_e64 v114, 0, v116, s11
	v_lshrrev_b32_e32 v116, 23, v117
	s_mov_b32 s11, exec_lo
	s_delay_alu instid0(VALU_DEP_2) | instskip(NEXT) | instid1(VALU_DEP_2)
	v_add_nc_u32_e32 v114, v114, v117
	v_xor_b32_e32 v116, 1, v116
	s_delay_alu instid0(VALU_DEP_2) | instskip(NEXT) | instid1(VALU_DEP_1)
	v_and_b32_e32 v112, 0xfffff, v114
	v_add_nc_u32_e32 v114, v112, v117
                                        ; implicit-def: $vgpr112
	s_delay_alu instid0(VALU_DEP_3)
	v_cmpx_ne_u32_e64 v115, v116
	s_xor_b32 s11, exec_lo, s11
; %bb.4531:                             ;   in Loop: Header=BB2_4419 Depth=2
	s_delay_alu instid0(VALU_DEP_2) | instskip(SKIP_2) | instid1(VALU_DEP_2)
	v_cmp_lt_u32_e32 vcc_lo, 0xffffff, v114
	v_sub_nc_u32_e32 v112, v115, v116
	v_cndmask_b32_e64 v115, 0, 1, vcc_lo
	v_add_co_ci_u32_e32 v112, vcc_lo, 0, v112, vcc_lo
	s_delay_alu instid0(VALU_DEP_2)
	v_lshrrev_b32_e32 v114, v115, v114
; %bb.4532:                             ;   in Loop: Header=BB2_4419 Depth=2
	s_and_not1_saveexec_b32 s11, s11
; %bb.4533:                             ;   in Loop: Header=BB2_4419 Depth=2
	s_delay_alu instid0(VALU_DEP_1)
	v_bfe_u32 v112, v114, 23, 1
; %bb.4534:                             ;   in Loop: Header=BB2_4419 Depth=2
	s_or_b32 exec_lo, exec_lo, s11
	v_lshrrev_b32_e32 v114, 20, v114
	s_delay_alu instid0(VALU_DEP_2) | instskip(SKIP_2) | instid1(VALU_DEP_2)
	v_cmp_gt_i32_e32 vcc_lo, 16, v112
	v_lshrrev_b32_e32 v113, 24, v113
	v_min_i32_e32 v115, 15, v112
	v_dual_cndmask_b32 v114, 7, v114 :: v_dual_and_b32 v113, 0x80, v113
	s_delay_alu instid0(VALU_DEP_1) | instskip(SKIP_1) | instid1(VALU_DEP_2)
	v_or_b32_e32 v112, v112, v114
	v_and_b32_e32 v116, 7, v114
	v_cmp_ne_u32_e32 vcc_lo, 0, v112
	v_lshlrev_b32_e32 v115, 3, v115
	s_delay_alu instid0(VALU_DEP_1) | instskip(NEXT) | instid1(VALU_DEP_1)
	v_or3_b32 v113, v115, v113, v116
	v_cndmask_b32_e32 v112, 0, v113, vcc_lo
.LBB2_4535:                             ;   in Loop: Header=BB2_4419 Depth=2
	s_or_b32 exec_lo, exec_lo, s26
.LBB2_4536:                             ;   in Loop: Header=BB2_4419 Depth=2
	s_delay_alu instid0(SALU_CYCLE_1) | instskip(SKIP_3) | instid1(VALU_DEP_1)
	s_or_b32 exec_lo, exec_lo, s25
	v_lshrrev_b16 v113, 8, v12
	s_mov_b32 s11, 0
	s_mov_b32 s26, exec_lo
                                        ; implicit-def: $sgpr25
	v_cmpx_lt_i16_e32 0x7f, v113
	s_xor_b32 s26, exec_lo, s26
	s_cbranch_execnz .LBB2_4654
; %bb.4537:                             ;   in Loop: Header=BB2_4419 Depth=2
	s_or_saveexec_b32 s26, s26
	v_mov_b32_e32 v114, s25
	s_xor_b32 exec_lo, exec_lo, s26
	s_cbranch_execnz .LBB2_4657
.LBB2_4538:                             ;   in Loop: Header=BB2_4419 Depth=2
	s_or_b32 exec_lo, exec_lo, s26
	s_and_saveexec_b32 s25, s11
	s_cbranch_execz .LBB2_4540
.LBB2_4539:                             ;   in Loop: Header=BB2_4419 Depth=2
	v_and_b32_e32 v114, 0xffff, v113
	v_lshlrev_b32_e32 v113, 24, v113
	s_delay_alu instid0(VALU_DEP_2) | instskip(NEXT) | instid1(VALU_DEP_2)
	v_and_b32_e32 v115, 7, v114
	v_and_b32_e32 v113, 0x80000000, v113
	s_delay_alu instid0(VALU_DEP_2) | instskip(NEXT) | instid1(VALU_DEP_1)
	v_clz_i32_u32_e32 v116, v115
	v_min_u32_e32 v116, 32, v116
	s_delay_alu instid0(VALU_DEP_1) | instskip(SKIP_1) | instid1(VALU_DEP_2)
	v_subrev_nc_u32_e32 v117, 28, v116
	v_sub_nc_u32_e32 v116, 29, v116
	v_lshlrev_b32_e32 v117, v117, v114
	v_bfe_u32 v114, v114, 3, 4
	s_delay_alu instid0(VALU_DEP_2) | instskip(NEXT) | instid1(VALU_DEP_2)
	v_and_b32_e32 v117, 7, v117
	v_cmp_eq_u32_e32 vcc_lo, 0, v114
	s_delay_alu instid0(VALU_DEP_2) | instskip(NEXT) | instid1(VALU_DEP_1)
	v_dual_cndmask_b32 v114, v114, v116 :: v_dual_cndmask_b32 v115, v115, v117
	v_lshl_add_u32 v114, v114, 23, 0x3b800000
	s_delay_alu instid0(VALU_DEP_2) | instskip(NEXT) | instid1(VALU_DEP_1)
	v_lshlrev_b32_e32 v115, 20, v115
	v_or3_b32 v114, v113, v114, v115
.LBB2_4540:                             ;   in Loop: Header=BB2_4419 Depth=2
	s_or_b32 exec_lo, exec_lo, s25
	s_delay_alu instid0(VALU_DEP_1) | instskip(NEXT) | instid1(VALU_DEP_1)
	v_mul_f32_e32 v114, s24, v114
	v_and_b32_e32 v113, 0x7f800000, v114
	s_delay_alu instid0(VALU_DEP_1)
	v_cmp_ne_u32_e32 vcc_lo, 0x7f800000, v113
	v_mov_b32_e32 v113, 0x80
	s_and_saveexec_b32 s25, vcc_lo
	s_cbranch_execz .LBB2_4548
; %bb.4541:                             ;   in Loop: Header=BB2_4419 Depth=2
	v_mov_b32_e32 v113, 0
	s_mov_b32 s26, exec_lo
	v_cmpx_ne_u32_e32 0, v114
	s_cbranch_execz .LBB2_4547
; %bb.4542:                             ;   in Loop: Header=BB2_4419 Depth=2
	v_bfe_u32 v113, v114, 23, 8
	s_delay_alu instid0(VALU_DEP_1) | instskip(SKIP_1) | instid1(VALU_DEP_2)
	v_sub_nc_u32_e32 v116, 0x78, v113
	v_cmp_gt_u32_e32 vcc_lo, 0x79, v113
	v_dual_cndmask_b32 v116, 0, v116 :: v_dual_and_b32 v115, 0x7fffff, v114
	s_delay_alu instid0(VALU_DEP_1) | instskip(SKIP_2) | instid1(VALU_DEP_4)
	v_or_b32_e32 v117, 0x800000, v115
	v_cmp_eq_u32_e32 vcc_lo, 0, v113
	v_add_nc_u32_e32 v113, 0xffffff89, v113
	v_cndmask_b32_e64 v116, v116, 0x77, vcc_lo
	s_delay_alu instid0(VALU_DEP_2) | instskip(SKIP_1) | instid1(VALU_DEP_3)
	v_cndmask_b32_e64 v113, v113, 0xffffff8a, vcc_lo
	v_cndmask_b32_e32 v115, v117, v115, vcc_lo
	v_lshl_add_u32 v117, 0x100000, v116, -1
	v_lshlrev_b32_e64 v128, v116, 0x80000
	s_delay_alu instid0(VALU_DEP_3) | instskip(SKIP_1) | instid1(VALU_DEP_4)
	v_lshrrev_b32_e32 v118, v116, v115
	v_add_nc_u32_e32 v116, v116, v113
	v_and_b32_e32 v115, v117, v115
	s_delay_alu instid0(VALU_DEP_3) | instskip(NEXT) | instid1(VALU_DEP_2)
	v_bfe_u32 v119, v118, 20, 1
	v_cmp_eq_u32_e64 s11, v115, v128
	s_delay_alu instid0(VALU_DEP_2) | instskip(NEXT) | instid1(VALU_DEP_1)
	v_add_nc_u32_e32 v117, -1, v119
	v_cndmask_b32_e64 v115, 0, v117, s11
	v_lshrrev_b32_e32 v117, 23, v118
	s_mov_b32 s11, exec_lo
	s_delay_alu instid0(VALU_DEP_2) | instskip(NEXT) | instid1(VALU_DEP_2)
	v_add_nc_u32_e32 v115, v115, v118
	v_xor_b32_e32 v117, 1, v117
	s_delay_alu instid0(VALU_DEP_2) | instskip(NEXT) | instid1(VALU_DEP_1)
	v_and_b32_e32 v113, 0xfffff, v115
	v_add_nc_u32_e32 v115, v113, v118
                                        ; implicit-def: $vgpr113
	s_delay_alu instid0(VALU_DEP_3)
	v_cmpx_ne_u32_e64 v116, v117
	s_xor_b32 s11, exec_lo, s11
; %bb.4543:                             ;   in Loop: Header=BB2_4419 Depth=2
	s_delay_alu instid0(VALU_DEP_2) | instskip(SKIP_2) | instid1(VALU_DEP_2)
	v_cmp_lt_u32_e32 vcc_lo, 0xffffff, v115
	v_sub_nc_u32_e32 v113, v116, v117
	v_cndmask_b32_e64 v116, 0, 1, vcc_lo
	v_add_co_ci_u32_e32 v113, vcc_lo, 0, v113, vcc_lo
	s_delay_alu instid0(VALU_DEP_2)
	v_lshrrev_b32_e32 v115, v116, v115
; %bb.4544:                             ;   in Loop: Header=BB2_4419 Depth=2
	s_and_not1_saveexec_b32 s11, s11
; %bb.4545:                             ;   in Loop: Header=BB2_4419 Depth=2
	s_delay_alu instid0(VALU_DEP_1)
	v_bfe_u32 v113, v115, 23, 1
; %bb.4546:                             ;   in Loop: Header=BB2_4419 Depth=2
	s_or_b32 exec_lo, exec_lo, s11
	v_lshrrev_b32_e32 v115, 20, v115
	s_delay_alu instid0(VALU_DEP_2) | instskip(SKIP_2) | instid1(VALU_DEP_2)
	v_cmp_gt_i32_e32 vcc_lo, 16, v113
	v_lshrrev_b32_e32 v114, 24, v114
	v_min_i32_e32 v116, 15, v113
	v_dual_cndmask_b32 v115, 7, v115 :: v_dual_and_b32 v114, 0x80, v114
	s_delay_alu instid0(VALU_DEP_1) | instskip(SKIP_1) | instid1(VALU_DEP_2)
	v_or_b32_e32 v113, v113, v115
	v_and_b32_e32 v117, 7, v115
	v_cmp_ne_u32_e32 vcc_lo, 0, v113
	v_lshlrev_b32_e32 v116, 3, v116
	s_delay_alu instid0(VALU_DEP_1) | instskip(NEXT) | instid1(VALU_DEP_1)
	v_or3_b32 v114, v116, v114, v117
	v_cndmask_b32_e32 v113, 0, v114, vcc_lo
.LBB2_4547:                             ;   in Loop: Header=BB2_4419 Depth=2
	s_or_b32 exec_lo, exec_lo, s26
.LBB2_4548:                             ;   in Loop: Header=BB2_4419 Depth=2
	s_delay_alu instid0(SALU_CYCLE_1) | instskip(SKIP_3) | instid1(VALU_DEP_1)
	s_or_b32 exec_lo, exec_lo, s25
	v_lshrrev_b32_e32 v114, 16, v12
	s_mov_b32 s11, 0
	s_mov_b32 s26, exec_lo
                                        ; implicit-def: $sgpr25
	v_and_b32_e32 v116, 0xff, v114
	s_delay_alu instid0(VALU_DEP_1)
	v_cmpx_lt_i16_e32 0x7f, v116
	s_xor_b32 s26, exec_lo, s26
	s_cbranch_execnz .LBB2_4658
; %bb.4549:                             ;   in Loop: Header=BB2_4419 Depth=2
	s_or_saveexec_b32 s26, s26
	v_mov_b32_e32 v115, s25
	s_xor_b32 exec_lo, exec_lo, s26
	s_cbranch_execnz .LBB2_4661
.LBB2_4550:                             ;   in Loop: Header=BB2_4419 Depth=2
	s_or_b32 exec_lo, exec_lo, s26
	s_and_saveexec_b32 s25, s11
	s_cbranch_execz .LBB2_4552
.LBB2_4551:                             ;   in Loop: Header=BB2_4419 Depth=2
	v_bfe_u32 v115, v12, 16, 3
	v_lshlrev_b32_e32 v118, 8, v12
	s_delay_alu instid0(VALU_DEP_2) | instskip(NEXT) | instid1(VALU_DEP_1)
	v_clz_i32_u32_e32 v116, v115
	v_min_u32_e32 v116, 32, v116
	s_delay_alu instid0(VALU_DEP_1) | instskip(SKIP_1) | instid1(VALU_DEP_2)
	v_subrev_nc_u32_e32 v117, 28, v116
	v_sub_nc_u32_e32 v116, 29, v116
	v_lshlrev_b32_e32 v114, v117, v114
	v_bfe_u32 v117, v12, 19, 4
	s_delay_alu instid0(VALU_DEP_2) | instskip(NEXT) | instid1(VALU_DEP_2)
	v_and_b32_e32 v114, 7, v114
	v_cmp_eq_u32_e32 vcc_lo, 0, v117
	v_cndmask_b32_e32 v116, v117, v116, vcc_lo
	s_delay_alu instid0(VALU_DEP_3) | instskip(SKIP_1) | instid1(VALU_DEP_3)
	v_cndmask_b32_e32 v114, v115, v114, vcc_lo
	v_and_b32_e32 v115, 0x80000000, v118
	v_lshl_add_u32 v116, v116, 23, 0x3b800000
	s_delay_alu instid0(VALU_DEP_3) | instskip(NEXT) | instid1(VALU_DEP_1)
	v_lshlrev_b32_e32 v114, 20, v114
	v_or3_b32 v115, v115, v116, v114
.LBB2_4552:                             ;   in Loop: Header=BB2_4419 Depth=2
	s_or_b32 exec_lo, exec_lo, s25
	s_delay_alu instid0(VALU_DEP_1) | instskip(NEXT) | instid1(VALU_DEP_1)
	v_mul_f32_e32 v115, s24, v115
	v_and_b32_e32 v114, 0x7f800000, v115
	s_delay_alu instid0(VALU_DEP_1)
	v_cmp_ne_u32_e32 vcc_lo, 0x7f800000, v114
	v_mov_b32_e32 v114, 0x80
	s_and_saveexec_b32 s25, vcc_lo
	s_cbranch_execz .LBB2_4560
; %bb.4553:                             ;   in Loop: Header=BB2_4419 Depth=2
	v_mov_b32_e32 v114, 0
	s_mov_b32 s26, exec_lo
	v_cmpx_ne_u32_e32 0, v115
	s_cbranch_execz .LBB2_4559
; %bb.4554:                             ;   in Loop: Header=BB2_4419 Depth=2
	v_bfe_u32 v114, v115, 23, 8
	s_delay_alu instid0(VALU_DEP_1) | instskip(SKIP_1) | instid1(VALU_DEP_2)
	v_sub_nc_u32_e32 v117, 0x78, v114
	v_cmp_gt_u32_e32 vcc_lo, 0x79, v114
	v_dual_cndmask_b32 v117, 0, v117 :: v_dual_and_b32 v116, 0x7fffff, v115
	s_delay_alu instid0(VALU_DEP_1) | instskip(SKIP_2) | instid1(VALU_DEP_4)
	v_or_b32_e32 v118, 0x800000, v116
	v_cmp_eq_u32_e32 vcc_lo, 0, v114
	v_add_nc_u32_e32 v114, 0xffffff89, v114
	v_cndmask_b32_e64 v117, v117, 0x77, vcc_lo
	s_delay_alu instid0(VALU_DEP_2) | instskip(SKIP_1) | instid1(VALU_DEP_3)
	v_cndmask_b32_e64 v114, v114, 0xffffff8a, vcc_lo
	v_cndmask_b32_e32 v116, v118, v116, vcc_lo
	v_lshl_add_u32 v118, 0x100000, v117, -1
	v_lshlrev_b32_e64 v129, v117, 0x80000
	s_delay_alu instid0(VALU_DEP_3) | instskip(SKIP_1) | instid1(VALU_DEP_4)
	v_lshrrev_b32_e32 v119, v117, v116
	v_add_nc_u32_e32 v117, v117, v114
	v_and_b32_e32 v116, v118, v116
	s_delay_alu instid0(VALU_DEP_3) | instskip(NEXT) | instid1(VALU_DEP_2)
	v_bfe_u32 v128, v119, 20, 1
	v_cmp_eq_u32_e64 s11, v116, v129
	s_delay_alu instid0(VALU_DEP_2) | instskip(NEXT) | instid1(VALU_DEP_1)
	v_add_nc_u32_e32 v118, -1, v128
	v_cndmask_b32_e64 v116, 0, v118, s11
	v_lshrrev_b32_e32 v118, 23, v119
	s_mov_b32 s11, exec_lo
	s_delay_alu instid0(VALU_DEP_2) | instskip(NEXT) | instid1(VALU_DEP_2)
	v_add_nc_u32_e32 v116, v116, v119
	v_xor_b32_e32 v118, 1, v118
	s_delay_alu instid0(VALU_DEP_2) | instskip(NEXT) | instid1(VALU_DEP_1)
	v_and_b32_e32 v114, 0xfffff, v116
	v_add_nc_u32_e32 v116, v114, v119
                                        ; implicit-def: $vgpr114
	s_delay_alu instid0(VALU_DEP_3)
	v_cmpx_ne_u32_e64 v117, v118
	s_xor_b32 s11, exec_lo, s11
; %bb.4555:                             ;   in Loop: Header=BB2_4419 Depth=2
	s_delay_alu instid0(VALU_DEP_2) | instskip(SKIP_2) | instid1(VALU_DEP_2)
	v_cmp_lt_u32_e32 vcc_lo, 0xffffff, v116
	v_sub_nc_u32_e32 v114, v117, v118
	v_cndmask_b32_e64 v117, 0, 1, vcc_lo
	v_add_co_ci_u32_e32 v114, vcc_lo, 0, v114, vcc_lo
	s_delay_alu instid0(VALU_DEP_2)
	v_lshrrev_b32_e32 v116, v117, v116
; %bb.4556:                             ;   in Loop: Header=BB2_4419 Depth=2
	s_and_not1_saveexec_b32 s11, s11
; %bb.4557:                             ;   in Loop: Header=BB2_4419 Depth=2
	s_delay_alu instid0(VALU_DEP_1)
	v_bfe_u32 v114, v116, 23, 1
; %bb.4558:                             ;   in Loop: Header=BB2_4419 Depth=2
	s_or_b32 exec_lo, exec_lo, s11
	v_lshrrev_b32_e32 v116, 20, v116
	s_delay_alu instid0(VALU_DEP_2) | instskip(SKIP_2) | instid1(VALU_DEP_2)
	v_cmp_gt_i32_e32 vcc_lo, 16, v114
	v_lshrrev_b32_e32 v115, 24, v115
	v_min_i32_e32 v117, 15, v114
	v_dual_cndmask_b32 v116, 7, v116 :: v_dual_and_b32 v115, 0x80, v115
	s_delay_alu instid0(VALU_DEP_1) | instskip(SKIP_1) | instid1(VALU_DEP_2)
	v_or_b32_e32 v114, v114, v116
	v_and_b32_e32 v118, 7, v116
	v_cmp_ne_u32_e32 vcc_lo, 0, v114
	v_lshlrev_b32_e32 v117, 3, v117
	s_delay_alu instid0(VALU_DEP_1) | instskip(NEXT) | instid1(VALU_DEP_1)
	v_or3_b32 v115, v117, v115, v118
	v_cndmask_b32_e32 v114, 0, v115, vcc_lo
.LBB2_4559:                             ;   in Loop: Header=BB2_4419 Depth=2
	s_or_b32 exec_lo, exec_lo, s26
.LBB2_4560:                             ;   in Loop: Header=BB2_4419 Depth=2
	s_delay_alu instid0(SALU_CYCLE_1) | instskip(SKIP_3) | instid1(VALU_DEP_1)
	s_or_b32 exec_lo, exec_lo, s25
	v_lshrrev_b32_e32 v115, 24, v12
	s_mov_b32 s11, 0
	s_mov_b32 s26, exec_lo
                                        ; implicit-def: $sgpr25
	v_cmpx_lt_i16_e32 0x7f, v115
	s_xor_b32 s26, exec_lo, s26
	s_cbranch_execnz .LBB2_4662
; %bb.4561:                             ;   in Loop: Header=BB2_4419 Depth=2
	s_or_saveexec_b32 s26, s26
	v_mov_b32_e32 v116, s25
	s_xor_b32 exec_lo, exec_lo, s26
	s_cbranch_execnz .LBB2_4665
.LBB2_4562:                             ;   in Loop: Header=BB2_4419 Depth=2
	s_or_b32 exec_lo, exec_lo, s26
	s_and_saveexec_b32 s25, s11
	s_cbranch_execz .LBB2_4564
.LBB2_4563:                             ;   in Loop: Header=BB2_4419 Depth=2
	v_bfe_u32 v116, v12, 24, 3
	s_delay_alu instid0(VALU_DEP_1) | instskip(NEXT) | instid1(VALU_DEP_1)
	v_clz_i32_u32_e32 v117, v116
	v_min_u32_e32 v117, 32, v117
	s_delay_alu instid0(VALU_DEP_1) | instskip(SKIP_1) | instid1(VALU_DEP_2)
	v_subrev_nc_u32_e32 v118, 28, v117
	v_sub_nc_u32_e32 v117, 29, v117
	v_lshlrev_b32_e32 v115, v118, v115
	v_bfe_u32 v118, v12, 27, 4
	v_and_b32_e32 v12, 0x80000000, v12
	s_delay_alu instid0(VALU_DEP_3) | instskip(NEXT) | instid1(VALU_DEP_3)
	v_and_b32_e32 v115, 7, v115
	v_cmp_eq_u32_e32 vcc_lo, 0, v118
	v_cndmask_b32_e32 v117, v118, v117, vcc_lo
	s_delay_alu instid0(VALU_DEP_3) | instskip(NEXT) | instid1(VALU_DEP_2)
	v_cndmask_b32_e32 v115, v116, v115, vcc_lo
	v_lshl_add_u32 v116, v117, 23, 0x3b800000
	s_delay_alu instid0(VALU_DEP_2) | instskip(NEXT) | instid1(VALU_DEP_1)
	v_lshlrev_b32_e32 v115, 20, v115
	v_or3_b32 v116, v12, v116, v115
.LBB2_4564:                             ;   in Loop: Header=BB2_4419 Depth=2
	s_or_b32 exec_lo, exec_lo, s25
	s_delay_alu instid0(VALU_DEP_1) | instskip(NEXT) | instid1(VALU_DEP_1)
	v_mul_f32_e32 v115, s24, v116
	v_and_b32_e32 v12, 0x7f800000, v115
	s_delay_alu instid0(VALU_DEP_1)
	v_cmp_ne_u32_e32 vcc_lo, 0x7f800000, v12
	v_mov_b32_e32 v12, 0x80
	s_and_saveexec_b32 s25, vcc_lo
	s_cbranch_execz .LBB2_4572
; %bb.4565:                             ;   in Loop: Header=BB2_4419 Depth=2
	v_mov_b32_e32 v12, 0
	s_mov_b32 s26, exec_lo
	v_cmpx_ne_u32_e32 0, v115
	s_cbranch_execz .LBB2_4571
; %bb.4566:                             ;   in Loop: Header=BB2_4419 Depth=2
	v_bfe_u32 v12, v115, 23, 8
	s_delay_alu instid0(VALU_DEP_1) | instskip(SKIP_1) | instid1(VALU_DEP_2)
	v_sub_nc_u32_e32 v117, 0x78, v12
	v_cmp_gt_u32_e32 vcc_lo, 0x79, v12
	v_dual_cndmask_b32 v117, 0, v117 :: v_dual_and_b32 v116, 0x7fffff, v115
	s_delay_alu instid0(VALU_DEP_1) | instskip(SKIP_2) | instid1(VALU_DEP_4)
	v_or_b32_e32 v118, 0x800000, v116
	v_cmp_eq_u32_e32 vcc_lo, 0, v12
	v_add_nc_u32_e32 v12, 0xffffff89, v12
	v_cndmask_b32_e64 v117, v117, 0x77, vcc_lo
	s_delay_alu instid0(VALU_DEP_4) | instskip(NEXT) | instid1(VALU_DEP_3)
	v_cndmask_b32_e32 v116, v118, v116, vcc_lo
	v_cndmask_b32_e64 v12, v12, 0xffffff8a, vcc_lo
	s_delay_alu instid0(VALU_DEP_3) | instskip(NEXT) | instid1(VALU_DEP_3)
	v_lshl_add_u32 v118, 0x100000, v117, -1
	v_lshrrev_b32_e32 v119, v117, v116
	v_lshlrev_b32_e64 v129, v117, 0x80000
	s_delay_alu instid0(VALU_DEP_4) | instskip(NEXT) | instid1(VALU_DEP_4)
	v_add_nc_u32_e32 v117, v117, v12
	v_and_b32_e32 v116, v118, v116
	s_delay_alu instid0(VALU_DEP_4) | instskip(NEXT) | instid1(VALU_DEP_2)
	v_bfe_u32 v128, v119, 20, 1
	v_cmp_eq_u32_e64 s11, v116, v129
	s_delay_alu instid0(VALU_DEP_2) | instskip(NEXT) | instid1(VALU_DEP_1)
	v_add_nc_u32_e32 v118, -1, v128
	v_cndmask_b32_e64 v116, 0, v118, s11
	v_lshrrev_b32_e32 v118, 23, v119
	s_mov_b32 s11, exec_lo
	s_delay_alu instid0(VALU_DEP_2) | instskip(NEXT) | instid1(VALU_DEP_2)
	v_add_nc_u32_e32 v116, v116, v119
	v_xor_b32_e32 v118, 1, v118
	s_delay_alu instid0(VALU_DEP_2) | instskip(NEXT) | instid1(VALU_DEP_1)
	v_and_b32_e32 v12, 0xfffff, v116
	v_add_nc_u32_e32 v116, v12, v119
                                        ; implicit-def: $vgpr12
	s_delay_alu instid0(VALU_DEP_3)
	v_cmpx_ne_u32_e64 v117, v118
	s_xor_b32 s11, exec_lo, s11
; %bb.4567:                             ;   in Loop: Header=BB2_4419 Depth=2
	s_delay_alu instid0(VALU_DEP_2) | instskip(SKIP_2) | instid1(VALU_DEP_2)
	v_cmp_lt_u32_e32 vcc_lo, 0xffffff, v116
	v_sub_nc_u32_e32 v12, v117, v118
	v_cndmask_b32_e64 v117, 0, 1, vcc_lo
	v_add_co_ci_u32_e32 v12, vcc_lo, 0, v12, vcc_lo
	s_delay_alu instid0(VALU_DEP_2)
	v_lshrrev_b32_e32 v116, v117, v116
; %bb.4568:                             ;   in Loop: Header=BB2_4419 Depth=2
	s_and_not1_saveexec_b32 s11, s11
; %bb.4569:                             ;   in Loop: Header=BB2_4419 Depth=2
	s_delay_alu instid0(VALU_DEP_1)
	v_bfe_u32 v12, v116, 23, 1
; %bb.4570:                             ;   in Loop: Header=BB2_4419 Depth=2
	s_or_b32 exec_lo, exec_lo, s11
	v_lshrrev_b32_e32 v116, 20, v116
	s_delay_alu instid0(VALU_DEP_2) | instskip(SKIP_2) | instid1(VALU_DEP_2)
	v_cmp_gt_i32_e32 vcc_lo, 16, v12
	v_lshrrev_b32_e32 v115, 24, v115
	v_min_i32_e32 v117, 15, v12
	v_dual_cndmask_b32 v116, 7, v116 :: v_dual_and_b32 v115, 0x80, v115
	s_delay_alu instid0(VALU_DEP_1) | instskip(SKIP_1) | instid1(VALU_DEP_2)
	v_or_b32_e32 v12, v12, v116
	v_and_b32_e32 v118, 7, v116
	v_cmp_ne_u32_e32 vcc_lo, 0, v12
	v_lshlrev_b32_e32 v117, 3, v117
	s_delay_alu instid0(VALU_DEP_1) | instskip(NEXT) | instid1(VALU_DEP_1)
	v_or3_b32 v115, v117, v115, v118
	v_cndmask_b32_e32 v12, 0, v115, vcc_lo
.LBB2_4571:                             ;   in Loop: Header=BB2_4419 Depth=2
	s_or_b32 exec_lo, exec_lo, s26
.LBB2_4572:                             ;   in Loop: Header=BB2_4419 Depth=2
	s_delay_alu instid0(SALU_CYCLE_1) | instskip(SKIP_3) | instid1(VALU_DEP_1)
	s_or_b32 exec_lo, exec_lo, s25
	v_and_b32_e32 v116, 0xff, v13
	s_mov_b32 s11, 0
	s_mov_b32 s26, exec_lo
                                        ; implicit-def: $sgpr25
	v_cmpx_lt_i16_e32 0x7f, v116
	s_xor_b32 s26, exec_lo, s26
	s_cbranch_execnz .LBB2_4666
; %bb.4573:                             ;   in Loop: Header=BB2_4419 Depth=2
	s_or_saveexec_b32 s26, s26
	v_mov_b32_e32 v115, s25
	s_xor_b32 exec_lo, exec_lo, s26
	s_cbranch_execnz .LBB2_4669
.LBB2_4574:                             ;   in Loop: Header=BB2_4419 Depth=2
	s_or_b32 exec_lo, exec_lo, s26
	s_and_saveexec_b32 s25, s11
	s_cbranch_execz .LBB2_4576
.LBB2_4575:                             ;   in Loop: Header=BB2_4419 Depth=2
	v_bfe_u32 v118, v13, 3, 4
	v_lshlrev_b32_e32 v119, 24, v13
	s_delay_alu instid0(VALU_DEP_2) | instskip(SKIP_1) | instid1(VALU_DEP_1)
	v_cmp_eq_u32_e32 vcc_lo, 0, v118
	v_and_b32_e32 v115, 7, v13
	v_clz_i32_u32_e32 v116, v115
	s_delay_alu instid0(VALU_DEP_1) | instskip(NEXT) | instid1(VALU_DEP_1)
	v_min_u32_e32 v116, 32, v116
	v_subrev_nc_u32_e32 v117, 28, v116
	v_sub_nc_u32_e32 v116, 29, v116
	s_delay_alu instid0(VALU_DEP_1) | instskip(NEXT) | instid1(VALU_DEP_1)
	v_dual_cndmask_b32 v116, v118, v116 :: v_dual_lshlrev_b32 v117, v117, v13
	v_and_b32_e32 v117, 7, v117
	s_delay_alu instid0(VALU_DEP_2) | instskip(NEXT) | instid1(VALU_DEP_2)
	v_lshl_add_u32 v116, v116, 23, 0x3b800000
	v_cndmask_b32_e32 v115, v115, v117, vcc_lo
	v_and_b32_e32 v117, 0x80000000, v119
	s_delay_alu instid0(VALU_DEP_2) | instskip(NEXT) | instid1(VALU_DEP_1)
	v_lshlrev_b32_e32 v115, 20, v115
	v_or3_b32 v115, v117, v116, v115
.LBB2_4576:                             ;   in Loop: Header=BB2_4419 Depth=2
	s_or_b32 exec_lo, exec_lo, s25
	s_delay_alu instid0(VALU_DEP_1) | instskip(NEXT) | instid1(VALU_DEP_1)
	v_mul_f32_e32 v116, s24, v115
	v_and_b32_e32 v115, 0x7f800000, v116
	s_delay_alu instid0(VALU_DEP_1)
	v_cmp_ne_u32_e32 vcc_lo, 0x7f800000, v115
	v_mov_b32_e32 v115, 0x80
	s_and_saveexec_b32 s25, vcc_lo
	s_cbranch_execz .LBB2_4584
; %bb.4577:                             ;   in Loop: Header=BB2_4419 Depth=2
	v_mov_b32_e32 v115, 0
	s_mov_b32 s26, exec_lo
	v_cmpx_ne_u32_e32 0, v116
	s_cbranch_execz .LBB2_4583
; %bb.4578:                             ;   in Loop: Header=BB2_4419 Depth=2
	v_bfe_u32 v115, v116, 23, 8
	s_delay_alu instid0(VALU_DEP_1) | instskip(SKIP_1) | instid1(VALU_DEP_2)
	v_sub_nc_u32_e32 v118, 0x78, v115
	v_cmp_gt_u32_e32 vcc_lo, 0x79, v115
	v_dual_cndmask_b32 v118, 0, v118 :: v_dual_and_b32 v117, 0x7fffff, v116
	s_delay_alu instid0(VALU_DEP_1) | instskip(SKIP_2) | instid1(VALU_DEP_4)
	v_or_b32_e32 v119, 0x800000, v117
	v_cmp_eq_u32_e32 vcc_lo, 0, v115
	v_add_nc_u32_e32 v115, 0xffffff89, v115
	v_cndmask_b32_e64 v118, v118, 0x77, vcc_lo
	s_delay_alu instid0(VALU_DEP_2) | instskip(SKIP_1) | instid1(VALU_DEP_3)
	v_cndmask_b32_e64 v115, v115, 0xffffff8a, vcc_lo
	v_cndmask_b32_e32 v117, v119, v117, vcc_lo
	v_lshl_add_u32 v119, 0x100000, v118, -1
	v_lshlrev_b32_e64 v130, v118, 0x80000
	s_delay_alu instid0(VALU_DEP_3) | instskip(SKIP_1) | instid1(VALU_DEP_4)
	v_lshrrev_b32_e32 v128, v118, v117
	v_add_nc_u32_e32 v118, v118, v115
	v_and_b32_e32 v117, v119, v117
	s_delay_alu instid0(VALU_DEP_3) | instskip(NEXT) | instid1(VALU_DEP_2)
	v_bfe_u32 v129, v128, 20, 1
	v_cmp_eq_u32_e64 s11, v117, v130
	s_delay_alu instid0(VALU_DEP_2) | instskip(NEXT) | instid1(VALU_DEP_1)
	v_add_nc_u32_e32 v119, -1, v129
	v_cndmask_b32_e64 v117, 0, v119, s11
	v_lshrrev_b32_e32 v119, 23, v128
	s_mov_b32 s11, exec_lo
	s_delay_alu instid0(VALU_DEP_2) | instskip(NEXT) | instid1(VALU_DEP_2)
	v_add_nc_u32_e32 v117, v117, v128
	v_xor_b32_e32 v119, 1, v119
	s_delay_alu instid0(VALU_DEP_2) | instskip(NEXT) | instid1(VALU_DEP_1)
	v_and_b32_e32 v115, 0xfffff, v117
	v_add_nc_u32_e32 v117, v115, v128
                                        ; implicit-def: $vgpr115
	s_delay_alu instid0(VALU_DEP_3)
	v_cmpx_ne_u32_e64 v118, v119
	s_xor_b32 s11, exec_lo, s11
; %bb.4579:                             ;   in Loop: Header=BB2_4419 Depth=2
	s_delay_alu instid0(VALU_DEP_2) | instskip(SKIP_2) | instid1(VALU_DEP_2)
	v_cmp_lt_u32_e32 vcc_lo, 0xffffff, v117
	v_sub_nc_u32_e32 v115, v118, v119
	v_cndmask_b32_e64 v118, 0, 1, vcc_lo
	v_add_co_ci_u32_e32 v115, vcc_lo, 0, v115, vcc_lo
	s_delay_alu instid0(VALU_DEP_2)
	v_lshrrev_b32_e32 v117, v118, v117
; %bb.4580:                             ;   in Loop: Header=BB2_4419 Depth=2
	s_and_not1_saveexec_b32 s11, s11
; %bb.4581:                             ;   in Loop: Header=BB2_4419 Depth=2
	s_delay_alu instid0(VALU_DEP_1)
	v_bfe_u32 v115, v117, 23, 1
; %bb.4582:                             ;   in Loop: Header=BB2_4419 Depth=2
	s_or_b32 exec_lo, exec_lo, s11
	v_lshrrev_b32_e32 v117, 20, v117
	s_delay_alu instid0(VALU_DEP_2) | instskip(SKIP_2) | instid1(VALU_DEP_2)
	v_cmp_gt_i32_e32 vcc_lo, 16, v115
	v_min_i32_e32 v118, 15, v115
	v_lshrrev_b32_e32 v116, 24, v116
	v_dual_cndmask_b32 v117, 7, v117 :: v_dual_lshlrev_b32 v118, 3, v118
	s_delay_alu instid0(VALU_DEP_2) | instskip(NEXT) | instid1(VALU_DEP_2)
	v_and_b32_e32 v116, 0x80, v116
	v_or_b32_e32 v115, v115, v117
	v_and_b32_e32 v119, 7, v117
	s_delay_alu instid0(VALU_DEP_2) | instskip(SKIP_1) | instid1(VALU_DEP_1)
	v_cmp_ne_u32_e32 vcc_lo, 0, v115
	v_and_b32_e32 v118, 0xf8, v118
	v_or3_b32 v116, v118, v116, v119
	s_delay_alu instid0(VALU_DEP_1)
	v_cndmask_b32_e32 v115, 0, v116, vcc_lo
.LBB2_4583:                             ;   in Loop: Header=BB2_4419 Depth=2
	s_or_b32 exec_lo, exec_lo, s26
.LBB2_4584:                             ;   in Loop: Header=BB2_4419 Depth=2
	s_delay_alu instid0(SALU_CYCLE_1) | instskip(SKIP_3) | instid1(VALU_DEP_1)
	s_or_b32 exec_lo, exec_lo, s25
	v_lshrrev_b16 v116, 8, v13
	s_mov_b32 s11, 0
	s_mov_b32 s26, exec_lo
                                        ; implicit-def: $sgpr25
	v_cmpx_lt_i16_e32 0x7f, v116
	s_xor_b32 s26, exec_lo, s26
	s_cbranch_execnz .LBB2_4670
; %bb.4585:                             ;   in Loop: Header=BB2_4419 Depth=2
	s_or_saveexec_b32 s26, s26
	v_mov_b32_e32 v117, s25
	s_xor_b32 exec_lo, exec_lo, s26
	s_cbranch_execnz .LBB2_4673
.LBB2_4586:                             ;   in Loop: Header=BB2_4419 Depth=2
	s_or_b32 exec_lo, exec_lo, s26
	s_and_saveexec_b32 s25, s11
	s_cbranch_execz .LBB2_4588
.LBB2_4587:                             ;   in Loop: Header=BB2_4419 Depth=2
	v_and_b32_e32 v117, 0xffff, v116
	v_lshlrev_b32_e32 v116, 24, v116
	s_delay_alu instid0(VALU_DEP_2) | instskip(NEXT) | instid1(VALU_DEP_2)
	v_and_b32_e32 v118, 7, v117
	v_and_b32_e32 v116, 0x80000000, v116
	s_delay_alu instid0(VALU_DEP_2) | instskip(NEXT) | instid1(VALU_DEP_1)
	v_clz_i32_u32_e32 v119, v118
	v_min_u32_e32 v119, 32, v119
	s_delay_alu instid0(VALU_DEP_1) | instskip(SKIP_1) | instid1(VALU_DEP_2)
	v_subrev_nc_u32_e32 v128, 28, v119
	v_sub_nc_u32_e32 v119, 29, v119
	v_lshlrev_b32_e32 v128, v128, v117
	v_bfe_u32 v117, v117, 3, 4
	s_delay_alu instid0(VALU_DEP_2) | instskip(NEXT) | instid1(VALU_DEP_2)
	v_and_b32_e32 v128, 7, v128
	v_cmp_eq_u32_e32 vcc_lo, 0, v117
	s_delay_alu instid0(VALU_DEP_2) | instskip(NEXT) | instid1(VALU_DEP_1)
	v_dual_cndmask_b32 v117, v117, v119 :: v_dual_cndmask_b32 v118, v118, v128
	v_lshl_add_u32 v117, v117, 23, 0x3b800000
	s_delay_alu instid0(VALU_DEP_2) | instskip(NEXT) | instid1(VALU_DEP_1)
	v_lshlrev_b32_e32 v118, 20, v118
	v_or3_b32 v117, v116, v117, v118
.LBB2_4588:                             ;   in Loop: Header=BB2_4419 Depth=2
	s_or_b32 exec_lo, exec_lo, s25
	s_delay_alu instid0(VALU_DEP_1) | instskip(NEXT) | instid1(VALU_DEP_1)
	v_mul_f32_e32 v117, s24, v117
	v_and_b32_e32 v116, 0x7f800000, v117
	s_delay_alu instid0(VALU_DEP_1)
	v_cmp_ne_u32_e32 vcc_lo, 0x7f800000, v116
	v_mov_b32_e32 v116, 0x8000
	s_and_saveexec_b32 s25, vcc_lo
	s_cbranch_execz .LBB2_4596
; %bb.4589:                             ;   in Loop: Header=BB2_4419 Depth=2
	v_mov_b32_e32 v116, 0
	s_mov_b32 s26, exec_lo
	v_cmpx_ne_u32_e32 0, v117
	s_cbranch_execz .LBB2_4595
; %bb.4590:                             ;   in Loop: Header=BB2_4419 Depth=2
	v_bfe_u32 v116, v117, 23, 8
	s_delay_alu instid0(VALU_DEP_1) | instskip(SKIP_1) | instid1(VALU_DEP_2)
	v_sub_nc_u32_e32 v119, 0x78, v116
	v_cmp_gt_u32_e32 vcc_lo, 0x79, v116
	v_dual_cndmask_b32 v119, 0, v119 :: v_dual_and_b32 v118, 0x7fffff, v117
	s_delay_alu instid0(VALU_DEP_1) | instskip(SKIP_2) | instid1(VALU_DEP_4)
	v_or_b32_e32 v128, 0x800000, v118
	v_cmp_eq_u32_e32 vcc_lo, 0, v116
	v_add_nc_u32_e32 v116, 0xffffff89, v116
	v_cndmask_b32_e64 v119, v119, 0x77, vcc_lo
	s_delay_alu instid0(VALU_DEP_2) | instskip(SKIP_1) | instid1(VALU_DEP_3)
	v_cndmask_b32_e64 v116, v116, 0xffffff8a, vcc_lo
	v_cndmask_b32_e32 v118, v128, v118, vcc_lo
	v_lshl_add_u32 v128, 0x100000, v119, -1
	v_lshlrev_b32_e64 v131, v119, 0x80000
	s_delay_alu instid0(VALU_DEP_3) | instskip(SKIP_1) | instid1(VALU_DEP_4)
	v_lshrrev_b32_e32 v129, v119, v118
	v_add_nc_u32_e32 v119, v119, v116
	v_and_b32_e32 v118, v128, v118
	s_delay_alu instid0(VALU_DEP_3) | instskip(NEXT) | instid1(VALU_DEP_2)
	v_bfe_u32 v130, v129, 20, 1
	v_cmp_eq_u32_e64 s11, v118, v131
	s_delay_alu instid0(VALU_DEP_2) | instskip(NEXT) | instid1(VALU_DEP_1)
	v_add_nc_u32_e32 v128, -1, v130
	v_cndmask_b32_e64 v118, 0, v128, s11
	v_lshrrev_b32_e32 v128, 23, v129
	s_mov_b32 s11, exec_lo
	s_delay_alu instid0(VALU_DEP_2) | instskip(NEXT) | instid1(VALU_DEP_2)
	v_add_nc_u32_e32 v118, v118, v129
	v_xor_b32_e32 v128, 1, v128
	s_delay_alu instid0(VALU_DEP_2) | instskip(NEXT) | instid1(VALU_DEP_1)
	v_and_b32_e32 v116, 0xfffff, v118
	v_add_nc_u32_e32 v118, v116, v129
                                        ; implicit-def: $vgpr116
	s_delay_alu instid0(VALU_DEP_3)
	v_cmpx_ne_u32_e64 v119, v128
	s_xor_b32 s11, exec_lo, s11
; %bb.4591:                             ;   in Loop: Header=BB2_4419 Depth=2
	s_delay_alu instid0(VALU_DEP_2) | instskip(SKIP_2) | instid1(VALU_DEP_2)
	v_cmp_lt_u32_e32 vcc_lo, 0xffffff, v118
	v_sub_nc_u32_e32 v116, v119, v128
	v_cndmask_b32_e64 v119, 0, 1, vcc_lo
	v_add_co_ci_u32_e32 v116, vcc_lo, 0, v116, vcc_lo
	s_delay_alu instid0(VALU_DEP_2)
	v_lshrrev_b32_e32 v118, v119, v118
; %bb.4592:                             ;   in Loop: Header=BB2_4419 Depth=2
	s_and_not1_saveexec_b32 s11, s11
; %bb.4593:                             ;   in Loop: Header=BB2_4419 Depth=2
	s_delay_alu instid0(VALU_DEP_1)
	v_bfe_u32 v116, v118, 23, 1
; %bb.4594:                             ;   in Loop: Header=BB2_4419 Depth=2
	s_or_b32 exec_lo, exec_lo, s11
	v_lshrrev_b32_e32 v118, 20, v118
	s_delay_alu instid0(VALU_DEP_2) | instskip(SKIP_2) | instid1(VALU_DEP_2)
	v_cmp_gt_i32_e32 vcc_lo, 16, v116
	v_min_i32_e32 v119, 15, v116
	v_lshrrev_b32_e32 v117, 24, v117
	v_dual_cndmask_b32 v118, 7, v118 :: v_dual_lshlrev_b32 v119, 3, v119
	s_delay_alu instid0(VALU_DEP_2) | instskip(NEXT) | instid1(VALU_DEP_2)
	v_and_b32_e32 v117, 0x80, v117
	v_or_b32_e32 v116, v116, v118
	v_and_b32_e32 v128, 7, v118
	s_delay_alu instid0(VALU_DEP_2) | instskip(SKIP_1) | instid1(VALU_DEP_1)
	v_cmp_ne_u32_e32 vcc_lo, 0, v116
	v_and_b32_e32 v119, 0xf8, v119
	v_or3_b32 v117, v117, v119, v128
	s_delay_alu instid0(VALU_DEP_1) | instskip(NEXT) | instid1(VALU_DEP_1)
	v_lshlrev_b32_e32 v117, 8, v117
	v_cndmask_b32_e32 v116, 0, v117, vcc_lo
.LBB2_4595:                             ;   in Loop: Header=BB2_4419 Depth=2
	s_or_b32 exec_lo, exec_lo, s26
.LBB2_4596:                             ;   in Loop: Header=BB2_4419 Depth=2
	s_delay_alu instid0(SALU_CYCLE_1) | instskip(SKIP_3) | instid1(VALU_DEP_1)
	s_or_b32 exec_lo, exec_lo, s25
	v_lshrrev_b32_e32 v117, 16, v13
	s_mov_b32 s11, 0
	s_mov_b32 s26, exec_lo
                                        ; implicit-def: $sgpr25
	v_and_b32_e32 v119, 0xff, v117
	s_delay_alu instid0(VALU_DEP_1)
	v_cmpx_lt_i16_e32 0x7f, v119
	s_xor_b32 s26, exec_lo, s26
	s_cbranch_execnz .LBB2_4674
; %bb.4597:                             ;   in Loop: Header=BB2_4419 Depth=2
	s_or_saveexec_b32 s26, s26
	v_mov_b32_e32 v118, s25
	s_xor_b32 exec_lo, exec_lo, s26
	s_cbranch_execnz .LBB2_4677
.LBB2_4598:                             ;   in Loop: Header=BB2_4419 Depth=2
	s_or_b32 exec_lo, exec_lo, s26
	s_and_saveexec_b32 s25, s11
	s_cbranch_execz .LBB2_4600
.LBB2_4599:                             ;   in Loop: Header=BB2_4419 Depth=2
	v_bfe_u32 v118, v13, 16, 3
	v_lshlrev_b32_e32 v129, 8, v13
	s_delay_alu instid0(VALU_DEP_2) | instskip(NEXT) | instid1(VALU_DEP_1)
	v_clz_i32_u32_e32 v119, v118
	v_min_u32_e32 v119, 32, v119
	s_delay_alu instid0(VALU_DEP_1) | instskip(SKIP_1) | instid1(VALU_DEP_2)
	v_subrev_nc_u32_e32 v128, 28, v119
	v_sub_nc_u32_e32 v119, 29, v119
	v_lshlrev_b32_e32 v117, v128, v117
	v_bfe_u32 v128, v13, 19, 4
	s_delay_alu instid0(VALU_DEP_2) | instskip(NEXT) | instid1(VALU_DEP_2)
	v_and_b32_e32 v117, 7, v117
	v_cmp_eq_u32_e32 vcc_lo, 0, v128
	v_cndmask_b32_e32 v119, v128, v119, vcc_lo
	s_delay_alu instid0(VALU_DEP_3) | instskip(SKIP_1) | instid1(VALU_DEP_3)
	v_cndmask_b32_e32 v117, v118, v117, vcc_lo
	v_and_b32_e32 v118, 0x80000000, v129
	v_lshl_add_u32 v119, v119, 23, 0x3b800000
	s_delay_alu instid0(VALU_DEP_3) | instskip(NEXT) | instid1(VALU_DEP_1)
	v_lshlrev_b32_e32 v117, 20, v117
	v_or3_b32 v118, v118, v119, v117
.LBB2_4600:                             ;   in Loop: Header=BB2_4419 Depth=2
	s_or_b32 exec_lo, exec_lo, s25
	s_delay_alu instid0(VALU_DEP_1) | instskip(NEXT) | instid1(VALU_DEP_1)
	v_mul_f32_e32 v118, s24, v118
	v_and_b32_e32 v117, 0x7f800000, v118
	s_delay_alu instid0(VALU_DEP_1)
	v_cmp_ne_u32_e32 vcc_lo, 0x7f800000, v117
	v_mov_b32_e32 v117, 0x80
	s_and_saveexec_b32 s25, vcc_lo
	s_cbranch_execz .LBB2_4608
; %bb.4601:                             ;   in Loop: Header=BB2_4419 Depth=2
	v_mov_b32_e32 v117, 0
	s_mov_b32 s26, exec_lo
	v_cmpx_ne_u32_e32 0, v118
	s_cbranch_execz .LBB2_4607
; %bb.4602:                             ;   in Loop: Header=BB2_4419 Depth=2
	v_bfe_u32 v117, v118, 23, 8
	s_delay_alu instid0(VALU_DEP_1) | instskip(SKIP_1) | instid1(VALU_DEP_2)
	v_sub_nc_u32_e32 v128, 0x78, v117
	v_cmp_gt_u32_e32 vcc_lo, 0x79, v117
	v_dual_cndmask_b32 v128, 0, v128 :: v_dual_and_b32 v119, 0x7fffff, v118
	s_delay_alu instid0(VALU_DEP_1) | instskip(SKIP_2) | instid1(VALU_DEP_4)
	v_or_b32_e32 v129, 0x800000, v119
	v_cmp_eq_u32_e32 vcc_lo, 0, v117
	v_add_nc_u32_e32 v117, 0xffffff89, v117
	v_cndmask_b32_e64 v128, v128, 0x77, vcc_lo
	s_delay_alu instid0(VALU_DEP_2) | instskip(SKIP_1) | instid1(VALU_DEP_3)
	v_cndmask_b32_e64 v117, v117, 0xffffff8a, vcc_lo
	v_cndmask_b32_e32 v119, v129, v119, vcc_lo
	v_lshl_add_u32 v129, 0x100000, v128, -1
	v_lshlrev_b32_e64 v132, v128, 0x80000
	s_delay_alu instid0(VALU_DEP_3) | instskip(SKIP_1) | instid1(VALU_DEP_4)
	v_lshrrev_b32_e32 v130, v128, v119
	v_add_nc_u32_e32 v128, v128, v117
	v_and_b32_e32 v119, v129, v119
	s_delay_alu instid0(VALU_DEP_3) | instskip(NEXT) | instid1(VALU_DEP_2)
	v_bfe_u32 v131, v130, 20, 1
	v_cmp_eq_u32_e64 s11, v119, v132
	s_delay_alu instid0(VALU_DEP_2) | instskip(NEXT) | instid1(VALU_DEP_1)
	v_add_nc_u32_e32 v129, -1, v131
	v_cndmask_b32_e64 v119, 0, v129, s11
	v_lshrrev_b32_e32 v129, 23, v130
	s_mov_b32 s11, exec_lo
	s_delay_alu instid0(VALU_DEP_2) | instskip(NEXT) | instid1(VALU_DEP_2)
	v_add_nc_u32_e32 v119, v119, v130
	v_xor_b32_e32 v129, 1, v129
	s_delay_alu instid0(VALU_DEP_2) | instskip(NEXT) | instid1(VALU_DEP_1)
	v_and_b32_e32 v117, 0xfffff, v119
	v_add_nc_u32_e32 v119, v117, v130
                                        ; implicit-def: $vgpr117
	s_delay_alu instid0(VALU_DEP_3)
	v_cmpx_ne_u32_e64 v128, v129
	s_xor_b32 s11, exec_lo, s11
; %bb.4603:                             ;   in Loop: Header=BB2_4419 Depth=2
	s_delay_alu instid0(VALU_DEP_2) | instskip(SKIP_2) | instid1(VALU_DEP_2)
	v_cmp_lt_u32_e32 vcc_lo, 0xffffff, v119
	v_sub_nc_u32_e32 v117, v128, v129
	v_cndmask_b32_e64 v128, 0, 1, vcc_lo
	v_add_co_ci_u32_e32 v117, vcc_lo, 0, v117, vcc_lo
	s_delay_alu instid0(VALU_DEP_2)
	v_lshrrev_b32_e32 v119, v128, v119
; %bb.4604:                             ;   in Loop: Header=BB2_4419 Depth=2
	s_and_not1_saveexec_b32 s11, s11
; %bb.4605:                             ;   in Loop: Header=BB2_4419 Depth=2
	s_delay_alu instid0(VALU_DEP_1)
	v_bfe_u32 v117, v119, 23, 1
; %bb.4606:                             ;   in Loop: Header=BB2_4419 Depth=2
	s_or_b32 exec_lo, exec_lo, s11
	v_lshrrev_b32_e32 v119, 20, v119
	s_delay_alu instid0(VALU_DEP_2) | instskip(SKIP_2) | instid1(VALU_DEP_2)
	v_cmp_gt_i32_e32 vcc_lo, 16, v117
	v_min_i32_e32 v128, 15, v117
	v_lshrrev_b32_e32 v118, 24, v118
	v_dual_cndmask_b32 v119, 7, v119 :: v_dual_lshlrev_b32 v128, 3, v128
	s_delay_alu instid0(VALU_DEP_2) | instskip(NEXT) | instid1(VALU_DEP_2)
	v_and_b32_e32 v118, 0x80, v118
	v_or_b32_e32 v117, v117, v119
	v_and_b32_e32 v129, 7, v119
	s_delay_alu instid0(VALU_DEP_2) | instskip(SKIP_1) | instid1(VALU_DEP_1)
	v_cmp_ne_u32_e32 vcc_lo, 0, v117
	v_and_b32_e32 v128, 0xf8, v128
	v_or3_b32 v118, v128, v118, v129
	s_delay_alu instid0(VALU_DEP_1)
	v_cndmask_b32_e32 v117, 0, v118, vcc_lo
.LBB2_4607:                             ;   in Loop: Header=BB2_4419 Depth=2
	s_or_b32 exec_lo, exec_lo, s26
.LBB2_4608:                             ;   in Loop: Header=BB2_4419 Depth=2
	s_delay_alu instid0(SALU_CYCLE_1) | instskip(SKIP_3) | instid1(VALU_DEP_1)
	s_or_b32 exec_lo, exec_lo, s25
	v_lshrrev_b32_e32 v118, 24, v13
	s_mov_b32 s11, 0
	s_mov_b32 s26, exec_lo
                                        ; implicit-def: $sgpr25
	v_cmpx_lt_i16_e32 0x7f, v118
	s_xor_b32 s26, exec_lo, s26
	s_cbranch_execnz .LBB2_4678
; %bb.4609:                             ;   in Loop: Header=BB2_4419 Depth=2
	s_or_saveexec_b32 s26, s26
	v_mov_b32_e32 v119, s25
	s_xor_b32 exec_lo, exec_lo, s26
	s_cbranch_execnz .LBB2_4681
.LBB2_4610:                             ;   in Loop: Header=BB2_4419 Depth=2
	s_or_b32 exec_lo, exec_lo, s26
	s_and_saveexec_b32 s25, s11
	s_cbranch_execz .LBB2_4612
.LBB2_4611:                             ;   in Loop: Header=BB2_4419 Depth=2
	v_bfe_u32 v119, v13, 24, 3
	s_delay_alu instid0(VALU_DEP_1) | instskip(NEXT) | instid1(VALU_DEP_1)
	v_clz_i32_u32_e32 v128, v119
	v_min_u32_e32 v128, 32, v128
	s_delay_alu instid0(VALU_DEP_1) | instskip(SKIP_1) | instid1(VALU_DEP_2)
	v_subrev_nc_u32_e32 v129, 28, v128
	v_sub_nc_u32_e32 v128, 29, v128
	v_lshlrev_b32_e32 v118, v129, v118
	v_bfe_u32 v129, v13, 27, 4
	v_and_b32_e32 v13, 0x80000000, v13
	s_delay_alu instid0(VALU_DEP_3) | instskip(NEXT) | instid1(VALU_DEP_3)
	v_and_b32_e32 v118, 7, v118
	v_cmp_eq_u32_e32 vcc_lo, 0, v129
	v_cndmask_b32_e32 v128, v129, v128, vcc_lo
	s_delay_alu instid0(VALU_DEP_3) | instskip(NEXT) | instid1(VALU_DEP_2)
	v_cndmask_b32_e32 v118, v119, v118, vcc_lo
	v_lshl_add_u32 v119, v128, 23, 0x3b800000
	s_delay_alu instid0(VALU_DEP_2) | instskip(NEXT) | instid1(VALU_DEP_1)
	v_lshlrev_b32_e32 v118, 20, v118
	v_or3_b32 v119, v13, v119, v118
.LBB2_4612:                             ;   in Loop: Header=BB2_4419 Depth=2
	s_or_b32 exec_lo, exec_lo, s25
	s_delay_alu instid0(VALU_DEP_1) | instskip(NEXT) | instid1(VALU_DEP_1)
	v_mul_f32_e32 v13, s24, v119
	v_and_b32_e32 v118, 0x7f800000, v13
	s_delay_alu instid0(VALU_DEP_1)
	v_cmp_ne_u32_e32 vcc_lo, 0x7f800000, v118
	v_mov_b32_e32 v118, 0x8000
	s_and_saveexec_b32 s24, vcc_lo
	s_cbranch_execz .LBB2_4418
; %bb.4613:                             ;   in Loop: Header=BB2_4419 Depth=2
	v_mov_b32_e32 v118, 0
	s_mov_b32 s25, exec_lo
	v_cmpx_ne_u32_e32 0, v13
	s_cbranch_execz .LBB2_4417
; %bb.4614:                             ;   in Loop: Header=BB2_4419 Depth=2
	v_bfe_u32 v118, v13, 23, 8
	s_delay_alu instid0(VALU_DEP_1) | instskip(SKIP_1) | instid1(VALU_DEP_2)
	v_sub_nc_u32_e32 v128, 0x78, v118
	v_cmp_gt_u32_e32 vcc_lo, 0x79, v118
	v_dual_cndmask_b32 v128, 0, v128 :: v_dual_and_b32 v119, 0x7fffff, v13
	s_delay_alu instid0(VALU_DEP_1) | instskip(SKIP_2) | instid1(VALU_DEP_4)
	v_or_b32_e32 v129, 0x800000, v119
	v_cmp_eq_u32_e32 vcc_lo, 0, v118
	v_add_nc_u32_e32 v118, 0xffffff89, v118
	v_cndmask_b32_e64 v128, v128, 0x77, vcc_lo
	s_delay_alu instid0(VALU_DEP_4) | instskip(NEXT) | instid1(VALU_DEP_3)
	v_cndmask_b32_e32 v119, v129, v119, vcc_lo
	v_cndmask_b32_e64 v118, v118, 0xffffff8a, vcc_lo
	s_delay_alu instid0(VALU_DEP_3) | instskip(NEXT) | instid1(VALU_DEP_3)
	v_lshl_add_u32 v129, 0x100000, v128, -1
	v_lshrrev_b32_e32 v130, v128, v119
	v_lshlrev_b32_e64 v132, v128, 0x80000
	s_delay_alu instid0(VALU_DEP_4) | instskip(NEXT) | instid1(VALU_DEP_4)
	v_add_nc_u32_e32 v128, v128, v118
	v_and_b32_e32 v119, v129, v119
	s_delay_alu instid0(VALU_DEP_4) | instskip(NEXT) | instid1(VALU_DEP_2)
	v_bfe_u32 v131, v130, 20, 1
	v_cmp_eq_u32_e64 s11, v119, v132
	s_delay_alu instid0(VALU_DEP_2) | instskip(NEXT) | instid1(VALU_DEP_1)
	v_add_nc_u32_e32 v129, -1, v131
	v_cndmask_b32_e64 v119, 0, v129, s11
	v_lshrrev_b32_e32 v129, 23, v130
	s_mov_b32 s11, exec_lo
	s_delay_alu instid0(VALU_DEP_2) | instskip(NEXT) | instid1(VALU_DEP_2)
	v_add_nc_u32_e32 v119, v119, v130
	v_xor_b32_e32 v129, 1, v129
	s_delay_alu instid0(VALU_DEP_2) | instskip(NEXT) | instid1(VALU_DEP_1)
	v_and_b32_e32 v118, 0xfffff, v119
	v_add_nc_u32_e32 v119, v118, v130
                                        ; implicit-def: $vgpr118
	s_delay_alu instid0(VALU_DEP_3)
	v_cmpx_ne_u32_e64 v128, v129
	s_xor_b32 s11, exec_lo, s11
; %bb.4615:                             ;   in Loop: Header=BB2_4419 Depth=2
	s_delay_alu instid0(VALU_DEP_2) | instskip(SKIP_2) | instid1(VALU_DEP_2)
	v_cmp_lt_u32_e32 vcc_lo, 0xffffff, v119
	v_sub_nc_u32_e32 v118, v128, v129
	v_cndmask_b32_e64 v128, 0, 1, vcc_lo
	v_add_co_ci_u32_e32 v118, vcc_lo, 0, v118, vcc_lo
	s_delay_alu instid0(VALU_DEP_2)
	v_lshrrev_b32_e32 v119, v128, v119
; %bb.4616:                             ;   in Loop: Header=BB2_4419 Depth=2
	s_and_not1_saveexec_b32 s11, s11
	s_cbranch_execz .LBB2_4416
; %bb.4617:                             ;   in Loop: Header=BB2_4419 Depth=2
	s_delay_alu instid0(VALU_DEP_1)
	v_bfe_u32 v118, v119, 23, 1
	s_branch .LBB2_4416
.LBB2_4618:                             ;   in Loop: Header=BB2_4419 Depth=2
	s_mov_b32 s11, -1
	s_mov_b32 s27, exec_lo
                                        ; implicit-def: $sgpr25
	v_cmpx_eq_u16_e32 0x80, v99
; %bb.4619:                             ;   in Loop: Header=BB2_4419 Depth=2
	s_mov_b32 s25, 0x7f800001
	s_xor_b32 s11, exec_lo, -1
; %bb.4620:                             ;   in Loop: Header=BB2_4419 Depth=2
	s_or_b32 exec_lo, exec_lo, s27
	s_delay_alu instid0(SALU_CYCLE_1)
	s_and_b32 s11, s11, exec_lo
                                        ; implicit-def: $vgpr99
	s_or_saveexec_b32 s26, s26
	v_mov_b32_e32 v98, s25
	s_xor_b32 exec_lo, exec_lo, s26
	s_cbranch_execz .LBB2_4430
.LBB2_4621:                             ;   in Loop: Header=BB2_4419 Depth=2
	v_cmp_ne_u16_e32 vcc_lo, 0, v99
	v_mov_b32_e32 v98, 0
	s_and_not1_b32 s11, s11, exec_lo
	s_and_b32 s25, vcc_lo, exec_lo
	s_delay_alu instid0(SALU_CYCLE_1)
	s_or_b32 s11, s11, s25
	s_or_b32 exec_lo, exec_lo, s26
	s_and_saveexec_b32 s25, s11
	s_cbranch_execnz .LBB2_4431
	s_branch .LBB2_4432
.LBB2_4622:                             ;   in Loop: Header=BB2_4419 Depth=2
	s_mov_b32 s11, -1
	s_mov_b32 s27, exec_lo
                                        ; implicit-def: $sgpr25
	v_cmpx_eq_u16_e32 0x80, v99
; %bb.4623:                             ;   in Loop: Header=BB2_4419 Depth=2
	s_mov_b32 s25, 0x7f800001
	s_xor_b32 s11, exec_lo, -1
; %bb.4624:                             ;   in Loop: Header=BB2_4419 Depth=2
	s_or_b32 exec_lo, exec_lo, s27
	s_delay_alu instid0(SALU_CYCLE_1)
	s_and_b32 s11, s11, exec_lo
	s_or_saveexec_b32 s26, s26
	v_mov_b32_e32 v100, s25
	s_xor_b32 exec_lo, exec_lo, s26
	s_cbranch_execz .LBB2_4442
.LBB2_4625:                             ;   in Loop: Header=BB2_4419 Depth=2
	v_cmp_ne_u16_e32 vcc_lo, 0, v99
	v_mov_b32_e32 v100, 0
	s_and_not1_b32 s11, s11, exec_lo
	s_and_b32 s25, vcc_lo, exec_lo
	s_delay_alu instid0(SALU_CYCLE_1)
	s_or_b32 s11, s11, s25
	s_or_b32 exec_lo, exec_lo, s26
	s_and_saveexec_b32 s25, s11
	s_cbranch_execnz .LBB2_4443
	s_branch .LBB2_4444
.LBB2_4626:                             ;   in Loop: Header=BB2_4419 Depth=2
	s_mov_b32 s11, -1
	s_mov_b32 s27, exec_lo
                                        ; implicit-def: $sgpr25
	v_cmpx_eq_u16_e32 0x80, v102
; %bb.4627:                             ;   in Loop: Header=BB2_4419 Depth=2
	s_mov_b32 s25, 0x7f800001
	s_xor_b32 s11, exec_lo, -1
; %bb.4628:                             ;   in Loop: Header=BB2_4419 Depth=2
	s_or_b32 exec_lo, exec_lo, s27
	s_delay_alu instid0(SALU_CYCLE_1)
	s_and_b32 s11, s11, exec_lo
                                        ; implicit-def: $vgpr102
	s_or_saveexec_b32 s26, s26
	v_mov_b32_e32 v101, s25
	s_xor_b32 exec_lo, exec_lo, s26
	s_cbranch_execz .LBB2_4454
.LBB2_4629:                             ;   in Loop: Header=BB2_4419 Depth=2
	v_cmp_ne_u16_e32 vcc_lo, 0, v102
	v_mov_b32_e32 v101, 0
	s_and_not1_b32 s11, s11, exec_lo
	s_and_b32 s25, vcc_lo, exec_lo
	s_delay_alu instid0(SALU_CYCLE_1)
	s_or_b32 s11, s11, s25
	s_or_b32 exec_lo, exec_lo, s26
	s_and_saveexec_b32 s25, s11
	s_cbranch_execnz .LBB2_4455
	s_branch .LBB2_4456
.LBB2_4630:                             ;   in Loop: Header=BB2_4419 Depth=2
	s_mov_b32 s11, -1
	s_mov_b32 s27, exec_lo
                                        ; implicit-def: $sgpr25
	v_cmpx_eq_u16_e32 0x80, v101
; %bb.4631:                             ;   in Loop: Header=BB2_4419 Depth=2
	s_mov_b32 s25, 0x7f800001
	s_xor_b32 s11, exec_lo, -1
; %bb.4632:                             ;   in Loop: Header=BB2_4419 Depth=2
	s_or_b32 exec_lo, exec_lo, s27
	s_delay_alu instid0(SALU_CYCLE_1)
	s_and_b32 s11, s11, exec_lo
	s_or_saveexec_b32 s26, s26
	v_mov_b32_e32 v102, s25
	s_xor_b32 exec_lo, exec_lo, s26
	s_cbranch_execz .LBB2_4466
.LBB2_4633:                             ;   in Loop: Header=BB2_4419 Depth=2
	v_cmp_ne_u16_e32 vcc_lo, 0, v101
	v_mov_b32_e32 v102, 0
	s_and_not1_b32 s11, s11, exec_lo
	s_and_b32 s25, vcc_lo, exec_lo
	s_delay_alu instid0(SALU_CYCLE_1)
	s_or_b32 s11, s11, s25
	s_or_b32 exec_lo, exec_lo, s26
	s_and_saveexec_b32 s25, s11
	s_cbranch_execnz .LBB2_4467
	s_branch .LBB2_4468
.LBB2_4634:                             ;   in Loop: Header=BB2_4419 Depth=2
	s_mov_b32 s11, -1
	s_mov_b32 s27, exec_lo
                                        ; implicit-def: $sgpr25
	v_cmpx_eq_u16_e32 0x80, v102
; %bb.4635:                             ;   in Loop: Header=BB2_4419 Depth=2
	s_mov_b32 s25, 0x7f800001
	s_xor_b32 s11, exec_lo, -1
; %bb.4636:                             ;   in Loop: Header=BB2_4419 Depth=2
	s_or_b32 exec_lo, exec_lo, s27
	s_delay_alu instid0(SALU_CYCLE_1)
	s_and_b32 s11, s11, exec_lo
                                        ; implicit-def: $vgpr102
	s_or_saveexec_b32 s26, s26
	v_mov_b32_e32 v101, s25
	s_xor_b32 exec_lo, exec_lo, s26
	s_cbranch_execz .LBB2_4478
.LBB2_4637:                             ;   in Loop: Header=BB2_4419 Depth=2
	v_cmp_ne_u16_e32 vcc_lo, 0, v102
	v_mov_b32_e32 v101, 0
	s_and_not1_b32 s11, s11, exec_lo
	s_and_b32 s25, vcc_lo, exec_lo
	s_delay_alu instid0(SALU_CYCLE_1)
	s_or_b32 s11, s11, s25
	s_or_b32 exec_lo, exec_lo, s26
	s_and_saveexec_b32 s25, s11
	s_cbranch_execnz .LBB2_4479
	s_branch .LBB2_4480
.LBB2_4638:                             ;   in Loop: Header=BB2_4419 Depth=2
	s_mov_b32 s11, -1
	s_mov_b32 s27, exec_lo
                                        ; implicit-def: $sgpr25
	v_cmpx_eq_u16_e32 0x80, v102
; %bb.4639:                             ;   in Loop: Header=BB2_4419 Depth=2
	s_mov_b32 s25, 0x7f800001
	s_xor_b32 s11, exec_lo, -1
; %bb.4640:                             ;   in Loop: Header=BB2_4419 Depth=2
	s_or_b32 exec_lo, exec_lo, s27
	s_delay_alu instid0(SALU_CYCLE_1)
	s_and_b32 s11, s11, exec_lo
	s_or_saveexec_b32 s26, s26
	v_mov_b32_e32 v103, s25
	s_xor_b32 exec_lo, exec_lo, s26
	s_cbranch_execz .LBB2_4490
.LBB2_4641:                             ;   in Loop: Header=BB2_4419 Depth=2
	v_cmp_ne_u16_e32 vcc_lo, 0, v102
	v_mov_b32_e32 v103, 0
	s_and_not1_b32 s11, s11, exec_lo
	s_and_b32 s25, vcc_lo, exec_lo
	s_delay_alu instid0(SALU_CYCLE_1)
	s_or_b32 s11, s11, s25
	s_or_b32 exec_lo, exec_lo, s26
	s_and_saveexec_b32 s25, s11
	s_cbranch_execnz .LBB2_4491
	s_branch .LBB2_4492
.LBB2_4642:                             ;   in Loop: Header=BB2_4419 Depth=2
	s_mov_b32 s11, -1
	s_mov_b32 s27, exec_lo
                                        ; implicit-def: $sgpr25
	v_cmpx_eq_u16_e32 0x80, v113
; %bb.4643:                             ;   in Loop: Header=BB2_4419 Depth=2
	s_mov_b32 s25, 0x7f800001
	s_xor_b32 s11, exec_lo, -1
; %bb.4644:                             ;   in Loop: Header=BB2_4419 Depth=2
	s_or_b32 exec_lo, exec_lo, s27
	s_delay_alu instid0(SALU_CYCLE_1)
	s_and_b32 s11, s11, exec_lo
                                        ; implicit-def: $vgpr113
	s_or_saveexec_b32 s26, s26
	v_mov_b32_e32 v112, s25
	s_xor_b32 exec_lo, exec_lo, s26
	s_cbranch_execz .LBB2_4502
.LBB2_4645:                             ;   in Loop: Header=BB2_4419 Depth=2
	v_cmp_ne_u16_e32 vcc_lo, 0, v113
	v_mov_b32_e32 v112, 0
	s_and_not1_b32 s11, s11, exec_lo
	s_and_b32 s25, vcc_lo, exec_lo
	s_delay_alu instid0(SALU_CYCLE_1)
	s_or_b32 s11, s11, s25
	s_or_b32 exec_lo, exec_lo, s26
	s_and_saveexec_b32 s25, s11
	s_cbranch_execnz .LBB2_4503
	s_branch .LBB2_4504
.LBB2_4646:                             ;   in Loop: Header=BB2_4419 Depth=2
	s_mov_b32 s11, -1
	s_mov_b32 s27, exec_lo
                                        ; implicit-def: $sgpr25
	v_cmpx_eq_u16_e32 0x80, v112
; %bb.4647:                             ;   in Loop: Header=BB2_4419 Depth=2
	s_mov_b32 s25, 0x7f800001
	s_xor_b32 s11, exec_lo, -1
; %bb.4648:                             ;   in Loop: Header=BB2_4419 Depth=2
	s_or_b32 exec_lo, exec_lo, s27
	s_delay_alu instid0(SALU_CYCLE_1)
	s_and_b32 s11, s11, exec_lo
	s_or_saveexec_b32 s26, s26
	v_mov_b32_e32 v113, s25
	s_xor_b32 exec_lo, exec_lo, s26
	s_cbranch_execz .LBB2_4514
.LBB2_4649:                             ;   in Loop: Header=BB2_4419 Depth=2
	v_cmp_ne_u16_e32 vcc_lo, 0, v112
	v_mov_b32_e32 v113, 0
	s_and_not1_b32 s11, s11, exec_lo
	s_and_b32 s25, vcc_lo, exec_lo
	s_delay_alu instid0(SALU_CYCLE_1)
	s_or_b32 s11, s11, s25
	s_or_b32 exec_lo, exec_lo, s26
	s_and_saveexec_b32 s25, s11
	s_cbranch_execnz .LBB2_4515
	s_branch .LBB2_4516
.LBB2_4650:                             ;   in Loop: Header=BB2_4419 Depth=2
	s_mov_b32 s11, -1
	s_mov_b32 s27, exec_lo
                                        ; implicit-def: $sgpr25
	v_cmpx_eq_u16_e32 0x80, v113
; %bb.4651:                             ;   in Loop: Header=BB2_4419 Depth=2
	s_mov_b32 s25, 0x7f800001
	s_xor_b32 s11, exec_lo, -1
; %bb.4652:                             ;   in Loop: Header=BB2_4419 Depth=2
	s_or_b32 exec_lo, exec_lo, s27
	s_delay_alu instid0(SALU_CYCLE_1)
	s_and_b32 s11, s11, exec_lo
                                        ; implicit-def: $vgpr113
	s_or_saveexec_b32 s26, s26
	v_mov_b32_e32 v112, s25
	s_xor_b32 exec_lo, exec_lo, s26
	s_cbranch_execz .LBB2_4526
.LBB2_4653:                             ;   in Loop: Header=BB2_4419 Depth=2
	v_cmp_ne_u16_e32 vcc_lo, 0, v113
	v_mov_b32_e32 v112, 0
	s_and_not1_b32 s11, s11, exec_lo
	s_and_b32 s25, vcc_lo, exec_lo
	s_delay_alu instid0(SALU_CYCLE_1)
	s_or_b32 s11, s11, s25
	s_or_b32 exec_lo, exec_lo, s26
	s_and_saveexec_b32 s25, s11
	s_cbranch_execnz .LBB2_4527
	s_branch .LBB2_4528
.LBB2_4654:                             ;   in Loop: Header=BB2_4419 Depth=2
	s_mov_b32 s11, -1
	s_mov_b32 s27, exec_lo
                                        ; implicit-def: $sgpr25
	v_cmpx_eq_u16_e32 0x80, v113
; %bb.4655:                             ;   in Loop: Header=BB2_4419 Depth=2
	s_mov_b32 s25, 0x7f800001
	s_xor_b32 s11, exec_lo, -1
; %bb.4656:                             ;   in Loop: Header=BB2_4419 Depth=2
	s_or_b32 exec_lo, exec_lo, s27
	s_delay_alu instid0(SALU_CYCLE_1)
	s_and_b32 s11, s11, exec_lo
	s_or_saveexec_b32 s26, s26
	v_mov_b32_e32 v114, s25
	s_xor_b32 exec_lo, exec_lo, s26
	s_cbranch_execz .LBB2_4538
.LBB2_4657:                             ;   in Loop: Header=BB2_4419 Depth=2
	v_cmp_ne_u16_e32 vcc_lo, 0, v113
	v_mov_b32_e32 v114, 0
	s_and_not1_b32 s11, s11, exec_lo
	s_and_b32 s25, vcc_lo, exec_lo
	s_delay_alu instid0(SALU_CYCLE_1)
	s_or_b32 s11, s11, s25
	s_or_b32 exec_lo, exec_lo, s26
	s_and_saveexec_b32 s25, s11
	s_cbranch_execnz .LBB2_4539
	s_branch .LBB2_4540
.LBB2_4658:                             ;   in Loop: Header=BB2_4419 Depth=2
	s_mov_b32 s11, -1
	s_mov_b32 s27, exec_lo
                                        ; implicit-def: $sgpr25
	v_cmpx_eq_u16_e32 0x80, v116
; %bb.4659:                             ;   in Loop: Header=BB2_4419 Depth=2
	s_mov_b32 s25, 0x7f800001
	s_xor_b32 s11, exec_lo, -1
; %bb.4660:                             ;   in Loop: Header=BB2_4419 Depth=2
	s_or_b32 exec_lo, exec_lo, s27
	s_delay_alu instid0(SALU_CYCLE_1)
	s_and_b32 s11, s11, exec_lo
                                        ; implicit-def: $vgpr116
	s_or_saveexec_b32 s26, s26
	v_mov_b32_e32 v115, s25
	s_xor_b32 exec_lo, exec_lo, s26
	s_cbranch_execz .LBB2_4550
.LBB2_4661:                             ;   in Loop: Header=BB2_4419 Depth=2
	v_cmp_ne_u16_e32 vcc_lo, 0, v116
	v_mov_b32_e32 v115, 0
	s_and_not1_b32 s11, s11, exec_lo
	s_and_b32 s25, vcc_lo, exec_lo
	s_delay_alu instid0(SALU_CYCLE_1)
	s_or_b32 s11, s11, s25
	s_or_b32 exec_lo, exec_lo, s26
	s_and_saveexec_b32 s25, s11
	s_cbranch_execnz .LBB2_4551
	s_branch .LBB2_4552
.LBB2_4662:                             ;   in Loop: Header=BB2_4419 Depth=2
	s_mov_b32 s11, -1
	s_mov_b32 s27, exec_lo
                                        ; implicit-def: $sgpr25
	v_cmpx_eq_u16_e32 0x80, v115
; %bb.4663:                             ;   in Loop: Header=BB2_4419 Depth=2
	s_mov_b32 s25, 0x7f800001
	s_xor_b32 s11, exec_lo, -1
; %bb.4664:                             ;   in Loop: Header=BB2_4419 Depth=2
	s_or_b32 exec_lo, exec_lo, s27
	s_delay_alu instid0(SALU_CYCLE_1)
	s_and_b32 s11, s11, exec_lo
	s_or_saveexec_b32 s26, s26
	v_mov_b32_e32 v116, s25
	s_xor_b32 exec_lo, exec_lo, s26
	s_cbranch_execz .LBB2_4562
.LBB2_4665:                             ;   in Loop: Header=BB2_4419 Depth=2
	v_cmp_ne_u16_e32 vcc_lo, 0, v115
	v_mov_b32_e32 v116, 0
	s_and_not1_b32 s11, s11, exec_lo
	s_and_b32 s25, vcc_lo, exec_lo
	s_delay_alu instid0(SALU_CYCLE_1)
	s_or_b32 s11, s11, s25
	s_or_b32 exec_lo, exec_lo, s26
	s_and_saveexec_b32 s25, s11
	s_cbranch_execnz .LBB2_4563
	s_branch .LBB2_4564
.LBB2_4666:                             ;   in Loop: Header=BB2_4419 Depth=2
	s_mov_b32 s11, -1
	s_mov_b32 s27, exec_lo
                                        ; implicit-def: $sgpr25
	v_cmpx_eq_u16_e32 0x80, v116
; %bb.4667:                             ;   in Loop: Header=BB2_4419 Depth=2
	s_mov_b32 s25, 0x7f800001
	s_xor_b32 s11, exec_lo, -1
; %bb.4668:                             ;   in Loop: Header=BB2_4419 Depth=2
	s_or_b32 exec_lo, exec_lo, s27
	s_delay_alu instid0(SALU_CYCLE_1)
	s_and_b32 s11, s11, exec_lo
                                        ; implicit-def: $vgpr116
	s_or_saveexec_b32 s26, s26
	v_mov_b32_e32 v115, s25
	s_xor_b32 exec_lo, exec_lo, s26
	s_cbranch_execz .LBB2_4574
.LBB2_4669:                             ;   in Loop: Header=BB2_4419 Depth=2
	v_cmp_ne_u16_e32 vcc_lo, 0, v116
	v_mov_b32_e32 v115, 0
	s_and_not1_b32 s11, s11, exec_lo
	s_and_b32 s25, vcc_lo, exec_lo
	s_delay_alu instid0(SALU_CYCLE_1)
	s_or_b32 s11, s11, s25
	s_or_b32 exec_lo, exec_lo, s26
	s_and_saveexec_b32 s25, s11
	s_cbranch_execnz .LBB2_4575
	s_branch .LBB2_4576
.LBB2_4670:                             ;   in Loop: Header=BB2_4419 Depth=2
	s_mov_b32 s11, -1
	s_mov_b32 s27, exec_lo
                                        ; implicit-def: $sgpr25
	v_cmpx_eq_u16_e32 0x80, v116
; %bb.4671:                             ;   in Loop: Header=BB2_4419 Depth=2
	s_mov_b32 s25, 0x7f800001
	s_xor_b32 s11, exec_lo, -1
; %bb.4672:                             ;   in Loop: Header=BB2_4419 Depth=2
	s_or_b32 exec_lo, exec_lo, s27
	s_delay_alu instid0(SALU_CYCLE_1)
	s_and_b32 s11, s11, exec_lo
	s_or_saveexec_b32 s26, s26
	v_mov_b32_e32 v117, s25
	s_xor_b32 exec_lo, exec_lo, s26
	s_cbranch_execz .LBB2_4586
.LBB2_4673:                             ;   in Loop: Header=BB2_4419 Depth=2
	v_cmp_ne_u16_e32 vcc_lo, 0, v116
	v_mov_b32_e32 v117, 0
	s_and_not1_b32 s11, s11, exec_lo
	s_and_b32 s25, vcc_lo, exec_lo
	s_delay_alu instid0(SALU_CYCLE_1)
	s_or_b32 s11, s11, s25
	s_or_b32 exec_lo, exec_lo, s26
	s_and_saveexec_b32 s25, s11
	s_cbranch_execnz .LBB2_4587
	s_branch .LBB2_4588
.LBB2_4674:                             ;   in Loop: Header=BB2_4419 Depth=2
	s_mov_b32 s11, -1
	s_mov_b32 s27, exec_lo
                                        ; implicit-def: $sgpr25
	v_cmpx_eq_u16_e32 0x80, v119
; %bb.4675:                             ;   in Loop: Header=BB2_4419 Depth=2
	s_mov_b32 s25, 0x7f800001
	s_xor_b32 s11, exec_lo, -1
; %bb.4676:                             ;   in Loop: Header=BB2_4419 Depth=2
	s_or_b32 exec_lo, exec_lo, s27
	s_delay_alu instid0(SALU_CYCLE_1)
	s_and_b32 s11, s11, exec_lo
                                        ; implicit-def: $vgpr119
	s_or_saveexec_b32 s26, s26
	v_mov_b32_e32 v118, s25
	s_xor_b32 exec_lo, exec_lo, s26
	s_cbranch_execz .LBB2_4598
.LBB2_4677:                             ;   in Loop: Header=BB2_4419 Depth=2
	v_cmp_ne_u16_e32 vcc_lo, 0, v119
	v_mov_b32_e32 v118, 0
	s_and_not1_b32 s11, s11, exec_lo
	s_and_b32 s25, vcc_lo, exec_lo
	s_delay_alu instid0(SALU_CYCLE_1)
	s_or_b32 s11, s11, s25
	s_or_b32 exec_lo, exec_lo, s26
	s_and_saveexec_b32 s25, s11
	s_cbranch_execnz .LBB2_4599
	s_branch .LBB2_4600
.LBB2_4678:                             ;   in Loop: Header=BB2_4419 Depth=2
	s_mov_b32 s11, -1
	s_mov_b32 s27, exec_lo
                                        ; implicit-def: $sgpr25
	v_cmpx_eq_u16_e32 0x80, v118
; %bb.4679:                             ;   in Loop: Header=BB2_4419 Depth=2
	s_mov_b32 s25, 0x7f800001
	s_xor_b32 s11, exec_lo, -1
; %bb.4680:                             ;   in Loop: Header=BB2_4419 Depth=2
	s_or_b32 exec_lo, exec_lo, s27
	s_delay_alu instid0(SALU_CYCLE_1)
	s_and_b32 s11, s11, exec_lo
	s_or_saveexec_b32 s26, s26
	v_mov_b32_e32 v119, s25
	s_xor_b32 exec_lo, exec_lo, s26
	s_cbranch_execz .LBB2_4610
.LBB2_4681:                             ;   in Loop: Header=BB2_4419 Depth=2
	v_cmp_ne_u16_e32 vcc_lo, 0, v118
	v_mov_b32_e32 v119, 0
	s_and_not1_b32 s11, s11, exec_lo
	s_and_b32 s25, vcc_lo, exec_lo
	s_delay_alu instid0(SALU_CYCLE_1)
	s_or_b32 s11, s11, s25
	s_or_b32 exec_lo, exec_lo, s26
	s_and_saveexec_b32 s25, s11
	s_cbranch_execnz .LBB2_4611
	s_branch .LBB2_4612
.LBB2_4682:                             ;   in Loop: Header=BB2_3806 Depth=1
	s_or_b32 exec_lo, exec_lo, s22
.LBB2_4683:                             ;   in Loop: Header=BB2_3806 Depth=1
	s_delay_alu instid0(SALU_CYCLE_1) | instskip(SKIP_3) | instid1(VALU_DEP_1)
	s_or_b32 exec_lo, exec_lo, s21
	v_dual_mov_b32 v51, 0 :: v_dual_and_b32 v10, 15, v39
	s_mov_b32 s11, 0
	s_mov_b32 s21, exec_lo
                                        ; implicit-def: $vgpr86
                                        ; implicit-def: $vgpr12
	v_cndmask_b32_e64 v50, v53, v10, s10
	s_delay_alu instid0(VALU_DEP_1)
	v_cmpx_ne_u32_e32 0, v50
	s_cbranch_execz .LBB2_4685
; %bb.4684:                             ;   in Loop: Header=BB2_3806 Depth=1
	v_cmp_lt_i32_e32 vcc_lo, 0, v85
	v_sub_nc_u32_e32 v10, v53, v10
	s_mov_b32 s11, exec_lo
	v_dual_cndmask_b32 v11, 0, v64 :: v_dual_and_b32 v12, 0x3ffffe00, v39
	s_delay_alu instid0(VALU_DEP_2) | instskip(NEXT) | instid1(VALU_DEP_2)
	v_cndmask_b32_e64 v10, 0, v10, s10
	v_sub_nc_u32_e32 v11, v11, v85
	s_delay_alu instid0(VALU_DEP_2) | instskip(NEXT) | instid1(VALU_DEP_2)
	v_add_nc_u32_e32 v51, v10, v12
	v_lshl_add_u32 v86, v11, 5, v52
	s_delay_alu instid0(VALU_DEP_1) | instskip(NEXT) | instid1(VALU_DEP_1)
	v_ashrrev_i32_e32 v11, 31, v86
	v_lshrrev_b32_e32 v11, 27, v11
	s_delay_alu instid0(VALU_DEP_1) | instskip(NEXT) | instid1(VALU_DEP_1)
	v_add_nc_u32_e32 v11, v86, v11
	v_ashrrev_i32_e32 v12, 5, v11
.LBB2_4685:                             ;   in Loop: Header=BB2_3806 Depth=1
	s_or_b32 exec_lo, exec_lo, s21
	s_delay_alu instid0(SALU_CYCLE_1)
	s_and_b32 s10, s11, exec_lo
.LBB2_4686:                             ;   in Loop: Header=BB2_3806 Depth=1
	s_or_b32 exec_lo, exec_lo, s20
.LBB2_4687:                             ;   in Loop: Header=BB2_3806 Depth=1
	s_and_saveexec_b32 s11, s10
	s_cbranch_execz .LBB2_4862
; %bb.4688:                             ;   in Loop: Header=BB2_3806 Depth=1
	s_delay_alu instid0(VALU_DEP_1) | instskip(SKIP_1) | instid1(VALU_DEP_1)
	v_ashrrev_i32_e32 v10, 31, v50
	s_mov_b32 s20, exec_lo
	v_lshrrev_b32_e32 v10, 24, v10
	s_delay_alu instid0(VALU_DEP_1) | instskip(NEXT) | instid1(VALU_DEP_1)
	v_add_nc_u32_e32 v10, v50, v10
	v_ashrrev_i32_e32 v53, 8, v10
	s_delay_alu instid0(VALU_DEP_1) | instskip(NEXT) | instid1(VALU_DEP_1)
	v_sub_nc_u32_e32 v52, v53, v12
	v_cmpx_lt_i32_e32 0, v52
	s_cbranch_execz .LBB2_4831
; %bb.4689:                             ;   in Loop: Header=BB2_3806 Depth=1
	s_cbranch_execnz .LBB2_5111
; %bb.4690:                             ;   in Loop: Header=BB2_3806 Depth=1
	v_ashrrev_i32_e32 v10, 31, v86
	v_lshlrev_b32_e32 v12, 8, v12
	s_mov_b32 s21, 0
	s_delay_alu instid0(VALU_DEP_2) | instskip(NEXT) | instid1(VALU_DEP_1)
	v_lshrrev_b32_e32 v10, 27, v10
	v_add_nc_u32_e32 v13, v86, v10
	ds_load_b64 v[10:11], v0
	v_and_b32_e32 v13, 0xffffffe0, v13
	s_delay_alu instid0(VALU_DEP_1) | instskip(NEXT) | instid1(VALU_DEP_1)
	v_sub_nc_u32_e32 v13, v86, v13
	v_add3_u32 v85, v51, v13, v12
	s_delay_alu instid0(VALU_DEP_1)
	v_ashrrev_i32_e32 v87, 31, v85
	s_waitcnt lgkmcnt(0)
	v_dual_mov_b32 v13, v11 :: v_dual_mov_b32 v12, v10
.LBB2_4691:                             ;   Parent Loop BB2_3806 Depth=1
                                        ; =>  This Inner Loop Header: Depth=2
	s_cbranch_execnz .LBB2_5115
; %bb.4692:                             ;   in Loop: Header=BB2_4691 Depth=2
	ds_load_b64 v[48:49], v0
	s_waitcnt lgkmcnt(0)
	v_and_b32_e32 v49, 0xff, v48
	v_readfirstlane_b32 s10, v48
	s_delay_alu instid0(VALU_DEP_2)
	v_cmp_gt_i16_e32 vcc_lo, 0x80, v49
	s_cbranch_vccnz .LBB2_4696
; %bb.4693:                             ;   in Loop: Header=BB2_4691 Depth=2
	v_cmp_eq_u16_e32 vcc_lo, 0x80, v49
	s_mov_b32 s22, -1
                                        ; implicit-def: $sgpr23
	s_cbranch_vccz .LBB2_4695
; %bb.4694:                             ;   in Loop: Header=BB2_4691 Depth=2
	s_mov_b32 s22, 0
	s_mov_b32 s23, 0x7f800001
.LBB2_4695:                             ;   in Loop: Header=BB2_4691 Depth=2
	s_mov_b32 s24, 0
	s_branch .LBB2_4697
.LBB2_4696:                             ;   in Loop: Header=BB2_4691 Depth=2
	s_mov_b32 s24, -1
	s_mov_b32 s22, 0
                                        ; implicit-def: $sgpr23
.LBB2_4697:                             ;   in Loop: Header=BB2_4691 Depth=2
	s_and_b32 vcc_lo, exec_lo, s24
	s_cbranch_vccz .LBB2_4699
; %bb.4698:                             ;   in Loop: Header=BB2_4691 Depth=2
	v_cmp_ne_u16_e64 s22, 0, v49
	s_mov_b32 s23, 0
.LBB2_4699:                             ;   in Loop: Header=BB2_4691 Depth=2
	s_delay_alu instid0(SALU_CYCLE_1) | instskip(NEXT) | instid1(VALU_DEP_2)
	v_mov_b32_e32 v96, s23
	s_and_not1_b32 vcc_lo, exec_lo, s22
	s_cbranch_vccnz .LBB2_4701
; %bb.4700:                             ;   in Loop: Header=BB2_4691 Depth=2
	s_and_b32 s22, s10, 7
	s_bfe_u32 s24, s10, 0x40003
	s_clz_i32_u32 s23, s22
	v_lshlrev_b32_e32 v48, 24, v48
	s_min_u32 s23, s23, 32
	s_delay_alu instid0(SALU_CYCLE_1)
	s_sub_i32 s25, s23, 28
	s_sub_i32 s23, 29, s23
	s_lshl_b32 s10, s10, s25
	v_and_b32_e32 v48, 0x80000000, v48
	s_and_b32 s10, s10, 7
	s_cmp_eq_u32 s24, 0
	s_cselect_b32 s23, s23, s24
	s_cselect_b32 s10, s10, s22
	s_lshl_b32 s22, s23, 23
	s_lshl_b32 s10, s10, 20
	s_add_i32 s22, s22, 0x3b800000
	s_delay_alu instid0(SALU_CYCLE_1) | instskip(NEXT) | instid1(VALU_DEP_1)
	v_or_b32_e32 v48, s22, v48
	v_or_b32_e32 v96, s10, v48
.LBB2_4701:                             ;   in Loop: Header=BB2_4691 Depth=2
	v_add_co_u32 v48, vcc_lo, v85, v12
	v_add_co_ci_u32_e32 v49, vcc_lo, v87, v13, vcc_lo
	s_mov_b32 s10, 0
	s_mov_b32 s23, exec_lo
                                        ; implicit-def: $sgpr22
	flat_load_u8 v97, v[48:49] slc dlc
	s_waitcnt vmcnt(0) lgkmcnt(0)
	v_cmpx_lt_i16_e32 0x7f, v97
	s_xor_b32 s23, exec_lo, s23
	s_cbranch_execnz .LBB2_4798
; %bb.4702:                             ;   in Loop: Header=BB2_4691 Depth=2
	s_or_saveexec_b32 s23, s23
	v_mov_b32_e32 v98, s22
	s_xor_b32 exec_lo, exec_lo, s23
	s_cbranch_execnz .LBB2_4801
.LBB2_4703:                             ;   in Loop: Header=BB2_4691 Depth=2
	s_or_b32 exec_lo, exec_lo, s23
	s_and_saveexec_b32 s22, s10
	s_cbranch_execz .LBB2_4705
.LBB2_4704:                             ;   in Loop: Header=BB2_4691 Depth=2
	v_and_b32_e32 v98, 0xffff, v97
	v_lshlrev_b32_e32 v97, 24, v97
	s_delay_alu instid0(VALU_DEP_2) | instskip(NEXT) | instid1(VALU_DEP_2)
	v_and_b32_e32 v99, 7, v98
	v_and_b32_e32 v97, 0x80000000, v97
	s_delay_alu instid0(VALU_DEP_2) | instskip(NEXT) | instid1(VALU_DEP_1)
	v_clz_i32_u32_e32 v100, v99
	v_min_u32_e32 v100, 32, v100
	s_delay_alu instid0(VALU_DEP_1) | instskip(SKIP_1) | instid1(VALU_DEP_2)
	v_subrev_nc_u32_e32 v101, 28, v100
	v_sub_nc_u32_e32 v100, 29, v100
	v_lshlrev_b32_e32 v101, v101, v98
	v_bfe_u32 v98, v98, 3, 4
	s_delay_alu instid0(VALU_DEP_2) | instskip(NEXT) | instid1(VALU_DEP_2)
	v_and_b32_e32 v101, 7, v101
	v_cmp_eq_u32_e32 vcc_lo, 0, v98
	s_delay_alu instid0(VALU_DEP_2) | instskip(NEXT) | instid1(VALU_DEP_1)
	v_dual_cndmask_b32 v98, v98, v100 :: v_dual_cndmask_b32 v99, v99, v101
	v_lshl_add_u32 v98, v98, 23, 0x3b800000
	s_delay_alu instid0(VALU_DEP_2) | instskip(NEXT) | instid1(VALU_DEP_1)
	v_lshlrev_b32_e32 v99, 20, v99
	v_or3_b32 v98, v97, v98, v99
.LBB2_4705:                             ;   in Loop: Header=BB2_4691 Depth=2
	s_or_b32 exec_lo, exec_lo, s22
	s_delay_alu instid0(VALU_DEP_1) | instskip(NEXT) | instid1(VALU_DEP_1)
	v_mul_f32_e32 v98, v96, v98
	v_and_b32_e32 v97, 0x7f800000, v98
	s_delay_alu instid0(VALU_DEP_1)
	v_cmp_ne_u32_e32 vcc_lo, 0x7f800000, v97
	v_mov_b32_e32 v97, 0x80
	s_and_saveexec_b32 s22, vcc_lo
	s_cbranch_execz .LBB2_4713
; %bb.4706:                             ;   in Loop: Header=BB2_4691 Depth=2
	v_mov_b32_e32 v97, 0
	s_mov_b32 s23, exec_lo
	v_cmpx_ne_u32_e32 0, v98
	s_cbranch_execz .LBB2_4712
; %bb.4707:                             ;   in Loop: Header=BB2_4691 Depth=2
	v_bfe_u32 v97, v98, 23, 8
	s_delay_alu instid0(VALU_DEP_1) | instskip(SKIP_1) | instid1(VALU_DEP_2)
	v_sub_nc_u32_e32 v100, 0x78, v97
	v_cmp_gt_u32_e32 vcc_lo, 0x79, v97
	v_dual_cndmask_b32 v100, 0, v100 :: v_dual_and_b32 v99, 0x7fffff, v98
	s_delay_alu instid0(VALU_DEP_1) | instskip(SKIP_2) | instid1(VALU_DEP_4)
	v_or_b32_e32 v101, 0x800000, v99
	v_cmp_eq_u32_e32 vcc_lo, 0, v97
	v_add_nc_u32_e32 v97, 0xffffff89, v97
	v_cndmask_b32_e64 v100, v100, 0x77, vcc_lo
	s_delay_alu instid0(VALU_DEP_2) | instskip(SKIP_1) | instid1(VALU_DEP_3)
	v_cndmask_b32_e64 v97, v97, 0xffffff8a, vcc_lo
	v_cndmask_b32_e32 v99, v101, v99, vcc_lo
	v_lshl_add_u32 v101, 0x100000, v100, -1
	v_lshlrev_b32_e64 v112, v100, 0x80000
	s_delay_alu instid0(VALU_DEP_3) | instskip(SKIP_1) | instid1(VALU_DEP_4)
	v_lshrrev_b32_e32 v102, v100, v99
	v_add_nc_u32_e32 v100, v100, v97
	v_and_b32_e32 v99, v101, v99
	s_delay_alu instid0(VALU_DEP_3) | instskip(NEXT) | instid1(VALU_DEP_2)
	v_bfe_u32 v103, v102, 20, 1
	v_cmp_eq_u32_e64 s10, v99, v112
	s_delay_alu instid0(VALU_DEP_2) | instskip(NEXT) | instid1(VALU_DEP_1)
	v_add_nc_u32_e32 v101, -1, v103
	v_cndmask_b32_e64 v99, 0, v101, s10
	v_lshrrev_b32_e32 v101, 23, v102
	s_mov_b32 s10, exec_lo
	s_delay_alu instid0(VALU_DEP_2) | instskip(NEXT) | instid1(VALU_DEP_2)
	v_add_nc_u32_e32 v99, v99, v102
	v_xor_b32_e32 v101, 1, v101
	s_delay_alu instid0(VALU_DEP_2) | instskip(NEXT) | instid1(VALU_DEP_1)
	v_and_b32_e32 v97, 0xfffff, v99
	v_add_nc_u32_e32 v99, v97, v102
                                        ; implicit-def: $vgpr97
	s_delay_alu instid0(VALU_DEP_3)
	v_cmpx_ne_u32_e64 v100, v101
	s_xor_b32 s10, exec_lo, s10
; %bb.4708:                             ;   in Loop: Header=BB2_4691 Depth=2
	s_delay_alu instid0(VALU_DEP_2) | instskip(SKIP_2) | instid1(VALU_DEP_2)
	v_cmp_lt_u32_e32 vcc_lo, 0xffffff, v99
	v_sub_nc_u32_e32 v97, v100, v101
	v_cndmask_b32_e64 v100, 0, 1, vcc_lo
	v_add_co_ci_u32_e32 v97, vcc_lo, 0, v97, vcc_lo
	s_delay_alu instid0(VALU_DEP_2)
	v_lshrrev_b32_e32 v99, v100, v99
; %bb.4709:                             ;   in Loop: Header=BB2_4691 Depth=2
	s_and_not1_saveexec_b32 s10, s10
; %bb.4710:                             ;   in Loop: Header=BB2_4691 Depth=2
	s_delay_alu instid0(VALU_DEP_1)
	v_bfe_u32 v97, v99, 23, 1
; %bb.4711:                             ;   in Loop: Header=BB2_4691 Depth=2
	s_or_b32 exec_lo, exec_lo, s10
	v_lshrrev_b32_e32 v99, 20, v99
	s_delay_alu instid0(VALU_DEP_2) | instskip(SKIP_2) | instid1(VALU_DEP_2)
	v_cmp_gt_i32_e32 vcc_lo, 16, v97
	v_lshrrev_b32_e32 v98, 24, v98
	v_min_i32_e32 v100, 15, v97
	v_dual_cndmask_b32 v99, 7, v99 :: v_dual_and_b32 v98, 0x80, v98
	s_delay_alu instid0(VALU_DEP_1) | instskip(SKIP_1) | instid1(VALU_DEP_2)
	v_or_b32_e32 v97, v97, v99
	v_and_b32_e32 v101, 7, v99
	v_cmp_ne_u32_e32 vcc_lo, 0, v97
	v_lshlrev_b32_e32 v100, 3, v100
	s_delay_alu instid0(VALU_DEP_1) | instskip(NEXT) | instid1(VALU_DEP_1)
	v_or3_b32 v98, v100, v98, v101
	v_cndmask_b32_e32 v97, 0, v98, vcc_lo
.LBB2_4712:                             ;   in Loop: Header=BB2_4691 Depth=2
	s_or_b32 exec_lo, exec_lo, s23
.LBB2_4713:                             ;   in Loop: Header=BB2_4691 Depth=2
	s_delay_alu instid0(SALU_CYCLE_1)
	s_or_b32 exec_lo, exec_lo, s22
	flat_load_u8 v98, v[48:49] offset:32 slc dlc
	s_mov_b32 s10, 0
	s_mov_b32 s23, exec_lo
                                        ; implicit-def: $sgpr22
	s_waitcnt vmcnt(0) lgkmcnt(0)
	v_cmpx_lt_i16_e32 0x7f, v98
	s_xor_b32 s23, exec_lo, s23
	s_cbranch_execnz .LBB2_4802
; %bb.4714:                             ;   in Loop: Header=BB2_4691 Depth=2
	s_or_saveexec_b32 s23, s23
	v_mov_b32_e32 v99, s22
	s_xor_b32 exec_lo, exec_lo, s23
	s_cbranch_execnz .LBB2_4805
.LBB2_4715:                             ;   in Loop: Header=BB2_4691 Depth=2
	s_or_b32 exec_lo, exec_lo, s23
	s_and_saveexec_b32 s22, s10
	s_cbranch_execz .LBB2_4717
.LBB2_4716:                             ;   in Loop: Header=BB2_4691 Depth=2
	v_and_b32_e32 v99, 0xffff, v98
	v_lshlrev_b32_e32 v98, 24, v98
	s_delay_alu instid0(VALU_DEP_2) | instskip(NEXT) | instid1(VALU_DEP_2)
	v_and_b32_e32 v100, 7, v99
	v_and_b32_e32 v98, 0x80000000, v98
	s_delay_alu instid0(VALU_DEP_2) | instskip(NEXT) | instid1(VALU_DEP_1)
	v_clz_i32_u32_e32 v101, v100
	v_min_u32_e32 v101, 32, v101
	s_delay_alu instid0(VALU_DEP_1) | instskip(SKIP_1) | instid1(VALU_DEP_2)
	v_subrev_nc_u32_e32 v102, 28, v101
	v_sub_nc_u32_e32 v101, 29, v101
	v_lshlrev_b32_e32 v102, v102, v99
	v_bfe_u32 v99, v99, 3, 4
	s_delay_alu instid0(VALU_DEP_2) | instskip(NEXT) | instid1(VALU_DEP_2)
	v_and_b32_e32 v102, 7, v102
	v_cmp_eq_u32_e32 vcc_lo, 0, v99
	s_delay_alu instid0(VALU_DEP_2) | instskip(NEXT) | instid1(VALU_DEP_1)
	v_dual_cndmask_b32 v99, v99, v101 :: v_dual_cndmask_b32 v100, v100, v102
	v_lshl_add_u32 v99, v99, 23, 0x3b800000
	s_delay_alu instid0(VALU_DEP_2) | instskip(NEXT) | instid1(VALU_DEP_1)
	v_lshlrev_b32_e32 v100, 20, v100
	v_or3_b32 v99, v98, v99, v100
.LBB2_4717:                             ;   in Loop: Header=BB2_4691 Depth=2
	s_or_b32 exec_lo, exec_lo, s22
	s_delay_alu instid0(VALU_DEP_1) | instskip(NEXT) | instid1(VALU_DEP_1)
	v_mul_f32_e32 v99, v96, v99
	v_and_b32_e32 v98, 0x7f800000, v99
	s_delay_alu instid0(VALU_DEP_1)
	v_cmp_ne_u32_e32 vcc_lo, 0x7f800000, v98
	v_mov_b32_e32 v98, 0x80
	s_and_saveexec_b32 s22, vcc_lo
	s_cbranch_execz .LBB2_4725
; %bb.4718:                             ;   in Loop: Header=BB2_4691 Depth=2
	v_mov_b32_e32 v98, 0
	s_mov_b32 s23, exec_lo
	v_cmpx_ne_u32_e32 0, v99
	s_cbranch_execz .LBB2_4724
; %bb.4719:                             ;   in Loop: Header=BB2_4691 Depth=2
	v_bfe_u32 v98, v99, 23, 8
	s_delay_alu instid0(VALU_DEP_1) | instskip(SKIP_1) | instid1(VALU_DEP_2)
	v_sub_nc_u32_e32 v101, 0x78, v98
	v_cmp_gt_u32_e32 vcc_lo, 0x79, v98
	v_dual_cndmask_b32 v101, 0, v101 :: v_dual_and_b32 v100, 0x7fffff, v99
	s_delay_alu instid0(VALU_DEP_1) | instskip(SKIP_2) | instid1(VALU_DEP_4)
	v_or_b32_e32 v102, 0x800000, v100
	v_cmp_eq_u32_e32 vcc_lo, 0, v98
	v_add_nc_u32_e32 v98, 0xffffff89, v98
	v_cndmask_b32_e64 v101, v101, 0x77, vcc_lo
	s_delay_alu instid0(VALU_DEP_2) | instskip(SKIP_1) | instid1(VALU_DEP_3)
	v_cndmask_b32_e64 v98, v98, 0xffffff8a, vcc_lo
	v_cndmask_b32_e32 v100, v102, v100, vcc_lo
	v_lshl_add_u32 v102, 0x100000, v101, -1
	v_lshlrev_b32_e64 v113, v101, 0x80000
	s_delay_alu instid0(VALU_DEP_3) | instskip(SKIP_1) | instid1(VALU_DEP_4)
	v_lshrrev_b32_e32 v103, v101, v100
	v_add_nc_u32_e32 v101, v101, v98
	v_and_b32_e32 v100, v102, v100
	s_delay_alu instid0(VALU_DEP_3) | instskip(NEXT) | instid1(VALU_DEP_2)
	v_bfe_u32 v112, v103, 20, 1
	v_cmp_eq_u32_e64 s10, v100, v113
	s_delay_alu instid0(VALU_DEP_2) | instskip(NEXT) | instid1(VALU_DEP_1)
	v_add_nc_u32_e32 v102, -1, v112
	v_cndmask_b32_e64 v100, 0, v102, s10
	v_lshrrev_b32_e32 v102, 23, v103
	s_mov_b32 s10, exec_lo
	s_delay_alu instid0(VALU_DEP_2) | instskip(NEXT) | instid1(VALU_DEP_2)
	v_add_nc_u32_e32 v100, v100, v103
	v_xor_b32_e32 v102, 1, v102
	s_delay_alu instid0(VALU_DEP_2) | instskip(NEXT) | instid1(VALU_DEP_1)
	v_and_b32_e32 v98, 0xfffff, v100
	v_add_nc_u32_e32 v100, v98, v103
                                        ; implicit-def: $vgpr98
	s_delay_alu instid0(VALU_DEP_3)
	v_cmpx_ne_u32_e64 v101, v102
	s_xor_b32 s10, exec_lo, s10
; %bb.4720:                             ;   in Loop: Header=BB2_4691 Depth=2
	s_delay_alu instid0(VALU_DEP_2) | instskip(SKIP_2) | instid1(VALU_DEP_2)
	v_cmp_lt_u32_e32 vcc_lo, 0xffffff, v100
	v_sub_nc_u32_e32 v98, v101, v102
	v_cndmask_b32_e64 v101, 0, 1, vcc_lo
	v_add_co_ci_u32_e32 v98, vcc_lo, 0, v98, vcc_lo
	s_delay_alu instid0(VALU_DEP_2)
	v_lshrrev_b32_e32 v100, v101, v100
; %bb.4721:                             ;   in Loop: Header=BB2_4691 Depth=2
	s_and_not1_saveexec_b32 s10, s10
; %bb.4722:                             ;   in Loop: Header=BB2_4691 Depth=2
	s_delay_alu instid0(VALU_DEP_1)
	v_bfe_u32 v98, v100, 23, 1
; %bb.4723:                             ;   in Loop: Header=BB2_4691 Depth=2
	s_or_b32 exec_lo, exec_lo, s10
	v_lshrrev_b32_e32 v100, 20, v100
	s_delay_alu instid0(VALU_DEP_2) | instskip(SKIP_2) | instid1(VALU_DEP_2)
	v_cmp_gt_i32_e32 vcc_lo, 16, v98
	v_lshrrev_b32_e32 v99, 24, v99
	v_min_i32_e32 v101, 15, v98
	v_dual_cndmask_b32 v100, 7, v100 :: v_dual_and_b32 v99, 0x80, v99
	s_delay_alu instid0(VALU_DEP_1) | instskip(SKIP_1) | instid1(VALU_DEP_2)
	v_or_b32_e32 v98, v98, v100
	v_and_b32_e32 v102, 7, v100
	v_cmp_ne_u32_e32 vcc_lo, 0, v98
	v_lshlrev_b32_e32 v101, 3, v101
	s_delay_alu instid0(VALU_DEP_1) | instskip(NEXT) | instid1(VALU_DEP_1)
	v_or3_b32 v99, v101, v99, v102
	v_cndmask_b32_e32 v98, 0, v99, vcc_lo
.LBB2_4724:                             ;   in Loop: Header=BB2_4691 Depth=2
	s_or_b32 exec_lo, exec_lo, s23
.LBB2_4725:                             ;   in Loop: Header=BB2_4691 Depth=2
	s_delay_alu instid0(SALU_CYCLE_1)
	s_or_b32 exec_lo, exec_lo, s22
	flat_load_u8 v99, v[48:49] offset:64 slc dlc
	s_mov_b32 s10, 0
	s_mov_b32 s23, exec_lo
                                        ; implicit-def: $sgpr22
	s_waitcnt vmcnt(0) lgkmcnt(0)
	v_cmpx_lt_i16_e32 0x7f, v99
	s_xor_b32 s23, exec_lo, s23
	s_cbranch_execnz .LBB2_4806
; %bb.4726:                             ;   in Loop: Header=BB2_4691 Depth=2
	s_or_saveexec_b32 s23, s23
	v_mov_b32_e32 v100, s22
	s_xor_b32 exec_lo, exec_lo, s23
	s_cbranch_execnz .LBB2_4809
.LBB2_4727:                             ;   in Loop: Header=BB2_4691 Depth=2
	s_or_b32 exec_lo, exec_lo, s23
	s_and_saveexec_b32 s22, s10
	s_cbranch_execz .LBB2_4729
.LBB2_4728:                             ;   in Loop: Header=BB2_4691 Depth=2
	v_and_b32_e32 v100, 0xffff, v99
	v_lshlrev_b32_e32 v99, 24, v99
	s_delay_alu instid0(VALU_DEP_2) | instskip(NEXT) | instid1(VALU_DEP_2)
	v_and_b32_e32 v101, 7, v100
	v_and_b32_e32 v99, 0x80000000, v99
	s_delay_alu instid0(VALU_DEP_2) | instskip(NEXT) | instid1(VALU_DEP_1)
	v_clz_i32_u32_e32 v102, v101
	v_min_u32_e32 v102, 32, v102
	s_delay_alu instid0(VALU_DEP_1) | instskip(SKIP_1) | instid1(VALU_DEP_2)
	v_subrev_nc_u32_e32 v103, 28, v102
	v_sub_nc_u32_e32 v102, 29, v102
	v_lshlrev_b32_e32 v103, v103, v100
	v_bfe_u32 v100, v100, 3, 4
	s_delay_alu instid0(VALU_DEP_2) | instskip(NEXT) | instid1(VALU_DEP_2)
	v_and_b32_e32 v103, 7, v103
	v_cmp_eq_u32_e32 vcc_lo, 0, v100
	s_delay_alu instid0(VALU_DEP_2) | instskip(NEXT) | instid1(VALU_DEP_1)
	v_dual_cndmask_b32 v100, v100, v102 :: v_dual_cndmask_b32 v101, v101, v103
	v_lshl_add_u32 v100, v100, 23, 0x3b800000
	s_delay_alu instid0(VALU_DEP_2) | instskip(NEXT) | instid1(VALU_DEP_1)
	v_lshlrev_b32_e32 v101, 20, v101
	v_or3_b32 v100, v99, v100, v101
.LBB2_4729:                             ;   in Loop: Header=BB2_4691 Depth=2
	s_or_b32 exec_lo, exec_lo, s22
	s_delay_alu instid0(VALU_DEP_1) | instskip(NEXT) | instid1(VALU_DEP_1)
	v_mul_f32_e32 v100, v96, v100
	v_and_b32_e32 v99, 0x7f800000, v100
	s_delay_alu instid0(VALU_DEP_1)
	v_cmp_ne_u32_e32 vcc_lo, 0x7f800000, v99
	v_mov_b32_e32 v99, 0x80
	s_and_saveexec_b32 s22, vcc_lo
	s_cbranch_execz .LBB2_4737
; %bb.4730:                             ;   in Loop: Header=BB2_4691 Depth=2
	v_mov_b32_e32 v99, 0
	s_mov_b32 s23, exec_lo
	v_cmpx_ne_u32_e32 0, v100
	s_cbranch_execz .LBB2_4736
; %bb.4731:                             ;   in Loop: Header=BB2_4691 Depth=2
	v_bfe_u32 v99, v100, 23, 8
	s_delay_alu instid0(VALU_DEP_1) | instskip(SKIP_1) | instid1(VALU_DEP_2)
	v_sub_nc_u32_e32 v102, 0x78, v99
	v_cmp_gt_u32_e32 vcc_lo, 0x79, v99
	v_dual_cndmask_b32 v102, 0, v102 :: v_dual_and_b32 v101, 0x7fffff, v100
	s_delay_alu instid0(VALU_DEP_1) | instskip(SKIP_2) | instid1(VALU_DEP_4)
	v_or_b32_e32 v103, 0x800000, v101
	v_cmp_eq_u32_e32 vcc_lo, 0, v99
	v_add_nc_u32_e32 v99, 0xffffff89, v99
	v_cndmask_b32_e64 v102, v102, 0x77, vcc_lo
	s_delay_alu instid0(VALU_DEP_2) | instskip(SKIP_1) | instid1(VALU_DEP_3)
	v_cndmask_b32_e64 v99, v99, 0xffffff8a, vcc_lo
	v_cndmask_b32_e32 v101, v103, v101, vcc_lo
	v_lshl_add_u32 v103, 0x100000, v102, -1
	v_lshlrev_b32_e64 v114, v102, 0x80000
	s_delay_alu instid0(VALU_DEP_3) | instskip(SKIP_1) | instid1(VALU_DEP_4)
	v_lshrrev_b32_e32 v112, v102, v101
	v_add_nc_u32_e32 v102, v102, v99
	v_and_b32_e32 v101, v103, v101
	s_delay_alu instid0(VALU_DEP_3) | instskip(NEXT) | instid1(VALU_DEP_2)
	v_bfe_u32 v113, v112, 20, 1
	v_cmp_eq_u32_e64 s10, v101, v114
	s_delay_alu instid0(VALU_DEP_2) | instskip(NEXT) | instid1(VALU_DEP_1)
	v_add_nc_u32_e32 v103, -1, v113
	v_cndmask_b32_e64 v101, 0, v103, s10
	v_lshrrev_b32_e32 v103, 23, v112
	s_mov_b32 s10, exec_lo
	s_delay_alu instid0(VALU_DEP_2) | instskip(NEXT) | instid1(VALU_DEP_2)
	v_add_nc_u32_e32 v101, v101, v112
	v_xor_b32_e32 v103, 1, v103
	s_delay_alu instid0(VALU_DEP_2) | instskip(NEXT) | instid1(VALU_DEP_1)
	v_and_b32_e32 v99, 0xfffff, v101
	v_add_nc_u32_e32 v101, v99, v112
                                        ; implicit-def: $vgpr99
	s_delay_alu instid0(VALU_DEP_3)
	v_cmpx_ne_u32_e64 v102, v103
	s_xor_b32 s10, exec_lo, s10
; %bb.4732:                             ;   in Loop: Header=BB2_4691 Depth=2
	s_delay_alu instid0(VALU_DEP_2) | instskip(SKIP_2) | instid1(VALU_DEP_2)
	v_cmp_lt_u32_e32 vcc_lo, 0xffffff, v101
	v_sub_nc_u32_e32 v99, v102, v103
	v_cndmask_b32_e64 v102, 0, 1, vcc_lo
	v_add_co_ci_u32_e32 v99, vcc_lo, 0, v99, vcc_lo
	s_delay_alu instid0(VALU_DEP_2)
	v_lshrrev_b32_e32 v101, v102, v101
; %bb.4733:                             ;   in Loop: Header=BB2_4691 Depth=2
	s_and_not1_saveexec_b32 s10, s10
; %bb.4734:                             ;   in Loop: Header=BB2_4691 Depth=2
	s_delay_alu instid0(VALU_DEP_1)
	v_bfe_u32 v99, v101, 23, 1
; %bb.4735:                             ;   in Loop: Header=BB2_4691 Depth=2
	s_or_b32 exec_lo, exec_lo, s10
	v_lshrrev_b32_e32 v101, 20, v101
	s_delay_alu instid0(VALU_DEP_2) | instskip(SKIP_2) | instid1(VALU_DEP_2)
	v_cmp_gt_i32_e32 vcc_lo, 16, v99
	v_lshrrev_b32_e32 v100, 24, v100
	v_min_i32_e32 v102, 15, v99
	v_dual_cndmask_b32 v101, 7, v101 :: v_dual_and_b32 v100, 0x80, v100
	s_delay_alu instid0(VALU_DEP_1) | instskip(SKIP_1) | instid1(VALU_DEP_2)
	v_or_b32_e32 v99, v99, v101
	v_and_b32_e32 v103, 7, v101
	v_cmp_ne_u32_e32 vcc_lo, 0, v99
	v_lshlrev_b32_e32 v102, 3, v102
	s_delay_alu instid0(VALU_DEP_1) | instskip(NEXT) | instid1(VALU_DEP_1)
	v_or3_b32 v100, v102, v100, v103
	v_cndmask_b32_e32 v99, 0, v100, vcc_lo
.LBB2_4736:                             ;   in Loop: Header=BB2_4691 Depth=2
	s_or_b32 exec_lo, exec_lo, s23
.LBB2_4737:                             ;   in Loop: Header=BB2_4691 Depth=2
	s_delay_alu instid0(SALU_CYCLE_1)
	s_or_b32 exec_lo, exec_lo, s22
	flat_load_u8 v100, v[48:49] offset:96 slc dlc
	s_mov_b32 s10, 0
	s_mov_b32 s23, exec_lo
                                        ; implicit-def: $sgpr22
	s_waitcnt vmcnt(0) lgkmcnt(0)
	v_cmpx_lt_i16_e32 0x7f, v100
	s_xor_b32 s23, exec_lo, s23
	s_cbranch_execnz .LBB2_4810
; %bb.4738:                             ;   in Loop: Header=BB2_4691 Depth=2
	s_or_saveexec_b32 s23, s23
	v_mov_b32_e32 v101, s22
	s_xor_b32 exec_lo, exec_lo, s23
	s_cbranch_execnz .LBB2_4813
.LBB2_4739:                             ;   in Loop: Header=BB2_4691 Depth=2
	s_or_b32 exec_lo, exec_lo, s23
	s_and_saveexec_b32 s22, s10
	s_cbranch_execz .LBB2_4741
.LBB2_4740:                             ;   in Loop: Header=BB2_4691 Depth=2
	v_and_b32_e32 v101, 0xffff, v100
	v_lshlrev_b32_e32 v100, 24, v100
	s_delay_alu instid0(VALU_DEP_2) | instskip(NEXT) | instid1(VALU_DEP_2)
	v_and_b32_e32 v102, 7, v101
	v_and_b32_e32 v100, 0x80000000, v100
	s_delay_alu instid0(VALU_DEP_2) | instskip(NEXT) | instid1(VALU_DEP_1)
	v_clz_i32_u32_e32 v103, v102
	v_min_u32_e32 v103, 32, v103
	s_delay_alu instid0(VALU_DEP_1) | instskip(SKIP_1) | instid1(VALU_DEP_2)
	v_subrev_nc_u32_e32 v112, 28, v103
	v_sub_nc_u32_e32 v103, 29, v103
	v_lshlrev_b32_e32 v112, v112, v101
	v_bfe_u32 v101, v101, 3, 4
	s_delay_alu instid0(VALU_DEP_2) | instskip(NEXT) | instid1(VALU_DEP_2)
	v_and_b32_e32 v112, 7, v112
	v_cmp_eq_u32_e32 vcc_lo, 0, v101
	s_delay_alu instid0(VALU_DEP_2) | instskip(NEXT) | instid1(VALU_DEP_1)
	v_dual_cndmask_b32 v101, v101, v103 :: v_dual_cndmask_b32 v102, v102, v112
	v_lshl_add_u32 v101, v101, 23, 0x3b800000
	s_delay_alu instid0(VALU_DEP_2) | instskip(NEXT) | instid1(VALU_DEP_1)
	v_lshlrev_b32_e32 v102, 20, v102
	v_or3_b32 v101, v100, v101, v102
.LBB2_4741:                             ;   in Loop: Header=BB2_4691 Depth=2
	s_or_b32 exec_lo, exec_lo, s22
	s_delay_alu instid0(VALU_DEP_1) | instskip(NEXT) | instid1(VALU_DEP_1)
	v_mul_f32_e32 v101, v96, v101
	v_and_b32_e32 v100, 0x7f800000, v101
	s_delay_alu instid0(VALU_DEP_1)
	v_cmp_ne_u32_e32 vcc_lo, 0x7f800000, v100
	v_mov_b32_e32 v100, 0x80
	s_and_saveexec_b32 s22, vcc_lo
	s_cbranch_execz .LBB2_4749
; %bb.4742:                             ;   in Loop: Header=BB2_4691 Depth=2
	v_mov_b32_e32 v100, 0
	s_mov_b32 s23, exec_lo
	v_cmpx_ne_u32_e32 0, v101
	s_cbranch_execz .LBB2_4748
; %bb.4743:                             ;   in Loop: Header=BB2_4691 Depth=2
	v_bfe_u32 v100, v101, 23, 8
	s_delay_alu instid0(VALU_DEP_1) | instskip(SKIP_1) | instid1(VALU_DEP_2)
	v_sub_nc_u32_e32 v103, 0x78, v100
	v_cmp_gt_u32_e32 vcc_lo, 0x79, v100
	v_dual_cndmask_b32 v103, 0, v103 :: v_dual_and_b32 v102, 0x7fffff, v101
	s_delay_alu instid0(VALU_DEP_1) | instskip(SKIP_2) | instid1(VALU_DEP_4)
	v_or_b32_e32 v112, 0x800000, v102
	v_cmp_eq_u32_e32 vcc_lo, 0, v100
	v_add_nc_u32_e32 v100, 0xffffff89, v100
	v_cndmask_b32_e64 v103, v103, 0x77, vcc_lo
	s_delay_alu instid0(VALU_DEP_2) | instskip(SKIP_1) | instid1(VALU_DEP_3)
	v_cndmask_b32_e64 v100, v100, 0xffffff8a, vcc_lo
	v_cndmask_b32_e32 v102, v112, v102, vcc_lo
	v_lshl_add_u32 v112, 0x100000, v103, -1
	v_lshlrev_b32_e64 v115, v103, 0x80000
	s_delay_alu instid0(VALU_DEP_3) | instskip(SKIP_1) | instid1(VALU_DEP_4)
	v_lshrrev_b32_e32 v113, v103, v102
	v_add_nc_u32_e32 v103, v103, v100
	v_and_b32_e32 v102, v112, v102
	s_delay_alu instid0(VALU_DEP_3) | instskip(NEXT) | instid1(VALU_DEP_2)
	v_bfe_u32 v114, v113, 20, 1
	v_cmp_eq_u32_e64 s10, v102, v115
	s_delay_alu instid0(VALU_DEP_2) | instskip(NEXT) | instid1(VALU_DEP_1)
	v_add_nc_u32_e32 v112, -1, v114
	v_cndmask_b32_e64 v102, 0, v112, s10
	v_lshrrev_b32_e32 v112, 23, v113
	s_mov_b32 s10, exec_lo
	s_delay_alu instid0(VALU_DEP_2) | instskip(NEXT) | instid1(VALU_DEP_2)
	v_add_nc_u32_e32 v102, v102, v113
	v_xor_b32_e32 v112, 1, v112
	s_delay_alu instid0(VALU_DEP_2) | instskip(NEXT) | instid1(VALU_DEP_1)
	v_and_b32_e32 v100, 0xfffff, v102
	v_add_nc_u32_e32 v102, v100, v113
                                        ; implicit-def: $vgpr100
	s_delay_alu instid0(VALU_DEP_3)
	v_cmpx_ne_u32_e64 v103, v112
	s_xor_b32 s10, exec_lo, s10
; %bb.4744:                             ;   in Loop: Header=BB2_4691 Depth=2
	s_delay_alu instid0(VALU_DEP_2) | instskip(SKIP_2) | instid1(VALU_DEP_2)
	v_cmp_lt_u32_e32 vcc_lo, 0xffffff, v102
	v_sub_nc_u32_e32 v100, v103, v112
	v_cndmask_b32_e64 v103, 0, 1, vcc_lo
	v_add_co_ci_u32_e32 v100, vcc_lo, 0, v100, vcc_lo
	s_delay_alu instid0(VALU_DEP_2)
	v_lshrrev_b32_e32 v102, v103, v102
; %bb.4745:                             ;   in Loop: Header=BB2_4691 Depth=2
	s_and_not1_saveexec_b32 s10, s10
; %bb.4746:                             ;   in Loop: Header=BB2_4691 Depth=2
	s_delay_alu instid0(VALU_DEP_1)
	v_bfe_u32 v100, v102, 23, 1
; %bb.4747:                             ;   in Loop: Header=BB2_4691 Depth=2
	s_or_b32 exec_lo, exec_lo, s10
	v_lshrrev_b32_e32 v102, 20, v102
	s_delay_alu instid0(VALU_DEP_2) | instskip(SKIP_2) | instid1(VALU_DEP_2)
	v_cmp_gt_i32_e32 vcc_lo, 16, v100
	v_lshrrev_b32_e32 v101, 24, v101
	v_min_i32_e32 v103, 15, v100
	v_dual_cndmask_b32 v102, 7, v102 :: v_dual_and_b32 v101, 0x80, v101
	s_delay_alu instid0(VALU_DEP_1) | instskip(SKIP_1) | instid1(VALU_DEP_2)
	v_or_b32_e32 v100, v100, v102
	v_and_b32_e32 v112, 7, v102
	v_cmp_ne_u32_e32 vcc_lo, 0, v100
	v_lshlrev_b32_e32 v103, 3, v103
	s_delay_alu instid0(VALU_DEP_1) | instskip(NEXT) | instid1(VALU_DEP_1)
	v_or3_b32 v101, v103, v101, v112
	v_cndmask_b32_e32 v100, 0, v101, vcc_lo
.LBB2_4748:                             ;   in Loop: Header=BB2_4691 Depth=2
	s_or_b32 exec_lo, exec_lo, s23
.LBB2_4749:                             ;   in Loop: Header=BB2_4691 Depth=2
	s_delay_alu instid0(SALU_CYCLE_1)
	s_or_b32 exec_lo, exec_lo, s22
	flat_load_u8 v101, v[48:49] offset:128 slc dlc
	s_mov_b32 s10, 0
	s_mov_b32 s23, exec_lo
                                        ; implicit-def: $sgpr22
	s_waitcnt vmcnt(0) lgkmcnt(0)
	v_cmpx_lt_i16_e32 0x7f, v101
	s_xor_b32 s23, exec_lo, s23
	s_cbranch_execnz .LBB2_4814
; %bb.4750:                             ;   in Loop: Header=BB2_4691 Depth=2
	s_or_saveexec_b32 s23, s23
	v_mov_b32_e32 v102, s22
	s_xor_b32 exec_lo, exec_lo, s23
	s_cbranch_execnz .LBB2_4817
.LBB2_4751:                             ;   in Loop: Header=BB2_4691 Depth=2
	s_or_b32 exec_lo, exec_lo, s23
	s_and_saveexec_b32 s22, s10
	s_cbranch_execz .LBB2_4753
.LBB2_4752:                             ;   in Loop: Header=BB2_4691 Depth=2
	v_and_b32_e32 v102, 0xffff, v101
	v_lshlrev_b32_e32 v101, 24, v101
	s_delay_alu instid0(VALU_DEP_2) | instskip(NEXT) | instid1(VALU_DEP_2)
	v_and_b32_e32 v103, 7, v102
	v_and_b32_e32 v101, 0x80000000, v101
	s_delay_alu instid0(VALU_DEP_2) | instskip(NEXT) | instid1(VALU_DEP_1)
	v_clz_i32_u32_e32 v112, v103
	v_min_u32_e32 v112, 32, v112
	s_delay_alu instid0(VALU_DEP_1) | instskip(SKIP_1) | instid1(VALU_DEP_2)
	v_subrev_nc_u32_e32 v113, 28, v112
	v_sub_nc_u32_e32 v112, 29, v112
	v_lshlrev_b32_e32 v113, v113, v102
	v_bfe_u32 v102, v102, 3, 4
	s_delay_alu instid0(VALU_DEP_2) | instskip(NEXT) | instid1(VALU_DEP_2)
	v_and_b32_e32 v113, 7, v113
	v_cmp_eq_u32_e32 vcc_lo, 0, v102
	s_delay_alu instid0(VALU_DEP_2) | instskip(NEXT) | instid1(VALU_DEP_1)
	v_dual_cndmask_b32 v102, v102, v112 :: v_dual_cndmask_b32 v103, v103, v113
	v_lshl_add_u32 v102, v102, 23, 0x3b800000
	s_delay_alu instid0(VALU_DEP_2) | instskip(NEXT) | instid1(VALU_DEP_1)
	v_lshlrev_b32_e32 v103, 20, v103
	v_or3_b32 v102, v101, v102, v103
.LBB2_4753:                             ;   in Loop: Header=BB2_4691 Depth=2
	s_or_b32 exec_lo, exec_lo, s22
	s_delay_alu instid0(VALU_DEP_1) | instskip(NEXT) | instid1(VALU_DEP_1)
	v_mul_f32_e32 v102, v96, v102
	v_and_b32_e32 v101, 0x7f800000, v102
	s_delay_alu instid0(VALU_DEP_1)
	v_cmp_ne_u32_e32 vcc_lo, 0x7f800000, v101
	v_mov_b32_e32 v101, 0x80
	s_and_saveexec_b32 s22, vcc_lo
	s_cbranch_execz .LBB2_4761
; %bb.4754:                             ;   in Loop: Header=BB2_4691 Depth=2
	v_mov_b32_e32 v101, 0
	s_mov_b32 s23, exec_lo
	v_cmpx_ne_u32_e32 0, v102
	s_cbranch_execz .LBB2_4760
; %bb.4755:                             ;   in Loop: Header=BB2_4691 Depth=2
	v_bfe_u32 v101, v102, 23, 8
	s_delay_alu instid0(VALU_DEP_1) | instskip(SKIP_1) | instid1(VALU_DEP_2)
	v_sub_nc_u32_e32 v112, 0x78, v101
	v_cmp_gt_u32_e32 vcc_lo, 0x79, v101
	v_dual_cndmask_b32 v112, 0, v112 :: v_dual_and_b32 v103, 0x7fffff, v102
	s_delay_alu instid0(VALU_DEP_1) | instskip(SKIP_2) | instid1(VALU_DEP_4)
	v_or_b32_e32 v113, 0x800000, v103
	v_cmp_eq_u32_e32 vcc_lo, 0, v101
	v_add_nc_u32_e32 v101, 0xffffff89, v101
	v_cndmask_b32_e64 v112, v112, 0x77, vcc_lo
	s_delay_alu instid0(VALU_DEP_2) | instskip(SKIP_1) | instid1(VALU_DEP_3)
	v_cndmask_b32_e64 v101, v101, 0xffffff8a, vcc_lo
	v_cndmask_b32_e32 v103, v113, v103, vcc_lo
	v_lshl_add_u32 v113, 0x100000, v112, -1
	v_lshlrev_b32_e64 v116, v112, 0x80000
	s_delay_alu instid0(VALU_DEP_3) | instskip(SKIP_1) | instid1(VALU_DEP_4)
	v_lshrrev_b32_e32 v114, v112, v103
	v_add_nc_u32_e32 v112, v112, v101
	v_and_b32_e32 v103, v113, v103
	s_delay_alu instid0(VALU_DEP_3) | instskip(NEXT) | instid1(VALU_DEP_2)
	v_bfe_u32 v115, v114, 20, 1
	v_cmp_eq_u32_e64 s10, v103, v116
	s_delay_alu instid0(VALU_DEP_2) | instskip(NEXT) | instid1(VALU_DEP_1)
	v_add_nc_u32_e32 v113, -1, v115
	v_cndmask_b32_e64 v103, 0, v113, s10
	v_lshrrev_b32_e32 v113, 23, v114
	s_mov_b32 s10, exec_lo
	s_delay_alu instid0(VALU_DEP_2) | instskip(NEXT) | instid1(VALU_DEP_2)
	v_add_nc_u32_e32 v103, v103, v114
	v_xor_b32_e32 v113, 1, v113
	s_delay_alu instid0(VALU_DEP_2) | instskip(NEXT) | instid1(VALU_DEP_1)
	v_and_b32_e32 v101, 0xfffff, v103
	v_add_nc_u32_e32 v103, v101, v114
                                        ; implicit-def: $vgpr101
	s_delay_alu instid0(VALU_DEP_3)
	v_cmpx_ne_u32_e64 v112, v113
	s_xor_b32 s10, exec_lo, s10
; %bb.4756:                             ;   in Loop: Header=BB2_4691 Depth=2
	s_delay_alu instid0(VALU_DEP_2) | instskip(SKIP_2) | instid1(VALU_DEP_2)
	v_cmp_lt_u32_e32 vcc_lo, 0xffffff, v103
	v_sub_nc_u32_e32 v101, v112, v113
	v_cndmask_b32_e64 v112, 0, 1, vcc_lo
	v_add_co_ci_u32_e32 v101, vcc_lo, 0, v101, vcc_lo
	s_delay_alu instid0(VALU_DEP_2)
	v_lshrrev_b32_e32 v103, v112, v103
; %bb.4757:                             ;   in Loop: Header=BB2_4691 Depth=2
	s_and_not1_saveexec_b32 s10, s10
; %bb.4758:                             ;   in Loop: Header=BB2_4691 Depth=2
	s_delay_alu instid0(VALU_DEP_1)
	v_bfe_u32 v101, v103, 23, 1
; %bb.4759:                             ;   in Loop: Header=BB2_4691 Depth=2
	s_or_b32 exec_lo, exec_lo, s10
	v_lshrrev_b32_e32 v103, 20, v103
	s_delay_alu instid0(VALU_DEP_2) | instskip(SKIP_2) | instid1(VALU_DEP_2)
	v_cmp_gt_i32_e32 vcc_lo, 16, v101
	v_lshrrev_b32_e32 v102, 24, v102
	v_min_i32_e32 v112, 15, v101
	v_dual_cndmask_b32 v103, 7, v103 :: v_dual_and_b32 v102, 0x80, v102
	s_delay_alu instid0(VALU_DEP_1) | instskip(SKIP_1) | instid1(VALU_DEP_2)
	v_or_b32_e32 v101, v101, v103
	v_and_b32_e32 v113, 7, v103
	v_cmp_ne_u32_e32 vcc_lo, 0, v101
	v_lshlrev_b32_e32 v112, 3, v112
	s_delay_alu instid0(VALU_DEP_1) | instskip(NEXT) | instid1(VALU_DEP_1)
	v_or3_b32 v102, v112, v102, v113
	v_cndmask_b32_e32 v101, 0, v102, vcc_lo
.LBB2_4760:                             ;   in Loop: Header=BB2_4691 Depth=2
	s_or_b32 exec_lo, exec_lo, s23
.LBB2_4761:                             ;   in Loop: Header=BB2_4691 Depth=2
	s_delay_alu instid0(SALU_CYCLE_1)
	s_or_b32 exec_lo, exec_lo, s22
	flat_load_u8 v102, v[48:49] offset:160 slc dlc
	s_mov_b32 s10, 0
	s_mov_b32 s23, exec_lo
                                        ; implicit-def: $sgpr22
	s_waitcnt vmcnt(0) lgkmcnt(0)
	v_cmpx_lt_i16_e32 0x7f, v102
	s_xor_b32 s23, exec_lo, s23
	s_cbranch_execnz .LBB2_4818
; %bb.4762:                             ;   in Loop: Header=BB2_4691 Depth=2
	s_or_saveexec_b32 s23, s23
	v_mov_b32_e32 v103, s22
	s_xor_b32 exec_lo, exec_lo, s23
	s_cbranch_execnz .LBB2_4821
.LBB2_4763:                             ;   in Loop: Header=BB2_4691 Depth=2
	s_or_b32 exec_lo, exec_lo, s23
	s_and_saveexec_b32 s22, s10
	s_cbranch_execz .LBB2_4765
.LBB2_4764:                             ;   in Loop: Header=BB2_4691 Depth=2
	v_and_b32_e32 v103, 0xffff, v102
	v_lshlrev_b32_e32 v102, 24, v102
	s_delay_alu instid0(VALU_DEP_2) | instskip(NEXT) | instid1(VALU_DEP_2)
	v_and_b32_e32 v112, 7, v103
	v_and_b32_e32 v102, 0x80000000, v102
	s_delay_alu instid0(VALU_DEP_2) | instskip(NEXT) | instid1(VALU_DEP_1)
	v_clz_i32_u32_e32 v113, v112
	v_min_u32_e32 v113, 32, v113
	s_delay_alu instid0(VALU_DEP_1) | instskip(SKIP_1) | instid1(VALU_DEP_2)
	v_subrev_nc_u32_e32 v114, 28, v113
	v_sub_nc_u32_e32 v113, 29, v113
	v_lshlrev_b32_e32 v114, v114, v103
	v_bfe_u32 v103, v103, 3, 4
	s_delay_alu instid0(VALU_DEP_2) | instskip(NEXT) | instid1(VALU_DEP_2)
	v_and_b32_e32 v114, 7, v114
	v_cmp_eq_u32_e32 vcc_lo, 0, v103
	s_delay_alu instid0(VALU_DEP_2) | instskip(NEXT) | instid1(VALU_DEP_1)
	v_dual_cndmask_b32 v103, v103, v113 :: v_dual_cndmask_b32 v112, v112, v114
	v_lshl_add_u32 v103, v103, 23, 0x3b800000
	s_delay_alu instid0(VALU_DEP_2) | instskip(NEXT) | instid1(VALU_DEP_1)
	v_lshlrev_b32_e32 v112, 20, v112
	v_or3_b32 v103, v102, v103, v112
.LBB2_4765:                             ;   in Loop: Header=BB2_4691 Depth=2
	s_or_b32 exec_lo, exec_lo, s22
	s_delay_alu instid0(VALU_DEP_1) | instskip(NEXT) | instid1(VALU_DEP_1)
	v_mul_f32_e32 v103, v96, v103
	v_and_b32_e32 v102, 0x7f800000, v103
	s_delay_alu instid0(VALU_DEP_1)
	v_cmp_ne_u32_e32 vcc_lo, 0x7f800000, v102
	v_mov_b32_e32 v102, 0x80
	s_and_saveexec_b32 s22, vcc_lo
	s_cbranch_execz .LBB2_4773
; %bb.4766:                             ;   in Loop: Header=BB2_4691 Depth=2
	v_mov_b32_e32 v102, 0
	s_mov_b32 s23, exec_lo
	v_cmpx_ne_u32_e32 0, v103
	s_cbranch_execz .LBB2_4772
; %bb.4767:                             ;   in Loop: Header=BB2_4691 Depth=2
	v_bfe_u32 v102, v103, 23, 8
	s_delay_alu instid0(VALU_DEP_1) | instskip(SKIP_1) | instid1(VALU_DEP_2)
	v_sub_nc_u32_e32 v113, 0x78, v102
	v_cmp_gt_u32_e32 vcc_lo, 0x79, v102
	v_dual_cndmask_b32 v113, 0, v113 :: v_dual_and_b32 v112, 0x7fffff, v103
	s_delay_alu instid0(VALU_DEP_1) | instskip(SKIP_2) | instid1(VALU_DEP_4)
	v_or_b32_e32 v114, 0x800000, v112
	v_cmp_eq_u32_e32 vcc_lo, 0, v102
	v_add_nc_u32_e32 v102, 0xffffff89, v102
	v_cndmask_b32_e64 v113, v113, 0x77, vcc_lo
	s_delay_alu instid0(VALU_DEP_2) | instskip(SKIP_1) | instid1(VALU_DEP_3)
	v_cndmask_b32_e64 v102, v102, 0xffffff8a, vcc_lo
	v_cndmask_b32_e32 v112, v114, v112, vcc_lo
	v_lshl_add_u32 v114, 0x100000, v113, -1
	v_lshlrev_b32_e64 v117, v113, 0x80000
	s_delay_alu instid0(VALU_DEP_3) | instskip(SKIP_1) | instid1(VALU_DEP_4)
	v_lshrrev_b32_e32 v115, v113, v112
	v_add_nc_u32_e32 v113, v113, v102
	v_and_b32_e32 v112, v114, v112
	s_delay_alu instid0(VALU_DEP_3) | instskip(NEXT) | instid1(VALU_DEP_2)
	v_bfe_u32 v116, v115, 20, 1
	v_cmp_eq_u32_e64 s10, v112, v117
	s_delay_alu instid0(VALU_DEP_2) | instskip(NEXT) | instid1(VALU_DEP_1)
	v_add_nc_u32_e32 v114, -1, v116
	v_cndmask_b32_e64 v112, 0, v114, s10
	v_lshrrev_b32_e32 v114, 23, v115
	s_mov_b32 s10, exec_lo
	s_delay_alu instid0(VALU_DEP_2) | instskip(NEXT) | instid1(VALU_DEP_2)
	v_add_nc_u32_e32 v112, v112, v115
	v_xor_b32_e32 v114, 1, v114
	s_delay_alu instid0(VALU_DEP_2) | instskip(NEXT) | instid1(VALU_DEP_1)
	v_and_b32_e32 v102, 0xfffff, v112
	v_add_nc_u32_e32 v112, v102, v115
                                        ; implicit-def: $vgpr102
	s_delay_alu instid0(VALU_DEP_3)
	v_cmpx_ne_u32_e64 v113, v114
	s_xor_b32 s10, exec_lo, s10
; %bb.4768:                             ;   in Loop: Header=BB2_4691 Depth=2
	s_delay_alu instid0(VALU_DEP_2) | instskip(SKIP_2) | instid1(VALU_DEP_2)
	v_cmp_lt_u32_e32 vcc_lo, 0xffffff, v112
	v_sub_nc_u32_e32 v102, v113, v114
	v_cndmask_b32_e64 v113, 0, 1, vcc_lo
	v_add_co_ci_u32_e32 v102, vcc_lo, 0, v102, vcc_lo
	s_delay_alu instid0(VALU_DEP_2)
	v_lshrrev_b32_e32 v112, v113, v112
; %bb.4769:                             ;   in Loop: Header=BB2_4691 Depth=2
	s_and_not1_saveexec_b32 s10, s10
; %bb.4770:                             ;   in Loop: Header=BB2_4691 Depth=2
	s_delay_alu instid0(VALU_DEP_1)
	v_bfe_u32 v102, v112, 23, 1
; %bb.4771:                             ;   in Loop: Header=BB2_4691 Depth=2
	s_or_b32 exec_lo, exec_lo, s10
	v_lshrrev_b32_e32 v112, 20, v112
	s_delay_alu instid0(VALU_DEP_2) | instskip(SKIP_2) | instid1(VALU_DEP_2)
	v_cmp_gt_i32_e32 vcc_lo, 16, v102
	v_lshrrev_b32_e32 v103, 24, v103
	v_min_i32_e32 v113, 15, v102
	v_dual_cndmask_b32 v112, 7, v112 :: v_dual_and_b32 v103, 0x80, v103
	s_delay_alu instid0(VALU_DEP_1) | instskip(SKIP_1) | instid1(VALU_DEP_2)
	v_or_b32_e32 v102, v102, v112
	v_and_b32_e32 v114, 7, v112
	v_cmp_ne_u32_e32 vcc_lo, 0, v102
	v_lshlrev_b32_e32 v113, 3, v113
	s_delay_alu instid0(VALU_DEP_1) | instskip(NEXT) | instid1(VALU_DEP_1)
	v_or3_b32 v103, v113, v103, v114
	v_cndmask_b32_e32 v102, 0, v103, vcc_lo
.LBB2_4772:                             ;   in Loop: Header=BB2_4691 Depth=2
	s_or_b32 exec_lo, exec_lo, s23
.LBB2_4773:                             ;   in Loop: Header=BB2_4691 Depth=2
	s_delay_alu instid0(SALU_CYCLE_1)
	s_or_b32 exec_lo, exec_lo, s22
	flat_load_u8 v103, v[48:49] offset:192 slc dlc
	s_mov_b32 s10, 0
	s_mov_b32 s23, exec_lo
                                        ; implicit-def: $sgpr22
	s_waitcnt vmcnt(0) lgkmcnt(0)
	v_cmpx_lt_i16_e32 0x7f, v103
	s_xor_b32 s23, exec_lo, s23
	s_cbranch_execnz .LBB2_4822
; %bb.4774:                             ;   in Loop: Header=BB2_4691 Depth=2
	s_or_saveexec_b32 s23, s23
	v_mov_b32_e32 v112, s22
	s_xor_b32 exec_lo, exec_lo, s23
	s_cbranch_execnz .LBB2_4825
.LBB2_4775:                             ;   in Loop: Header=BB2_4691 Depth=2
	s_or_b32 exec_lo, exec_lo, s23
	s_and_saveexec_b32 s22, s10
	s_cbranch_execz .LBB2_4777
.LBB2_4776:                             ;   in Loop: Header=BB2_4691 Depth=2
	v_and_b32_e32 v112, 0xffff, v103
	v_lshlrev_b32_e32 v103, 24, v103
	s_delay_alu instid0(VALU_DEP_2) | instskip(NEXT) | instid1(VALU_DEP_2)
	v_and_b32_e32 v113, 7, v112
	v_and_b32_e32 v103, 0x80000000, v103
	s_delay_alu instid0(VALU_DEP_2) | instskip(NEXT) | instid1(VALU_DEP_1)
	v_clz_i32_u32_e32 v114, v113
	v_min_u32_e32 v114, 32, v114
	s_delay_alu instid0(VALU_DEP_1) | instskip(SKIP_1) | instid1(VALU_DEP_2)
	v_subrev_nc_u32_e32 v115, 28, v114
	v_sub_nc_u32_e32 v114, 29, v114
	v_lshlrev_b32_e32 v115, v115, v112
	v_bfe_u32 v112, v112, 3, 4
	s_delay_alu instid0(VALU_DEP_2) | instskip(NEXT) | instid1(VALU_DEP_2)
	v_and_b32_e32 v115, 7, v115
	v_cmp_eq_u32_e32 vcc_lo, 0, v112
	s_delay_alu instid0(VALU_DEP_2) | instskip(NEXT) | instid1(VALU_DEP_1)
	v_dual_cndmask_b32 v112, v112, v114 :: v_dual_cndmask_b32 v113, v113, v115
	v_lshl_add_u32 v112, v112, 23, 0x3b800000
	s_delay_alu instid0(VALU_DEP_2) | instskip(NEXT) | instid1(VALU_DEP_1)
	v_lshlrev_b32_e32 v113, 20, v113
	v_or3_b32 v112, v103, v112, v113
.LBB2_4777:                             ;   in Loop: Header=BB2_4691 Depth=2
	s_or_b32 exec_lo, exec_lo, s22
	s_delay_alu instid0(VALU_DEP_1) | instskip(NEXT) | instid1(VALU_DEP_1)
	v_mul_f32_e32 v112, v96, v112
	v_and_b32_e32 v103, 0x7f800000, v112
	s_delay_alu instid0(VALU_DEP_1)
	v_cmp_ne_u32_e32 vcc_lo, 0x7f800000, v103
	v_mov_b32_e32 v103, 0x80
	s_and_saveexec_b32 s22, vcc_lo
	s_cbranch_execz .LBB2_4785
; %bb.4778:                             ;   in Loop: Header=BB2_4691 Depth=2
	v_mov_b32_e32 v103, 0
	s_mov_b32 s23, exec_lo
	v_cmpx_ne_u32_e32 0, v112
	s_cbranch_execz .LBB2_4784
; %bb.4779:                             ;   in Loop: Header=BB2_4691 Depth=2
	v_bfe_u32 v103, v112, 23, 8
	s_delay_alu instid0(VALU_DEP_1) | instskip(SKIP_1) | instid1(VALU_DEP_2)
	v_sub_nc_u32_e32 v114, 0x78, v103
	v_cmp_gt_u32_e32 vcc_lo, 0x79, v103
	v_dual_cndmask_b32 v114, 0, v114 :: v_dual_and_b32 v113, 0x7fffff, v112
	s_delay_alu instid0(VALU_DEP_1) | instskip(SKIP_2) | instid1(VALU_DEP_4)
	v_or_b32_e32 v115, 0x800000, v113
	v_cmp_eq_u32_e32 vcc_lo, 0, v103
	v_add_nc_u32_e32 v103, 0xffffff89, v103
	v_cndmask_b32_e64 v114, v114, 0x77, vcc_lo
	s_delay_alu instid0(VALU_DEP_2) | instskip(SKIP_1) | instid1(VALU_DEP_3)
	v_cndmask_b32_e64 v103, v103, 0xffffff8a, vcc_lo
	v_cndmask_b32_e32 v113, v115, v113, vcc_lo
	v_lshl_add_u32 v115, 0x100000, v114, -1
	v_lshlrev_b32_e64 v118, v114, 0x80000
	s_delay_alu instid0(VALU_DEP_3) | instskip(SKIP_1) | instid1(VALU_DEP_4)
	v_lshrrev_b32_e32 v116, v114, v113
	v_add_nc_u32_e32 v114, v114, v103
	v_and_b32_e32 v113, v115, v113
	s_delay_alu instid0(VALU_DEP_3) | instskip(NEXT) | instid1(VALU_DEP_2)
	v_bfe_u32 v117, v116, 20, 1
	v_cmp_eq_u32_e64 s10, v113, v118
	s_delay_alu instid0(VALU_DEP_2) | instskip(NEXT) | instid1(VALU_DEP_1)
	v_add_nc_u32_e32 v115, -1, v117
	v_cndmask_b32_e64 v113, 0, v115, s10
	v_lshrrev_b32_e32 v115, 23, v116
	s_mov_b32 s10, exec_lo
	s_delay_alu instid0(VALU_DEP_2) | instskip(NEXT) | instid1(VALU_DEP_2)
	v_add_nc_u32_e32 v113, v113, v116
	v_xor_b32_e32 v115, 1, v115
	s_delay_alu instid0(VALU_DEP_2) | instskip(NEXT) | instid1(VALU_DEP_1)
	v_and_b32_e32 v103, 0xfffff, v113
	v_add_nc_u32_e32 v113, v103, v116
                                        ; implicit-def: $vgpr103
	s_delay_alu instid0(VALU_DEP_3)
	v_cmpx_ne_u32_e64 v114, v115
	s_xor_b32 s10, exec_lo, s10
; %bb.4780:                             ;   in Loop: Header=BB2_4691 Depth=2
	s_delay_alu instid0(VALU_DEP_2) | instskip(SKIP_2) | instid1(VALU_DEP_2)
	v_cmp_lt_u32_e32 vcc_lo, 0xffffff, v113
	v_sub_nc_u32_e32 v103, v114, v115
	v_cndmask_b32_e64 v114, 0, 1, vcc_lo
	v_add_co_ci_u32_e32 v103, vcc_lo, 0, v103, vcc_lo
	s_delay_alu instid0(VALU_DEP_2)
	v_lshrrev_b32_e32 v113, v114, v113
; %bb.4781:                             ;   in Loop: Header=BB2_4691 Depth=2
	s_and_not1_saveexec_b32 s10, s10
; %bb.4782:                             ;   in Loop: Header=BB2_4691 Depth=2
	s_delay_alu instid0(VALU_DEP_1)
	v_bfe_u32 v103, v113, 23, 1
; %bb.4783:                             ;   in Loop: Header=BB2_4691 Depth=2
	s_or_b32 exec_lo, exec_lo, s10
	v_lshrrev_b32_e32 v113, 20, v113
	s_delay_alu instid0(VALU_DEP_2) | instskip(SKIP_2) | instid1(VALU_DEP_2)
	v_cmp_gt_i32_e32 vcc_lo, 16, v103
	v_lshrrev_b32_e32 v112, 24, v112
	v_min_i32_e32 v114, 15, v103
	v_dual_cndmask_b32 v113, 7, v113 :: v_dual_and_b32 v112, 0x80, v112
	s_delay_alu instid0(VALU_DEP_1) | instskip(SKIP_1) | instid1(VALU_DEP_2)
	v_or_b32_e32 v103, v103, v113
	v_and_b32_e32 v115, 7, v113
	v_cmp_ne_u32_e32 vcc_lo, 0, v103
	v_lshlrev_b32_e32 v114, 3, v114
	s_delay_alu instid0(VALU_DEP_1) | instskip(NEXT) | instid1(VALU_DEP_1)
	v_or3_b32 v112, v114, v112, v115
	v_cndmask_b32_e32 v103, 0, v112, vcc_lo
.LBB2_4784:                             ;   in Loop: Header=BB2_4691 Depth=2
	s_or_b32 exec_lo, exec_lo, s23
.LBB2_4785:                             ;   in Loop: Header=BB2_4691 Depth=2
	s_delay_alu instid0(SALU_CYCLE_1)
	s_or_b32 exec_lo, exec_lo, s22
	flat_load_u8 v48, v[48:49] offset:224 slc dlc
	s_mov_b32 s10, 0
	s_mov_b32 s23, exec_lo
                                        ; implicit-def: $sgpr22
	s_waitcnt vmcnt(0) lgkmcnt(0)
	v_cmpx_lt_i16_e32 0x7f, v48
	s_xor_b32 s23, exec_lo, s23
	s_cbranch_execnz .LBB2_4826
; %bb.4786:                             ;   in Loop: Header=BB2_4691 Depth=2
	s_or_saveexec_b32 s23, s23
	v_mov_b32_e32 v49, s22
	s_xor_b32 exec_lo, exec_lo, s23
	s_cbranch_execnz .LBB2_4829
.LBB2_4787:                             ;   in Loop: Header=BB2_4691 Depth=2
	s_or_b32 exec_lo, exec_lo, s23
	s_and_saveexec_b32 s22, s10
	s_cbranch_execz .LBB2_4789
.LBB2_4788:                             ;   in Loop: Header=BB2_4691 Depth=2
	v_and_b32_e32 v49, 0xffff, v48
	v_lshlrev_b32_e32 v48, 24, v48
	s_delay_alu instid0(VALU_DEP_2) | instskip(NEXT) | instid1(VALU_DEP_2)
	v_and_b32_e32 v112, 7, v49
	v_and_b32_e32 v48, 0x80000000, v48
	s_delay_alu instid0(VALU_DEP_2) | instskip(NEXT) | instid1(VALU_DEP_1)
	v_clz_i32_u32_e32 v113, v112
	v_min_u32_e32 v113, 32, v113
	s_delay_alu instid0(VALU_DEP_1) | instskip(SKIP_1) | instid1(VALU_DEP_2)
	v_subrev_nc_u32_e32 v114, 28, v113
	v_sub_nc_u32_e32 v113, 29, v113
	v_lshlrev_b32_e32 v114, v114, v49
	v_bfe_u32 v49, v49, 3, 4
	s_delay_alu instid0(VALU_DEP_1) | instskip(NEXT) | instid1(VALU_DEP_3)
	v_cmp_eq_u32_e32 vcc_lo, 0, v49
	v_dual_cndmask_b32 v49, v49, v113 :: v_dual_and_b32 v114, 7, v114
	s_delay_alu instid0(VALU_DEP_1) | instskip(NEXT) | instid1(VALU_DEP_2)
	v_cndmask_b32_e32 v112, v112, v114, vcc_lo
	v_lshl_add_u32 v49, v49, 23, 0x3b800000
	s_delay_alu instid0(VALU_DEP_2) | instskip(NEXT) | instid1(VALU_DEP_1)
	v_lshlrev_b32_e32 v112, 20, v112
	v_or3_b32 v49, v48, v49, v112
.LBB2_4789:                             ;   in Loop: Header=BB2_4691 Depth=2
	s_or_b32 exec_lo, exec_lo, s22
	s_delay_alu instid0(VALU_DEP_1) | instskip(NEXT) | instid1(VALU_DEP_1)
	v_mul_f32_e32 v48, v96, v49
	v_and_b32_e32 v49, 0x7f800000, v48
	s_delay_alu instid0(VALU_DEP_1)
	v_cmp_ne_u32_e32 vcc_lo, 0x7f800000, v49
	v_mov_b32_e32 v49, 0x80
	s_and_saveexec_b32 s22, vcc_lo
	s_cbranch_execz .LBB2_4797
; %bb.4790:                             ;   in Loop: Header=BB2_4691 Depth=2
	v_mov_b32_e32 v49, 0
	s_mov_b32 s23, exec_lo
	v_cmpx_ne_u32_e32 0, v48
	s_cbranch_execz .LBB2_4796
; %bb.4791:                             ;   in Loop: Header=BB2_4691 Depth=2
	v_bfe_u32 v49, v48, 23, 8
	v_and_b32_e32 v96, 0x7fffff, v48
	s_delay_alu instid0(VALU_DEP_2) | instskip(SKIP_1) | instid1(VALU_DEP_3)
	v_sub_nc_u32_e32 v112, 0x78, v49
	v_cmp_gt_u32_e32 vcc_lo, 0x79, v49
	v_or_b32_e32 v113, 0x800000, v96
	s_delay_alu instid0(VALU_DEP_3) | instskip(SKIP_2) | instid1(VALU_DEP_3)
	v_cndmask_b32_e32 v112, 0, v112, vcc_lo
	v_cmp_eq_u32_e32 vcc_lo, 0, v49
	v_add_nc_u32_e32 v49, 0xffffff89, v49
	v_cndmask_b32_e64 v112, v112, 0x77, vcc_lo
	v_cndmask_b32_e32 v96, v113, v96, vcc_lo
	s_delay_alu instid0(VALU_DEP_3) | instskip(NEXT) | instid1(VALU_DEP_3)
	v_cndmask_b32_e64 v49, v49, 0xffffff8a, vcc_lo
	v_lshl_add_u32 v113, 0x100000, v112, -1
	s_delay_alu instid0(VALU_DEP_3) | instskip(SKIP_1) | instid1(VALU_DEP_4)
	v_lshrrev_b32_e32 v114, v112, v96
	v_lshlrev_b32_e64 v116, v112, 0x80000
	v_add_nc_u32_e32 v112, v112, v49
	s_delay_alu instid0(VALU_DEP_4) | instskip(NEXT) | instid1(VALU_DEP_4)
	v_and_b32_e32 v96, v113, v96
	v_bfe_u32 v115, v114, 20, 1
	s_delay_alu instid0(VALU_DEP_2) | instskip(NEXT) | instid1(VALU_DEP_2)
	v_cmp_eq_u32_e64 s10, v96, v116
	v_add_nc_u32_e32 v113, -1, v115
	s_delay_alu instid0(VALU_DEP_1) | instskip(SKIP_2) | instid1(VALU_DEP_2)
	v_cndmask_b32_e64 v96, 0, v113, s10
	v_lshrrev_b32_e32 v113, 23, v114
	s_mov_b32 s10, exec_lo
	v_add_nc_u32_e32 v96, v96, v114
	s_delay_alu instid0(VALU_DEP_2) | instskip(NEXT) | instid1(VALU_DEP_2)
	v_xor_b32_e32 v113, 1, v113
	v_and_b32_e32 v49, 0xfffff, v96
	s_delay_alu instid0(VALU_DEP_1) | instskip(NEXT) | instid1(VALU_DEP_3)
	v_add_nc_u32_e32 v96, v49, v114
                                        ; implicit-def: $vgpr49
	v_cmpx_ne_u32_e64 v112, v113
	s_xor_b32 s10, exec_lo, s10
; %bb.4792:                             ;   in Loop: Header=BB2_4691 Depth=2
	s_delay_alu instid0(VALU_DEP_2) | instskip(SKIP_2) | instid1(VALU_DEP_2)
	v_cmp_lt_u32_e32 vcc_lo, 0xffffff, v96
	v_sub_nc_u32_e32 v49, v112, v113
	v_cndmask_b32_e64 v112, 0, 1, vcc_lo
	v_add_co_ci_u32_e32 v49, vcc_lo, 0, v49, vcc_lo
	s_delay_alu instid0(VALU_DEP_2)
	v_lshrrev_b32_e32 v96, v112, v96
; %bb.4793:                             ;   in Loop: Header=BB2_4691 Depth=2
	s_and_not1_saveexec_b32 s10, s10
; %bb.4794:                             ;   in Loop: Header=BB2_4691 Depth=2
	s_delay_alu instid0(VALU_DEP_1)
	v_bfe_u32 v49, v96, 23, 1
; %bb.4795:                             ;   in Loop: Header=BB2_4691 Depth=2
	s_or_b32 exec_lo, exec_lo, s10
	v_lshrrev_b32_e32 v96, 20, v96
	s_delay_alu instid0(VALU_DEP_2) | instskip(SKIP_2) | instid1(VALU_DEP_4)
	v_cmp_gt_i32_e32 vcc_lo, 16, v49
	v_lshrrev_b32_e32 v48, 24, v48
	v_min_i32_e32 v112, 15, v49
	v_cndmask_b32_e32 v96, 7, v96, vcc_lo
	s_delay_alu instid0(VALU_DEP_3) | instskip(NEXT) | instid1(VALU_DEP_3)
	v_and_b32_e32 v48, 0x80, v48
	v_lshlrev_b32_e32 v112, 3, v112
	s_delay_alu instid0(VALU_DEP_3) | instskip(SKIP_1) | instid1(VALU_DEP_2)
	v_and_b32_e32 v113, 7, v96
	v_or_b32_e32 v49, v49, v96
	v_or3_b32 v48, v112, v48, v113
	s_delay_alu instid0(VALU_DEP_2) | instskip(NEXT) | instid1(VALU_DEP_2)
	v_cmp_ne_u32_e32 vcc_lo, 0, v49
	v_cndmask_b32_e32 v49, 0, v48, vcc_lo
.LBB2_4796:                             ;   in Loop: Header=BB2_4691 Depth=2
	s_or_b32 exec_lo, exec_lo, s23
.LBB2_4797:                             ;   in Loop: Header=BB2_4691 Depth=2
	s_delay_alu instid0(SALU_CYCLE_1)
	s_or_b32 exec_lo, exec_lo, s22
	v_add_co_u32 v112, vcc_lo, v85, v10
	v_sub_nc_u32_e32 v52, v52, v64
	v_add_co_ci_u32_e32 v113, vcc_lo, v87, v11, vcc_lo
	v_add_co_u32 v12, vcc_lo, v12, v81
	v_add_co_ci_u32_e32 v13, vcc_lo, v13, v82, vcc_lo
	s_delay_alu instid0(VALU_DEP_4) | instskip(SKIP_1) | instid1(VALU_DEP_1)
	v_cmp_gt_i32_e32 vcc_lo, 1, v52
	v_add_co_u32 v10, s10, v10, v81
	v_add_co_ci_u32_e64 v11, s10, v11, v82, s10
	s_or_b32 s21, vcc_lo, s21
	s_clause 0x7
	flat_store_b8 v[112:113], v97 glc slc dlc
	flat_store_b8 v[112:113], v98 offset:32 glc slc dlc
	flat_store_b8 v[112:113], v99 offset:64 glc slc dlc
	;; [unrolled: 1-line block ×7, first 2 shown]
	s_and_not1_b32 exec_lo, exec_lo, s21
	s_cbranch_execnz .LBB2_4691
	s_branch .LBB2_4830
.LBB2_4798:                             ;   in Loop: Header=BB2_4691 Depth=2
	s_mov_b32 s10, -1
	s_mov_b32 s24, exec_lo
                                        ; implicit-def: $sgpr22
	v_cmpx_eq_u16_e32 0x80, v97
; %bb.4799:                             ;   in Loop: Header=BB2_4691 Depth=2
	s_mov_b32 s22, 0x7f800001
	s_xor_b32 s10, exec_lo, -1
; %bb.4800:                             ;   in Loop: Header=BB2_4691 Depth=2
	s_or_b32 exec_lo, exec_lo, s24
	s_delay_alu instid0(SALU_CYCLE_1)
	s_and_b32 s10, s10, exec_lo
	s_or_saveexec_b32 s23, s23
	v_mov_b32_e32 v98, s22
	s_xor_b32 exec_lo, exec_lo, s23
	s_cbranch_execz .LBB2_4703
.LBB2_4801:                             ;   in Loop: Header=BB2_4691 Depth=2
	v_cmp_ne_u16_e32 vcc_lo, 0, v97
	v_mov_b32_e32 v98, 0
	s_and_not1_b32 s10, s10, exec_lo
	s_and_b32 s22, vcc_lo, exec_lo
	s_delay_alu instid0(SALU_CYCLE_1)
	s_or_b32 s10, s10, s22
	s_or_b32 exec_lo, exec_lo, s23
	s_and_saveexec_b32 s22, s10
	s_cbranch_execnz .LBB2_4704
	s_branch .LBB2_4705
.LBB2_4802:                             ;   in Loop: Header=BB2_4691 Depth=2
	s_mov_b32 s10, -1
	s_mov_b32 s24, exec_lo
                                        ; implicit-def: $sgpr22
	v_cmpx_eq_u16_e32 0x80, v98
; %bb.4803:                             ;   in Loop: Header=BB2_4691 Depth=2
	s_mov_b32 s22, 0x7f800001
	s_xor_b32 s10, exec_lo, -1
; %bb.4804:                             ;   in Loop: Header=BB2_4691 Depth=2
	s_or_b32 exec_lo, exec_lo, s24
	s_delay_alu instid0(SALU_CYCLE_1)
	s_and_b32 s10, s10, exec_lo
	s_or_saveexec_b32 s23, s23
	v_mov_b32_e32 v99, s22
	s_xor_b32 exec_lo, exec_lo, s23
	s_cbranch_execz .LBB2_4715
.LBB2_4805:                             ;   in Loop: Header=BB2_4691 Depth=2
	v_cmp_ne_u16_e32 vcc_lo, 0, v98
	v_mov_b32_e32 v99, 0
	s_and_not1_b32 s10, s10, exec_lo
	s_and_b32 s22, vcc_lo, exec_lo
	s_delay_alu instid0(SALU_CYCLE_1)
	s_or_b32 s10, s10, s22
	s_or_b32 exec_lo, exec_lo, s23
	s_and_saveexec_b32 s22, s10
	s_cbranch_execnz .LBB2_4716
	s_branch .LBB2_4717
.LBB2_4806:                             ;   in Loop: Header=BB2_4691 Depth=2
	s_mov_b32 s10, -1
	s_mov_b32 s24, exec_lo
                                        ; implicit-def: $sgpr22
	v_cmpx_eq_u16_e32 0x80, v99
; %bb.4807:                             ;   in Loop: Header=BB2_4691 Depth=2
	s_mov_b32 s22, 0x7f800001
	s_xor_b32 s10, exec_lo, -1
; %bb.4808:                             ;   in Loop: Header=BB2_4691 Depth=2
	s_or_b32 exec_lo, exec_lo, s24
	s_delay_alu instid0(SALU_CYCLE_1)
	s_and_b32 s10, s10, exec_lo
	s_or_saveexec_b32 s23, s23
	v_mov_b32_e32 v100, s22
	s_xor_b32 exec_lo, exec_lo, s23
	s_cbranch_execz .LBB2_4727
.LBB2_4809:                             ;   in Loop: Header=BB2_4691 Depth=2
	v_cmp_ne_u16_e32 vcc_lo, 0, v99
	v_mov_b32_e32 v100, 0
	s_and_not1_b32 s10, s10, exec_lo
	s_and_b32 s22, vcc_lo, exec_lo
	s_delay_alu instid0(SALU_CYCLE_1)
	s_or_b32 s10, s10, s22
	s_or_b32 exec_lo, exec_lo, s23
	s_and_saveexec_b32 s22, s10
	s_cbranch_execnz .LBB2_4728
	s_branch .LBB2_4729
.LBB2_4810:                             ;   in Loop: Header=BB2_4691 Depth=2
	s_mov_b32 s10, -1
	s_mov_b32 s24, exec_lo
                                        ; implicit-def: $sgpr22
	v_cmpx_eq_u16_e32 0x80, v100
; %bb.4811:                             ;   in Loop: Header=BB2_4691 Depth=2
	s_mov_b32 s22, 0x7f800001
	s_xor_b32 s10, exec_lo, -1
; %bb.4812:                             ;   in Loop: Header=BB2_4691 Depth=2
	s_or_b32 exec_lo, exec_lo, s24
	s_delay_alu instid0(SALU_CYCLE_1)
	s_and_b32 s10, s10, exec_lo
	s_or_saveexec_b32 s23, s23
	v_mov_b32_e32 v101, s22
	s_xor_b32 exec_lo, exec_lo, s23
	s_cbranch_execz .LBB2_4739
.LBB2_4813:                             ;   in Loop: Header=BB2_4691 Depth=2
	v_cmp_ne_u16_e32 vcc_lo, 0, v100
	v_mov_b32_e32 v101, 0
	s_and_not1_b32 s10, s10, exec_lo
	s_and_b32 s22, vcc_lo, exec_lo
	s_delay_alu instid0(SALU_CYCLE_1)
	s_or_b32 s10, s10, s22
	s_or_b32 exec_lo, exec_lo, s23
	s_and_saveexec_b32 s22, s10
	s_cbranch_execnz .LBB2_4740
	s_branch .LBB2_4741
.LBB2_4814:                             ;   in Loop: Header=BB2_4691 Depth=2
	s_mov_b32 s10, -1
	s_mov_b32 s24, exec_lo
                                        ; implicit-def: $sgpr22
	v_cmpx_eq_u16_e32 0x80, v101
; %bb.4815:                             ;   in Loop: Header=BB2_4691 Depth=2
	s_mov_b32 s22, 0x7f800001
	s_xor_b32 s10, exec_lo, -1
; %bb.4816:                             ;   in Loop: Header=BB2_4691 Depth=2
	s_or_b32 exec_lo, exec_lo, s24
	s_delay_alu instid0(SALU_CYCLE_1)
	s_and_b32 s10, s10, exec_lo
	s_or_saveexec_b32 s23, s23
	v_mov_b32_e32 v102, s22
	s_xor_b32 exec_lo, exec_lo, s23
	s_cbranch_execz .LBB2_4751
.LBB2_4817:                             ;   in Loop: Header=BB2_4691 Depth=2
	v_cmp_ne_u16_e32 vcc_lo, 0, v101
	v_mov_b32_e32 v102, 0
	s_and_not1_b32 s10, s10, exec_lo
	s_and_b32 s22, vcc_lo, exec_lo
	s_delay_alu instid0(SALU_CYCLE_1)
	s_or_b32 s10, s10, s22
	s_or_b32 exec_lo, exec_lo, s23
	s_and_saveexec_b32 s22, s10
	s_cbranch_execnz .LBB2_4752
	s_branch .LBB2_4753
.LBB2_4818:                             ;   in Loop: Header=BB2_4691 Depth=2
	s_mov_b32 s10, -1
	s_mov_b32 s24, exec_lo
                                        ; implicit-def: $sgpr22
	v_cmpx_eq_u16_e32 0x80, v102
; %bb.4819:                             ;   in Loop: Header=BB2_4691 Depth=2
	s_mov_b32 s22, 0x7f800001
	s_xor_b32 s10, exec_lo, -1
; %bb.4820:                             ;   in Loop: Header=BB2_4691 Depth=2
	s_or_b32 exec_lo, exec_lo, s24
	s_delay_alu instid0(SALU_CYCLE_1)
	s_and_b32 s10, s10, exec_lo
	s_or_saveexec_b32 s23, s23
	v_mov_b32_e32 v103, s22
	s_xor_b32 exec_lo, exec_lo, s23
	s_cbranch_execz .LBB2_4763
.LBB2_4821:                             ;   in Loop: Header=BB2_4691 Depth=2
	v_cmp_ne_u16_e32 vcc_lo, 0, v102
	v_mov_b32_e32 v103, 0
	s_and_not1_b32 s10, s10, exec_lo
	s_and_b32 s22, vcc_lo, exec_lo
	s_delay_alu instid0(SALU_CYCLE_1)
	s_or_b32 s10, s10, s22
	s_or_b32 exec_lo, exec_lo, s23
	s_and_saveexec_b32 s22, s10
	s_cbranch_execnz .LBB2_4764
	s_branch .LBB2_4765
.LBB2_4822:                             ;   in Loop: Header=BB2_4691 Depth=2
	s_mov_b32 s10, -1
	s_mov_b32 s24, exec_lo
                                        ; implicit-def: $sgpr22
	v_cmpx_eq_u16_e32 0x80, v103
; %bb.4823:                             ;   in Loop: Header=BB2_4691 Depth=2
	s_mov_b32 s22, 0x7f800001
	s_xor_b32 s10, exec_lo, -1
; %bb.4824:                             ;   in Loop: Header=BB2_4691 Depth=2
	s_or_b32 exec_lo, exec_lo, s24
	s_delay_alu instid0(SALU_CYCLE_1)
	s_and_b32 s10, s10, exec_lo
	s_or_saveexec_b32 s23, s23
	v_mov_b32_e32 v112, s22
	s_xor_b32 exec_lo, exec_lo, s23
	s_cbranch_execz .LBB2_4775
.LBB2_4825:                             ;   in Loop: Header=BB2_4691 Depth=2
	v_cmp_ne_u16_e32 vcc_lo, 0, v103
	v_mov_b32_e32 v112, 0
	s_and_not1_b32 s10, s10, exec_lo
	s_and_b32 s22, vcc_lo, exec_lo
	s_delay_alu instid0(SALU_CYCLE_1)
	s_or_b32 s10, s10, s22
	s_or_b32 exec_lo, exec_lo, s23
	s_and_saveexec_b32 s22, s10
	s_cbranch_execnz .LBB2_4776
	s_branch .LBB2_4777
.LBB2_4826:                             ;   in Loop: Header=BB2_4691 Depth=2
	s_mov_b32 s10, -1
	s_mov_b32 s24, exec_lo
                                        ; implicit-def: $sgpr22
	v_cmpx_eq_u16_e32 0x80, v48
; %bb.4827:                             ;   in Loop: Header=BB2_4691 Depth=2
	s_mov_b32 s22, 0x7f800001
	s_xor_b32 s10, exec_lo, -1
; %bb.4828:                             ;   in Loop: Header=BB2_4691 Depth=2
	s_or_b32 exec_lo, exec_lo, s24
	s_delay_alu instid0(SALU_CYCLE_1)
	s_and_b32 s10, s10, exec_lo
	s_or_saveexec_b32 s23, s23
	v_mov_b32_e32 v49, s22
	s_xor_b32 exec_lo, exec_lo, s23
	s_cbranch_execz .LBB2_4787
.LBB2_4829:                             ;   in Loop: Header=BB2_4691 Depth=2
	v_cmp_ne_u16_e32 vcc_lo, 0, v48
	v_mov_b32_e32 v49, 0
	s_and_not1_b32 s10, s10, exec_lo
	s_and_b32 s22, vcc_lo, exec_lo
	s_delay_alu instid0(SALU_CYCLE_1)
	s_or_b32 s10, s10, s22
	s_or_b32 exec_lo, exec_lo, s23
	s_and_saveexec_b32 s22, s10
	s_cbranch_execnz .LBB2_4788
	s_branch .LBB2_4789
.LBB2_4830:                             ;   in Loop: Header=BB2_3806 Depth=1
	s_or_b32 exec_lo, exec_lo, s21
.LBB2_4831:                             ;   in Loop: Header=BB2_3806 Depth=1
	s_delay_alu instid0(SALU_CYCLE_1) | instskip(SKIP_1) | instid1(VALU_DEP_1)
	s_or_b32 exec_lo, exec_lo, s20
	v_lshlrev_b32_e32 v10, 8, v53
	v_cmp_ne_u32_e32 vcc_lo, v50, v10
	s_and_b32 exec_lo, exec_lo, vcc_lo
	s_cbranch_execz .LBB2_4862
; %bb.4832:                             ;   in Loop: Header=BB2_3806 Depth=1
	v_ashrrev_i32_e32 v11, 31, v86
	v_lshlrev_b32_e32 v12, 5, v52
	s_delay_alu instid0(VALU_DEP_2) | instskip(NEXT) | instid1(VALU_DEP_1)
	v_lshrrev_b32_e32 v11, 27, v11
	v_add_nc_u32_e32 v11, v86, v11
	s_delay_alu instid0(VALU_DEP_1) | instskip(NEXT) | instid1(VALU_DEP_1)
	v_and_b32_e32 v11, 0xffffffe0, v11
	v_sub_nc_u32_e32 v11, v86, v11
	s_delay_alu instid0(VALU_DEP_1) | instskip(NEXT) | instid1(VALU_DEP_1)
	v_sub_nc_u32_e32 v11, v11, v12
	v_add_nc_u32_e32 v12, v10, v11
	s_delay_alu instid0(VALU_DEP_1) | instskip(NEXT) | instid1(VALU_DEP_1)
	v_sub_nc_u32_e32 v48, v50, v12
	v_cmp_lt_i32_e32 vcc_lo, 0, v48
	s_and_b32 exec_lo, exec_lo, vcc_lo
	s_cbranch_execz .LBB2_4862
; %bb.4833:                             ;   in Loop: Header=BB2_3806 Depth=1
	s_cbranch_execnz .LBB2_5187
; %bb.4834:                             ;   in Loop: Header=BB2_3806 Depth=1
	ds_load_b64 v[10:11], v0
	v_add_nc_u32_e32 v49, v12, v51
	s_mov_b32 s20, 0
	s_delay_alu instid0(VALU_DEP_1)
	v_ashrrev_i32_e32 v50, 31, v49
.LBB2_4835:                             ;   Parent Loop BB2_3806 Depth=1
                                        ; =>  This Inner Loop Header: Depth=2
	s_cbranch_execnz .LBB2_5189
; %bb.4836:                             ;   in Loop: Header=BB2_4835 Depth=2
	ds_load_b64 v[12:13], v0
	s_waitcnt lgkmcnt(0)
	v_and_b32_e32 v13, 0xff, v12
	v_readfirstlane_b32 s10, v12
	s_delay_alu instid0(VALU_DEP_2)
	v_cmp_gt_i16_e32 vcc_lo, 0x80, v13
	s_cbranch_vccnz .LBB2_4840
; %bb.4837:                             ;   in Loop: Header=BB2_4835 Depth=2
	v_cmp_eq_u16_e32 vcc_lo, 0x80, v13
	s_mov_b32 s21, -1
                                        ; implicit-def: $sgpr22
	s_cbranch_vccz .LBB2_4839
; %bb.4838:                             ;   in Loop: Header=BB2_4835 Depth=2
	s_mov_b32 s21, 0
	s_mov_b32 s22, 0x7f800001
.LBB2_4839:                             ;   in Loop: Header=BB2_4835 Depth=2
	s_mov_b32 s23, 0
	s_branch .LBB2_4841
.LBB2_4840:                             ;   in Loop: Header=BB2_4835 Depth=2
	s_mov_b32 s23, -1
	s_mov_b32 s21, 0
                                        ; implicit-def: $sgpr22
.LBB2_4841:                             ;   in Loop: Header=BB2_4835 Depth=2
	s_and_b32 vcc_lo, exec_lo, s23
	s_cbranch_vccz .LBB2_4843
; %bb.4842:                             ;   in Loop: Header=BB2_4835 Depth=2
	v_cmp_ne_u16_e64 s21, 0, v13
	s_mov_b32 s22, 0
.LBB2_4843:                             ;   in Loop: Header=BB2_4835 Depth=2
	s_delay_alu instid0(SALU_CYCLE_1) | instskip(NEXT) | instid1(VALU_DEP_2)
	v_mov_b32_e32 v51, s22
	s_and_not1_b32 vcc_lo, exec_lo, s21
	s_cbranch_vccnz .LBB2_4845
; %bb.4844:                             ;   in Loop: Header=BB2_4835 Depth=2
	s_and_b32 s21, s10, 7
	s_bfe_u32 s23, s10, 0x40003
	s_clz_i32_u32 s22, s21
	v_lshlrev_b32_e32 v12, 24, v12
	s_min_u32 s22, s22, 32
	s_delay_alu instid0(SALU_CYCLE_1)
	s_sub_i32 s24, s22, 28
	s_sub_i32 s22, 29, s22
	s_lshl_b32 s10, s10, s24
	v_and_b32_e32 v12, 0x80000000, v12
	s_and_b32 s10, s10, 7
	s_cmp_eq_u32 s23, 0
	s_cselect_b32 s22, s22, s23
	s_cselect_b32 s10, s10, s21
	s_lshl_b32 s21, s22, 23
	s_lshl_b32 s10, s10, 20
	s_add_i32 s21, s21, 0x3b800000
	s_delay_alu instid0(SALU_CYCLE_1) | instskip(NEXT) | instid1(VALU_DEP_1)
	v_or_b32_e32 v12, s21, v12
	v_or_b32_e32 v51, s10, v12
.LBB2_4845:                             ;   in Loop: Header=BB2_4835 Depth=2
	v_add_co_u32 v12, vcc_lo, v10, v49
	v_add_co_ci_u32_e32 v13, vcc_lo, v11, v50, vcc_lo
	s_mov_b32 s10, 0
	s_mov_b32 s22, exec_lo
                                        ; implicit-def: $sgpr21
	flat_load_u8 v52, v[12:13] slc dlc
	s_waitcnt vmcnt(0) lgkmcnt(0)
	v_cmpx_lt_i16_e32 0x7f, v52
	s_xor_b32 s22, exec_lo, s22
	s_cbranch_execnz .LBB2_4858
; %bb.4846:                             ;   in Loop: Header=BB2_4835 Depth=2
	s_or_saveexec_b32 s22, s22
	v_mov_b32_e32 v53, s21
	s_xor_b32 exec_lo, exec_lo, s22
	s_cbranch_execnz .LBB2_4861
.LBB2_4847:                             ;   in Loop: Header=BB2_4835 Depth=2
	s_or_b32 exec_lo, exec_lo, s22
	s_and_saveexec_b32 s21, s10
	s_cbranch_execz .LBB2_4849
.LBB2_4848:                             ;   in Loop: Header=BB2_4835 Depth=2
	v_and_b32_e32 v53, 0xffff, v52
	s_delay_alu instid0(VALU_DEP_1) | instskip(NEXT) | instid1(VALU_DEP_1)
	v_and_b32_e32 v85, 7, v53
	v_clz_i32_u32_e32 v86, v85
	s_delay_alu instid0(VALU_DEP_1) | instskip(NEXT) | instid1(VALU_DEP_1)
	v_min_u32_e32 v86, 32, v86
	v_subrev_nc_u32_e32 v87, 28, v86
	v_sub_nc_u32_e32 v86, 29, v86
	s_delay_alu instid0(VALU_DEP_2) | instskip(SKIP_1) | instid1(VALU_DEP_2)
	v_lshlrev_b32_e32 v87, v87, v53
	v_bfe_u32 v53, v53, 3, 4
	v_and_b32_e32 v87, 7, v87
	s_delay_alu instid0(VALU_DEP_2) | instskip(SKIP_1) | instid1(VALU_DEP_1)
	v_cmp_eq_u32_e32 vcc_lo, 0, v53
	v_dual_cndmask_b32 v53, v53, v86 :: v_dual_lshlrev_b32 v52, 24, v52
	v_dual_cndmask_b32 v85, v85, v87 :: v_dual_and_b32 v52, 0x80000000, v52
	s_delay_alu instid0(VALU_DEP_2) | instskip(NEXT) | instid1(VALU_DEP_2)
	v_lshl_add_u32 v53, v53, 23, 0x3b800000
	v_lshlrev_b32_e32 v85, 20, v85
	s_delay_alu instid0(VALU_DEP_1)
	v_or3_b32 v53, v52, v53, v85
.LBB2_4849:                             ;   in Loop: Header=BB2_4835 Depth=2
	s_or_b32 exec_lo, exec_lo, s21
	s_delay_alu instid0(VALU_DEP_1) | instskip(NEXT) | instid1(VALU_DEP_1)
	v_mul_f32_e32 v51, v51, v53
	v_and_b32_e32 v52, 0x7f800000, v51
	s_delay_alu instid0(VALU_DEP_1)
	v_cmp_ne_u32_e32 vcc_lo, 0x7f800000, v52
	v_mov_b32_e32 v52, 0x80
	s_and_saveexec_b32 s21, vcc_lo
	s_cbranch_execz .LBB2_4857
; %bb.4850:                             ;   in Loop: Header=BB2_4835 Depth=2
	v_mov_b32_e32 v52, 0
	s_mov_b32 s22, exec_lo
	v_cmpx_ne_u32_e32 0, v51
	s_cbranch_execz .LBB2_4856
; %bb.4851:                             ;   in Loop: Header=BB2_4835 Depth=2
	v_bfe_u32 v52, v51, 23, 8
	v_and_b32_e32 v53, 0x7fffff, v51
	s_delay_alu instid0(VALU_DEP_2) | instskip(SKIP_1) | instid1(VALU_DEP_3)
	v_sub_nc_u32_e32 v85, 0x78, v52
	v_cmp_gt_u32_e32 vcc_lo, 0x79, v52
	v_or_b32_e32 v86, 0x800000, v53
	s_delay_alu instid0(VALU_DEP_3) | instskip(SKIP_2) | instid1(VALU_DEP_3)
	v_cndmask_b32_e32 v85, 0, v85, vcc_lo
	v_cmp_eq_u32_e32 vcc_lo, 0, v52
	v_add_nc_u32_e32 v52, 0xffffff89, v52
	v_cndmask_b32_e64 v85, v85, 0x77, vcc_lo
	v_cndmask_b32_e32 v53, v86, v53, vcc_lo
	s_delay_alu instid0(VALU_DEP_3) | instskip(NEXT) | instid1(VALU_DEP_3)
	v_cndmask_b32_e64 v52, v52, 0xffffff8a, vcc_lo
	v_lshl_add_u32 v86, 0x100000, v85, -1
	s_delay_alu instid0(VALU_DEP_3) | instskip(SKIP_1) | instid1(VALU_DEP_4)
	v_lshrrev_b32_e32 v87, v85, v53
	v_lshlrev_b32_e64 v97, v85, 0x80000
	v_add_nc_u32_e32 v85, v85, v52
	s_delay_alu instid0(VALU_DEP_4) | instskip(NEXT) | instid1(VALU_DEP_4)
	v_and_b32_e32 v53, v86, v53
	v_bfe_u32 v96, v87, 20, 1
	s_delay_alu instid0(VALU_DEP_2) | instskip(NEXT) | instid1(VALU_DEP_2)
	v_cmp_eq_u32_e64 s10, v53, v97
	v_add_nc_u32_e32 v86, -1, v96
	s_delay_alu instid0(VALU_DEP_1) | instskip(SKIP_2) | instid1(VALU_DEP_2)
	v_cndmask_b32_e64 v53, 0, v86, s10
	v_lshrrev_b32_e32 v86, 23, v87
	s_mov_b32 s10, exec_lo
	v_add_nc_u32_e32 v53, v53, v87
	s_delay_alu instid0(VALU_DEP_2) | instskip(NEXT) | instid1(VALU_DEP_2)
	v_xor_b32_e32 v86, 1, v86
	v_and_b32_e32 v52, 0xfffff, v53
	s_delay_alu instid0(VALU_DEP_1) | instskip(NEXT) | instid1(VALU_DEP_3)
	v_add_nc_u32_e32 v53, v52, v87
                                        ; implicit-def: $vgpr52
	v_cmpx_ne_u32_e64 v85, v86
	s_xor_b32 s10, exec_lo, s10
; %bb.4852:                             ;   in Loop: Header=BB2_4835 Depth=2
	s_delay_alu instid0(VALU_DEP_2) | instskip(SKIP_2) | instid1(VALU_DEP_2)
	v_cmp_lt_u32_e32 vcc_lo, 0xffffff, v53
	v_sub_nc_u32_e32 v52, v85, v86
	v_cndmask_b32_e64 v85, 0, 1, vcc_lo
	v_add_co_ci_u32_e32 v52, vcc_lo, 0, v52, vcc_lo
	s_delay_alu instid0(VALU_DEP_2)
	v_lshrrev_b32_e32 v53, v85, v53
; %bb.4853:                             ;   in Loop: Header=BB2_4835 Depth=2
	s_and_not1_saveexec_b32 s10, s10
; %bb.4854:                             ;   in Loop: Header=BB2_4835 Depth=2
	s_delay_alu instid0(VALU_DEP_1)
	v_bfe_u32 v52, v53, 23, 1
; %bb.4855:                             ;   in Loop: Header=BB2_4835 Depth=2
	s_or_b32 exec_lo, exec_lo, s10
	v_lshrrev_b32_e32 v53, 20, v53
	s_delay_alu instid0(VALU_DEP_2) | instskip(SKIP_2) | instid1(VALU_DEP_4)
	v_cmp_gt_i32_e32 vcc_lo, 16, v52
	v_lshrrev_b32_e32 v51, 24, v51
	v_min_i32_e32 v85, 15, v52
	v_cndmask_b32_e32 v53, 7, v53, vcc_lo
	s_delay_alu instid0(VALU_DEP_3) | instskip(NEXT) | instid1(VALU_DEP_3)
	v_and_b32_e32 v51, 0x80, v51
	v_lshlrev_b32_e32 v85, 3, v85
	s_delay_alu instid0(VALU_DEP_3) | instskip(SKIP_1) | instid1(VALU_DEP_2)
	v_and_b32_e32 v86, 7, v53
	v_or_b32_e32 v52, v52, v53
	v_or3_b32 v51, v85, v51, v86
	s_delay_alu instid0(VALU_DEP_2) | instskip(NEXT) | instid1(VALU_DEP_2)
	v_cmp_ne_u32_e32 vcc_lo, 0, v52
	v_cndmask_b32_e32 v52, 0, v51, vcc_lo
.LBB2_4856:                             ;   in Loop: Header=BB2_4835 Depth=2
	s_or_b32 exec_lo, exec_lo, s22
.LBB2_4857:                             ;   in Loop: Header=BB2_4835 Depth=2
	s_delay_alu instid0(SALU_CYCLE_1) | instskip(SKIP_2) | instid1(VALU_DEP_1)
	s_or_b32 exec_lo, exec_lo, s21
	v_sub_nc_u32_e32 v48, v48, v80
	v_add_co_u32 v49, s10, v49, v80
	v_add_co_ci_u32_e64 v50, s10, v50, v83, s10
	s_delay_alu instid0(VALU_DEP_3) | instskip(SKIP_2) | instid1(SALU_CYCLE_1)
	v_cmp_gt_i32_e32 vcc_lo, 1, v48
	flat_store_b8 v[12:13], v52 glc slc dlc
	s_or_b32 s20, vcc_lo, s20
	s_and_not1_b32 exec_lo, exec_lo, s20
	s_cbranch_execnz .LBB2_4835
	s_branch .LBB2_4862
.LBB2_4858:                             ;   in Loop: Header=BB2_4835 Depth=2
	s_mov_b32 s10, -1
	s_mov_b32 s23, exec_lo
                                        ; implicit-def: $sgpr21
	v_cmpx_eq_u16_e32 0x80, v52
; %bb.4859:                             ;   in Loop: Header=BB2_4835 Depth=2
	s_mov_b32 s21, 0x7f800001
	s_xor_b32 s10, exec_lo, -1
; %bb.4860:                             ;   in Loop: Header=BB2_4835 Depth=2
	s_or_b32 exec_lo, exec_lo, s23
	s_delay_alu instid0(SALU_CYCLE_1)
	s_and_b32 s10, s10, exec_lo
	s_or_saveexec_b32 s22, s22
	v_mov_b32_e32 v53, s21
	s_xor_b32 exec_lo, exec_lo, s22
	s_cbranch_execz .LBB2_4847
.LBB2_4861:                             ;   in Loop: Header=BB2_4835 Depth=2
	v_cmp_ne_u16_e32 vcc_lo, 0, v52
	v_mov_b32_e32 v53, 0
	s_and_not1_b32 s10, s10, exec_lo
	s_and_b32 s21, vcc_lo, exec_lo
	s_delay_alu instid0(SALU_CYCLE_1)
	s_or_b32 s10, s10, s21
	s_or_b32 exec_lo, exec_lo, s22
	s_and_saveexec_b32 s21, s10
	s_cbranch_execnz .LBB2_4848
	s_branch .LBB2_4849
.LBB2_4862:                             ;   in Loop: Header=BB2_3806 Depth=1
	s_or_b32 exec_lo, exec_lo, s11
	v_cmp_ne_u32_e64 s10, 0, v39
.LBB2_4863:                             ;   in Loop: Header=BB2_3806 Depth=1
	s_and_saveexec_b32 s11, s2
	s_cbranch_execz .LBB2_4885
; %bb.4864:                             ;   in Loop: Header=BB2_3806 Depth=1
	s_and_saveexec_b32 s20, s3
	s_delay_alu instid0(SALU_CYCLE_1)
	s_xor_b32 s20, exec_lo, s20
	s_cbranch_execz .LBB2_4882
; %bb.4865:                             ;   in Loop: Header=BB2_3806 Depth=1
	s_and_saveexec_b32 s21, s4
	s_cbranch_execz .LBB2_4881
; %bb.4866:                             ;   in Loop: Header=BB2_3806 Depth=1
	s_mov_b32 s23, exec_lo
	s_mov_b32 s22, exec_lo
	v_mbcnt_lo_u32_b32 v10, s23, 0
	s_waitcnt lgkmcnt(0)
	s_waitcnt_vscnt null, 0x0
	buffer_gl1_inv
	buffer_gl0_inv
	v_cmpx_eq_u32_e32 0, v10
	s_cbranch_execz .LBB2_4868
; %bb.4867:                             ;   in Loop: Header=BB2_3806 Depth=1
	s_bcnt1_i32_b32 s23, s23
	s_delay_alu instid0(SALU_CYCLE_1)
	v_dual_mov_b32 v11, v33 :: v_dual_mov_b32 v10, s23
	ds_add_u64 v0, v[10:11]
	s_cbranch_execnz .LBB2_5147
.LBB2_4868:                             ;   in Loop: Header=BB2_3806 Depth=1
	s_or_b32 exec_lo, exec_lo, s22
	s_cbranch_execnz .LBB2_5129
; %bb.4869:                             ;   in Loop: Header=BB2_3806 Depth=1
	ds_load_b64 v[10:11], v0
	v_add_co_u32 v24, vcc_lo, v24, v64
	v_add_co_ci_u32_e32 v25, vcc_lo, 0, v25, vcc_lo
	s_mov_b32 s22, exec_lo
	s_waitcnt lgkmcnt(0)
	s_delay_alu instid0(VALU_DEP_1)
	v_cmpx_lt_u64_e64 v[10:11], v[24:25]
	s_cbranch_execz .LBB2_4880
; %bb.4870:                             ;   in Loop: Header=BB2_3806 Depth=1
	s_mov_b32 s23, 0
	s_mov_b32 s26, 0
                                        ; implicit-def: $sgpr24
                                        ; implicit-def: $sgpr25
	s_branch .LBB2_4872
.LBB2_4871:                             ;   in Loop: Header=BB2_4872 Depth=2
	s_or_b32 exec_lo, exec_lo, s29
	s_delay_alu instid0(SALU_CYCLE_1) | instskip(NEXT) | instid1(SALU_CYCLE_1)
	s_and_b32 s27, exec_lo, s28
	s_or_b32 s23, s27, s23
	s_and_not1_b32 s24, s24, exec_lo
	s_and_b32 s27, s25, exec_lo
	s_delay_alu instid0(SALU_CYCLE_1)
	s_or_b32 s24, s24, s27
	s_and_not1_b32 exec_lo, exec_lo, s23
	s_cbranch_execz .LBB2_4878
.LBB2_4872:                             ;   Parent Loop BB2_3806 Depth=1
                                        ; =>  This Inner Loop Header: Depth=2
	s_add_i32 s26, s26, 1
                                        ; implicit-def: $sgpr28
	s_delay_alu instid0(SALU_CYCLE_1) | instskip(SKIP_1) | instid1(SALU_CYCLE_1)
	s_cmpk_lg_i32 s26, 0x2710
	s_cselect_b32 s27, -1, 0
	s_and_b32 vcc_lo, exec_lo, s27
	s_cbranch_vccz .LBB2_4876
.LBB2_4873:                             ;   in Loop: Header=BB2_4872 Depth=2
	s_and_not1_b32 s25, s25, exec_lo
	s_and_b32 s29, s28, exec_lo
	s_mov_b32 s28, -1
	s_or_b32 s25, s25, s29
	s_and_saveexec_b32 s29, s27
	s_cbranch_execz .LBB2_4871
; %bb.4874:                             ;   in Loop: Header=BB2_4872 Depth=2
	s_sleep 1
	s_cbranch_execnz .LBB2_5203
; %bb.4875:                             ;   in Loop: Header=BB2_4872 Depth=2
	ds_load_b64 v[10:11], v0
	s_and_not1_b32 s25, s25, exec_lo
	s_waitcnt lgkmcnt(0)
	v_cmp_ge_u64_e32 vcc_lo, v[10:11], v[24:25]
	s_or_not1_b32 s28, vcc_lo, exec_lo
	s_branch .LBB2_4871
.LBB2_4876:                             ;   in Loop: Header=BB2_4872 Depth=2
	s_cbranch_execnz .LBB2_5209
; %bb.4877:                             ;   in Loop: Header=BB2_4872 Depth=2
	ds_load_b64 v[10:11], v0
	s_and_not1_b32 s27, s27, exec_lo
	s_mov_b32 s26, 0
	s_mov_b32 s28, -1
	s_waitcnt lgkmcnt(0)
	flat_load_b32 v10, v[10:11] glc
	s_waitcnt vmcnt(0) lgkmcnt(0)
	buffer_gl1_inv
	buffer_gl0_inv
	v_cmp_eq_u32_e32 vcc_lo, 0, v10
	s_and_b32 s29, vcc_lo, exec_lo
	s_delay_alu instid0(SALU_CYCLE_1)
	s_or_b32 s27, s27, s29
	s_branch .LBB2_4873
.LBB2_4878:                             ;   in Loop: Header=BB2_3806 Depth=1
	s_or_b32 exec_lo, exec_lo, s23
	s_and_saveexec_b32 s23, s24
	s_delay_alu instid0(SALU_CYCLE_1)
	s_xor_b32 s23, exec_lo, s23
	s_cbranch_execz .LBB2_4880
; %bb.4879:                             ;   in Loop: Header=BB2_3806 Depth=1
	ds_store_b32 v0, v84
	s_cbranch_execnz .LBB2_5247
.LBB2_4880:                             ;   in Loop: Header=BB2_3806 Depth=1
	s_or_b32 exec_lo, exec_lo, s22
	;;#ASMSTART
	s_wakeup
	;;#ASMEND
.LBB2_4881:                             ;   in Loop: Header=BB2_3806 Depth=1
	s_or_b32 exec_lo, exec_lo, s21
.LBB2_4882:                             ;   in Loop: Header=BB2_3806 Depth=1
	s_and_not1_saveexec_b32 s20, s20
	s_cbranch_execz .LBB2_4884
; %bb.4883:                             ;   in Loop: Header=BB2_3806 Depth=1
	s_waitcnt lgkmcnt(0)
	s_waitcnt_vscnt null, 0x0
	buffer_gl1_inv
	buffer_gl0_inv
	s_barrier
.LBB2_4884:                             ;   in Loop: Header=BB2_3806 Depth=1
	s_or_b32 exec_lo, exec_lo, s20
.LBB2_4885:                             ;   in Loop: Header=BB2_3806 Depth=1
	s_delay_alu instid0(SALU_CYCLE_1) | instskip(SKIP_1) | instid1(VALU_DEP_1)
	s_or_b32 exec_lo, exec_lo, s11
	v_and_b32_e32 v10, 16, v30
	v_cmp_ne_u32_e32 vcc_lo, 0, v10
	s_and_b32 s11, vcc_lo, s10
	s_delay_alu instid0(SALU_CYCLE_1)
	s_and_saveexec_b32 s10, s11
	s_cbranch_execz .LBB2_4887
; %bb.4886:                             ;   in Loop: Header=BB2_3806 Depth=1
	s_waitcnt lgkmcnt(0)
	s_waitcnt_vscnt null, 0x0
	buffer_gl1_inv
	buffer_gl0_inv
.LBB2_4887:                             ;   in Loop: Header=BB2_3806 Depth=1
	s_or_b32 exec_lo, exec_lo, s10
	s_delay_alu instid0(SALU_CYCLE_1)
	s_mov_b32 s10, exec_lo
	v_cmpx_ne_u32_e32 0, v10
	s_cbranch_execz .LBB2_4891
; %bb.4888:                             ;   in Loop: Header=BB2_3806 Depth=1
	s_and_saveexec_b32 s11, s7
	s_cbranch_execz .LBB2_4890
; %bb.4889:                             ;   in Loop: Header=BB2_3806 Depth=1
	s_waitcnt lgkmcnt(0)
	s_waitcnt_vscnt null, 0x0
	flat_store_b32 v[28:29], v84
.LBB2_4890:                             ;   in Loop: Header=BB2_3806 Depth=1
	s_or_b32 exec_lo, exec_lo, s11
	v_add_co_u32 v8, vcc_lo, v8, 1
	v_add_co_ci_u32_e32 v9, vcc_lo, 0, v9, vcc_lo
	s_waitcnt lgkmcnt(0)
	s_waitcnt_vscnt null, 0x0
	flat_store_b64 v[18:19], v[8:9]
.LBB2_4891:                             ;   in Loop: Header=BB2_3806 Depth=1
	s_or_b32 exec_lo, exec_lo, s10
	v_mov_b32_e32 v12, v32
.LBB2_4892:                             ;   in Loop: Header=BB2_3806 Depth=1
	s_or_b32 exec_lo, exec_lo, s19
	s_and_saveexec_b32 s11, s18
	s_cbranch_execz .LBB2_4947
; %bb.4893:                             ;   in Loop: Header=BB2_3806 Depth=1
	v_and_b32_e32 v10, 8, v30
	s_mov_b32 s18, -1
	s_mov_b32 s10, exec_lo
	s_delay_alu instid0(VALU_DEP_1)
	v_cmpx_ne_u32_e32 0, v10
	s_cbranch_execz .LBB2_4907
; %bb.4894:                             ;   in Loop: Header=BB2_3806 Depth=1
	v_add_co_u32 v48, vcc_lo, v22, 8
	v_add_co_ci_u32_e32 v49, vcc_lo, 0, v23, vcc_lo
	v_add_co_u32 v10, vcc_lo, v8, 1
	v_add_co_ci_u32_e32 v11, vcc_lo, 0, v9, vcc_lo
	v_mov_b32_e32 v13, 1
	s_mov_b32 s18, exec_lo
	s_delay_alu instid0(VALU_DEP_2)
	v_cmpx_lt_u64_e64 v[48:49], v[10:11]
	s_cbranch_execz .LBB2_4906
; %bb.4895:                             ;   in Loop: Header=BB2_3806 Depth=1
	v_mov_b32_e32 v13, 0
	s_mov_b32 s19, 0
                                        ; implicit-def: $sgpr20
	s_branch .LBB2_4899
.LBB2_4896:                             ;   in Loop: Header=BB2_4899 Depth=2
	s_or_b32 exec_lo, exec_lo, s24
	v_mov_b32_e32 v39, 0
	s_or_not1_b32 s23, s23, exec_lo
.LBB2_4897:                             ;   in Loop: Header=BB2_4899 Depth=2
	s_or_b32 exec_lo, exec_lo, s22
	s_delay_alu instid0(VALU_DEP_1) | instskip(SKIP_2) | instid1(SALU_CYCLE_1)
	v_mov_b32_e32 v13, v39
	s_and_not1_b32 s20, s20, exec_lo
	s_and_b32 s22, s23, exec_lo
	s_or_b32 s20, s20, s22
.LBB2_4898:                             ;   in Loop: Header=BB2_4899 Depth=2
	s_or_b32 exec_lo, exec_lo, s21
	s_waitcnt vmcnt(0) lgkmcnt(0)
	v_add_co_u32 v48, vcc_lo, v22, 8
	v_add_co_ci_u32_e32 v49, vcc_lo, 0, v23, vcc_lo
	s_xor_b32 s21, s20, -1
	s_delay_alu instid0(VALU_DEP_1) | instskip(SKIP_1) | instid1(SALU_CYCLE_1)
	v_cmp_ge_u64_e32 vcc_lo, v[48:49], v[10:11]
	s_or_b32 s21, s21, vcc_lo
	s_and_b32 s21, exec_lo, s21
	s_delay_alu instid0(SALU_CYCLE_1) | instskip(NEXT) | instid1(SALU_CYCLE_1)
	s_or_b32 s19, s21, s19
	s_and_not1_b32 exec_lo, exec_lo, s19
	s_cbranch_execz .LBB2_4905
.LBB2_4899:                             ;   Parent Loop BB2_3806 Depth=1
                                        ; =>  This Inner Loop Header: Depth=2
	s_sleep 1
	flat_load_b64 v[22:23], v[18:19] glc
	v_and_b32_e32 v39, 64, v30
	s_and_not1_b32 s20, s20, exec_lo
	s_mov_b32 s21, exec_lo
	s_delay_alu instid0(VALU_DEP_1)
	v_cmpx_eq_u32_e32 0, v39
	s_cbranch_execz .LBB2_4898
; %bb.4900:                             ;   in Loop: Header=BB2_4899 Depth=2
	v_add_nc_u32_e32 v39, 1, v13
	s_mov_b32 s23, -1
	s_mov_b32 s22, exec_lo
	v_cmpx_lt_i32_e32 0x270e, v13
	s_cbranch_execz .LBB2_4897
; %bb.4901:                             ;   in Loop: Header=BB2_4899 Depth=2
	s_cbranch_execnz .LBB2_5036
; %bb.4902:                             ;   in Loop: Header=BB2_4899 Depth=2
	ds_load_b64 v[48:49], v0
	s_mov_b32 s24, exec_lo
	s_waitcnt vmcnt(0) lgkmcnt(0)
	s_waitcnt_vscnt null, 0x0
	flat_load_b32 v13, v[48:49] glc
	s_waitcnt vmcnt(0) lgkmcnt(0)
	buffer_gl1_inv
	buffer_gl0_inv
	v_cmpx_ne_u32_e32 0, v13
	s_cbranch_execz .LBB2_4896
; %bb.4903:                             ;   in Loop: Header=BB2_4899 Depth=2
	ds_store_b32 v0, v13
	s_cbranch_execnz .LBB2_5073
; %bb.4904:                             ;   in Loop: Header=BB2_4899 Depth=2
	v_or_b32_e32 v30, 64, v30
	s_xor_b32 s23, exec_lo, -1
	s_branch .LBB2_4896
.LBB2_4905:                             ;   in Loop: Header=BB2_3806 Depth=1
	s_or_b32 exec_lo, exec_lo, s19
	v_and_b32_e32 v13, 8, v30
.LBB2_4906:                             ;   in Loop: Header=BB2_3806 Depth=1
	s_or_b32 exec_lo, exec_lo, s18
	s_delay_alu instid0(VALU_DEP_1)
	v_cmp_eq_u32_e32 vcc_lo, 0, v13
	;;#ASMSTART
	s_wakeup
	;;#ASMEND
	s_or_not1_b32 s18, vcc_lo, exec_lo
.LBB2_4907:                             ;   in Loop: Header=BB2_3806 Depth=1
	s_or_b32 exec_lo, exec_lo, s10
	v_sub_nc_u32_e32 v10, v38, v12
	s_xor_b32 s10, s18, -1
	s_delay_alu instid0(VALU_DEP_1)
	v_min_i32_e32 v10, v32, v10
	s_and_saveexec_b32 s18, s10
	s_cbranch_execz .LBB2_4917
; %bb.4908:                             ;   in Loop: Header=BB2_3806 Depth=1
	v_and_b32_e32 v11, 0x100, v30
	v_and_b32_e32 v13, 7, v8
	s_mov_b32 s10, -1
	s_delay_alu instid0(VALU_DEP_2)
	v_cmp_ne_u32_e32 vcc_lo, 0, v11
                                        ; implicit-def: $vgpr11_vgpr12
	s_and_saveexec_b32 s19, vcc_lo
	s_cbranch_execz .LBB2_4912
; %bb.4909:                             ;   in Loop: Header=BB2_3806 Depth=1
	v_mad_u64_u32 v[38:39], null, v13, 24, v[6:7]
	v_ashrrev_i32_e32 v11, 31, v10
	flat_load_b32 v12, v[38:39]
	flat_store_b64 v[38:39], v[10:11] offset:8
	s_waitcnt vmcnt(0) lgkmcnt(1)
	v_cmp_ne_u32_e32 vcc_lo, 1, v12
	v_cmp_eq_u32_e64 s10, 1, v12
                                        ; implicit-def: $vgpr11_vgpr12
	s_delay_alu instid0(VALU_DEP_1)
	s_and_saveexec_b32 s20, s10
	s_cbranch_execz .LBB2_4911
; %bb.4910:                             ;   in Loop: Header=BB2_3806 Depth=1
	flat_load_b32 v11, v[38:39] offset:4 glc
	s_waitcnt vmcnt(0) lgkmcnt(0)
	v_ashrrev_i32_e32 v12, 31, v11
.LBB2_4911:                             ;   in Loop: Header=BB2_3806 Depth=1
	s_or_b32 exec_lo, exec_lo, s20
	s_delay_alu instid0(SALU_CYCLE_1)
	s_or_not1_b32 s10, vcc_lo, exec_lo
.LBB2_4912:                             ;   in Loop: Header=BB2_3806 Depth=1
	s_or_b32 exec_lo, exec_lo, s19
	s_and_saveexec_b32 s19, s10
; %bb.4913:                             ;   in Loop: Header=BB2_3806 Depth=1
	v_mad_i64_i32 v[11:12], null, v13, v55, 0
; %bb.4914:                             ;   in Loop: Header=BB2_3806 Depth=1
	s_or_b32 exec_lo, exec_lo, s19
	s_delay_alu instid0(VALU_DEP_1) | instskip(SKIP_1) | instid1(VALU_DEP_3)
	v_add_co_u32 v11, vcc_lo, v20, v11
	v_and_b32_e32 v13, 0x2000, v30
	v_add_co_ci_u32_e32 v12, vcc_lo, v21, v12, vcc_lo
	s_mov_b32 s10, exec_lo
	ds_store_b64 v0, v[11:12] offset:784
	v_cmpx_ne_u32_e32 0, v13
	s_cbranch_execz .LBB2_4916
; %bb.4915:                             ;   in Loop: Header=BB2_3806 Depth=1
	ds_load_b64 v[11:12], v0 offset:584
	s_waitcnt lgkmcnt(0)
	v_add_co_u32 v11, vcc_lo, v11, 1
	v_add_co_ci_u32_e32 v12, vcc_lo, 0, v12, vcc_lo
	ds_store_b64 v0, v[11:12] offset:584
.LBB2_4916:                             ;   in Loop: Header=BB2_3806 Depth=1
	s_or_b32 exec_lo, exec_lo, s10
	v_add_co_u32 v8, vcc_lo, v8, 1
	v_add_co_ci_u32_e32 v9, vcc_lo, 0, v9, vcc_lo
.LBB2_4917:                             ;   in Loop: Header=BB2_3806 Depth=1
	s_or_b32 exec_lo, exec_lo, s18
	s_and_saveexec_b32 s10, s2
	s_cbranch_execz .LBB2_4939
; %bb.4918:                             ;   in Loop: Header=BB2_3806 Depth=1
	s_and_saveexec_b32 s18, s3
	s_delay_alu instid0(SALU_CYCLE_1)
	s_xor_b32 s18, exec_lo, s18
	s_cbranch_execz .LBB2_4936
; %bb.4919:                             ;   in Loop: Header=BB2_3806 Depth=1
	s_and_saveexec_b32 s19, s4
	s_cbranch_execz .LBB2_4935
; %bb.4920:                             ;   in Loop: Header=BB2_3806 Depth=1
	s_mov_b32 s21, exec_lo
	s_mov_b32 s20, exec_lo
	v_mbcnt_lo_u32_b32 v11, s21, 0
	s_waitcnt lgkmcnt(0)
	s_waitcnt_vscnt null, 0x0
	buffer_gl1_inv
	buffer_gl0_inv
	v_cmpx_eq_u32_e32 0, v11
	s_cbranch_execz .LBB2_4922
; %bb.4921:                             ;   in Loop: Header=BB2_3806 Depth=1
	s_bcnt1_i32_b32 s21, s21
	s_delay_alu instid0(SALU_CYCLE_1)
	v_mov_b32_e32 v32, s21
	ds_add_u64 v0, v[32:33]
	s_cbranch_execnz .LBB2_5089
.LBB2_4922:                             ;   in Loop: Header=BB2_3806 Depth=1
	s_or_b32 exec_lo, exec_lo, s20
	s_cbranch_execnz .LBB2_5077
; %bb.4923:                             ;   in Loop: Header=BB2_3806 Depth=1
	ds_load_b64 v[11:12], v0
	v_add_co_u32 v24, vcc_lo, v24, v64
	v_add_co_ci_u32_e32 v25, vcc_lo, 0, v25, vcc_lo
	s_mov_b32 s20, exec_lo
	s_waitcnt lgkmcnt(0)
	s_delay_alu instid0(VALU_DEP_1)
	v_cmpx_lt_u64_e64 v[11:12], v[24:25]
	s_cbranch_execz .LBB2_4934
; %bb.4924:                             ;   in Loop: Header=BB2_3806 Depth=1
	s_mov_b32 s21, 0
	s_mov_b32 s24, 0
                                        ; implicit-def: $sgpr22
                                        ; implicit-def: $sgpr23
	s_branch .LBB2_4926
.LBB2_4925:                             ;   in Loop: Header=BB2_4926 Depth=2
	s_or_b32 exec_lo, exec_lo, s27
	s_delay_alu instid0(SALU_CYCLE_1) | instskip(NEXT) | instid1(SALU_CYCLE_1)
	s_and_b32 s25, exec_lo, s26
	s_or_b32 s21, s25, s21
	s_and_not1_b32 s22, s22, exec_lo
	s_and_b32 s25, s23, exec_lo
	s_delay_alu instid0(SALU_CYCLE_1)
	s_or_b32 s22, s22, s25
	s_and_not1_b32 exec_lo, exec_lo, s21
	s_cbranch_execz .LBB2_4932
.LBB2_4926:                             ;   Parent Loop BB2_3806 Depth=1
                                        ; =>  This Inner Loop Header: Depth=2
	s_add_i32 s24, s24, 1
                                        ; implicit-def: $sgpr26
	s_delay_alu instid0(SALU_CYCLE_1) | instskip(SKIP_1) | instid1(SALU_CYCLE_1)
	s_cmpk_lg_i32 s24, 0x2710
	s_cselect_b32 s25, -1, 0
	s_and_b32 vcc_lo, exec_lo, s25
	s_cbranch_vccz .LBB2_4930
.LBB2_4927:                             ;   in Loop: Header=BB2_4926 Depth=2
	s_and_not1_b32 s23, s23, exec_lo
	s_and_b32 s27, s26, exec_lo
	s_mov_b32 s26, -1
	s_or_b32 s23, s23, s27
	s_and_saveexec_b32 s27, s25
	s_cbranch_execz .LBB2_4925
; %bb.4928:                             ;   in Loop: Header=BB2_4926 Depth=2
	s_sleep 1
	s_cbranch_execnz .LBB2_5127
; %bb.4929:                             ;   in Loop: Header=BB2_4926 Depth=2
	ds_load_b64 v[11:12], v0
	s_and_not1_b32 s23, s23, exec_lo
	s_waitcnt lgkmcnt(0)
	v_cmp_ge_u64_e32 vcc_lo, v[11:12], v[24:25]
	s_or_not1_b32 s26, vcc_lo, exec_lo
	s_branch .LBB2_4925
.LBB2_4930:                             ;   in Loop: Header=BB2_4926 Depth=2
	s_cbranch_execnz .LBB2_5131
; %bb.4931:                             ;   in Loop: Header=BB2_4926 Depth=2
	ds_load_b64 v[11:12], v0
	s_and_not1_b32 s25, s25, exec_lo
	s_mov_b32 s24, 0
	s_mov_b32 s26, -1
	s_waitcnt lgkmcnt(0)
	flat_load_b32 v11, v[11:12] glc
	s_waitcnt vmcnt(0) lgkmcnt(0)
	buffer_gl1_inv
	buffer_gl0_inv
	v_cmp_eq_u32_e32 vcc_lo, 0, v11
	s_and_b32 s27, vcc_lo, exec_lo
	s_delay_alu instid0(SALU_CYCLE_1)
	s_or_b32 s25, s25, s27
	s_branch .LBB2_4927
.LBB2_4932:                             ;   in Loop: Header=BB2_3806 Depth=1
	s_or_b32 exec_lo, exec_lo, s21
	s_and_saveexec_b32 s21, s22
	s_delay_alu instid0(SALU_CYCLE_1)
	s_xor_b32 s21, exec_lo, s21
	s_cbranch_execz .LBB2_4934
; %bb.4933:                             ;   in Loop: Header=BB2_3806 Depth=1
	ds_store_b32 v0, v84
	s_cbranch_execnz .LBB2_5231
.LBB2_4934:                             ;   in Loop: Header=BB2_3806 Depth=1
	s_or_b32 exec_lo, exec_lo, s20
	;;#ASMSTART
	s_wakeup
	;;#ASMEND
.LBB2_4935:                             ;   in Loop: Header=BB2_3806 Depth=1
	s_or_b32 exec_lo, exec_lo, s19
.LBB2_4936:                             ;   in Loop: Header=BB2_3806 Depth=1
	s_and_not1_saveexec_b32 s18, s18
	s_cbranch_execz .LBB2_4938
; %bb.4937:                             ;   in Loop: Header=BB2_3806 Depth=1
	s_waitcnt lgkmcnt(0)
	s_waitcnt_vscnt null, 0x0
	buffer_gl1_inv
	buffer_gl0_inv
	s_barrier
.LBB2_4938:                             ;   in Loop: Header=BB2_3806 Depth=1
	s_or_b32 exec_lo, exec_lo, s18
.LBB2_4939:                             ;   in Loop: Header=BB2_3806 Depth=1
	s_delay_alu instid0(SALU_CYCLE_1)
	s_or_b32 exec_lo, exec_lo, s10
	s_cbranch_execnz .LBB2_5022
; %bb.4940:                             ;   in Loop: Header=BB2_3806 Depth=1
	ds_load_b32 v11, v0
	v_cmp_lt_i32_e32 vcc_lo, 0, v10
	s_waitcnt lgkmcnt(0)
	v_readfirstlane_b32 s10, v11
	v_and_b32_e32 v11, 16, v30
	s_delay_alu instid0(VALU_DEP_2) | instskip(NEXT) | instid1(VALU_DEP_1)
	s_cmp_eq_u32 s10, 0
	v_cmp_ne_u32_e64 s10, 0, v11
	s_cselect_b32 s18, -1, 0
	s_delay_alu instid0(SALU_CYCLE_1)
	s_and_b32 s18, vcc_lo, s18
	s_delay_alu instid0(VALU_DEP_1) | instid1(SALU_CYCLE_1)
	s_and_b32 s18, s10, s18
	s_delay_alu instid0(SALU_CYCLE_1)
	s_and_saveexec_b32 s10, s18
	s_cbranch_execz .LBB2_4942
; %bb.4941:                             ;   in Loop: Header=BB2_3806 Depth=1
	s_waitcnt_vscnt null, 0x0
	buffer_gl1_inv
	buffer_gl0_inv
.LBB2_4942:                             ;   in Loop: Header=BB2_3806 Depth=1
	s_or_b32 exec_lo, exec_lo, s10
	s_delay_alu instid0(SALU_CYCLE_1)
	s_mov_b32 s10, exec_lo
	v_cmpx_ne_u32_e32 0, v11
	s_cbranch_execz .LBB2_4946
; %bb.4943:                             ;   in Loop: Header=BB2_3806 Depth=1
	s_and_saveexec_b32 s18, s7
	s_cbranch_execz .LBB2_4945
; %bb.4944:                             ;   in Loop: Header=BB2_3806 Depth=1
	s_waitcnt_vscnt null, 0x0
	flat_store_b32 v[28:29], v84
.LBB2_4945:                             ;   in Loop: Header=BB2_3806 Depth=1
	s_or_b32 exec_lo, exec_lo, s18
	v_add_co_u32 v8, vcc_lo, v8, 1
	v_add_co_ci_u32_e32 v9, vcc_lo, 0, v9, vcc_lo
	s_waitcnt lgkmcnt(0)
	s_waitcnt_vscnt null, 0x0
	flat_store_b64 v[18:19], v[8:9]
.LBB2_4946:                             ;   in Loop: Header=BB2_3806 Depth=1
	s_or_b32 exec_lo, exec_lo, s10
.LBB2_4947:                             ;   in Loop: Header=BB2_3806 Depth=1
	s_delay_alu instid0(SALU_CYCLE_1) | instskip(SKIP_2) | instid1(VALU_DEP_1)
	s_or_b32 exec_lo, exec_lo, s11
	v_add_co_u32 v36, vcc_lo, v36, v26
	v_add_co_ci_u32_e32 v37, vcc_lo, 0, v37, vcc_lo
	v_cmp_ge_u64_e32 vcc_lo, v[36:37], v[4:5]
	s_or_b32 s14, vcc_lo, s14
	s_delay_alu instid0(SALU_CYCLE_1)
	s_and_not1_b32 exec_lo, exec_lo, s14
	s_cbranch_execnz .LBB2_3806
; %bb.4948:
	s_or_b32 exec_lo, exec_lo, s14
.LBB2_4949:
	s_delay_alu instid0(SALU_CYCLE_1)
	s_or_b32 exec_lo, exec_lo, s15
.LBB2_4950:
	s_delay_alu instid0(SALU_CYCLE_1) | instskip(SKIP_2) | instid1(VALU_DEP_1)
	s_or_b32 exec_lo, exec_lo, s12
	v_and_b32_e32 v0, 0x800, v30
	s_mov_b32 s0, exec_lo
	v_cmpx_eq_u32_e32 0, v0
	s_cbranch_execz .LBB2_5175
; %bb.4951:
	v_and_b32_e32 v0, 48, v30
	s_mov_b32 s1, exec_lo
	s_delay_alu instid0(VALU_DEP_1)
	v_cmpx_ne_u32_e32 0, v0
	s_cbranch_execz .LBB2_4953
; %bb.4952:
	flat_store_b64 v[16:17], v[8:9] offset:104
.LBB2_4953:
	s_or_b32 exec_lo, exec_lo, s1
	v_and_b32_e32 v0, 0x88, v30
	s_mov_b32 s1, exec_lo
	s_delay_alu instid0(VALU_DEP_1)
	v_cmpx_eq_u32_e32 0x88, v0
	s_cbranch_execz .LBB2_5003
; %bb.4954:
	v_add_nc_u32_e32 v0, -1, v8
	s_mov_b32 s2, 0
                                        ; implicit-def: $sgpr3
	s_delay_alu instid0(VALU_DEP_1) | instskip(NEXT) | instid1(VALU_DEP_1)
	v_and_b32_e32 v0, 7, v0
	v_mad_u64_u32 v[4:5], null, v0, 24, v[6:7]
	v_mov_b32_e32 v0, 0
	s_delay_alu instid0(VALU_DEP_2) | instskip(NEXT) | instid1(VALU_DEP_3)
	v_add_co_u32 v4, vcc_lo, v4, 8
	v_add_co_ci_u32_e32 v5, vcc_lo, 0, v5, vcc_lo
	s_branch .LBB2_4987
.LBB2_4955:
	s_trap 2
	s_sendmsg_rtn_b32 s0, sendmsg(MSG_RTN_GET_DOORBELL)
	s_mov_b32 ttmp2, m0
	s_waitcnt lgkmcnt(0)
	s_and_b32 s0, s0, 0x3ff
	s_delay_alu instid0(SALU_CYCLE_1) | instskip(NEXT) | instid1(SALU_CYCLE_1)
	s_bitset1_b32 s0, 10
	s_mov_b32 m0, s0
	s_sendmsg sendmsg(MSG_INTERRUPT)
	s_mov_b32 m0, ttmp2
.LBB2_4956:                             ; =>This Inner Loop Header: Depth=1
	s_sethalt 5
	s_branch .LBB2_4956
.LBB2_4957:
	v_bfe_u32 v10, v6, 8, 8
	v_not_b32_e32 v8, v8
	s_mov_b32 s1, exec_lo
                                        ; implicit-def: $vgpr26_vgpr27
                                        ; implicit-def: $vgpr4_vgpr5
                                        ; implicit-def: $vgpr14_vgpr15
	s_delay_alu instid0(VALU_DEP_2)
	v_cmpx_ne_u32_e64 v10, v9
	s_xor_b32 s1, exec_lo, s1
	s_cbranch_execz .LBB2_4959
; %bb.4958:
	s_clause 0x1
	flat_load_b128 v[4:7], v[2:3] offset:72
	flat_load_b64 v[10:11], v[2:3] offset:96
	v_add_nc_u32_e32 v8, v9, v8
	s_delay_alu instid0(VALU_DEP_1) | instskip(SKIP_1) | instid1(VALU_DEP_1)
	v_ashrrev_i32_e32 v9, 31, v8
	s_waitcnt vmcnt(1) lgkmcnt(1)
	v_mul_lo_u32 v9, v6, v9
	v_mad_u64_u32 v[14:15], null, v6, v8, v[4:5]
	v_mul_lo_u32 v4, v7, v8
	s_waitcnt vmcnt(0) lgkmcnt(0)
	v_lshrrev_b64 v[26:27], 12, v[10:11]
                                        ; implicit-def: $vgpr10
                                        ; implicit-def: $vgpr8
	s_delay_alu instid0(VALU_DEP_2)
	v_add3_u32 v15, v4, v15, v9
	v_dual_mov_b32 v4, v6 :: v_dual_mov_b32 v5, v7
.LBB2_4959:
	s_and_not1_saveexec_b32 s1, s1
	s_cbranch_execz .LBB2_4961
; %bb.4960:
	s_clause 0x1
	flat_load_b128 v[16:19], v[2:3] offset:72
	flat_load_b128 v[4:7], v[2:3] offset:88
	s_waitcnt vmcnt(0) lgkmcnt(0)
	v_add_nc_u32_e32 v6, v10, v8
	s_delay_alu instid0(VALU_DEP_1) | instskip(NEXT) | instid1(VALU_DEP_1)
	v_ashrrev_i32_e32 v8, 31, v6
	v_mul_lo_u32 v8, v18, v8
	v_mad_u64_u32 v[14:15], null, v18, v6, v[16:17]
	v_mul_lo_u32 v6, v19, v6
	v_lshrrev_b32_e32 v26, 1, v7
	s_delay_alu instid0(VALU_DEP_2)
	v_add3_u32 v15, v6, v15, v8
.LBB2_4961:
	s_or_b32 exec_lo, exec_lo, s1
	s_and_not1_saveexec_b32 s0, s0
	s_cbranch_execnz .LBB2_4962
; %bb.5335:
	s_getpc_b64 s[34:35]
.Lpost_getpc41:
	s_add_u32 s34, s34, (.LBB2_3-.Lpost_getpc41)&4294967295
	s_addc_u32 s35, s35, (.LBB2_3-.Lpost_getpc41)>>32
	s_setpc_b64 s[34:35]
.LBB2_4962:
	s_clause 0x1
	flat_load_b64 v[6:7], v[2:3] offset:96
	flat_load_b64 v[4:5], v[2:3] offset:72
	v_mov_b32_e32 v14, 0
	v_mov_b32_e32 v15, 0
	s_waitcnt vmcnt(1) lgkmcnt(1)
	v_lshlrev_b64 v[26:27], 9, v[6:7]
	s_or_b32 exec_lo, exec_lo, s0
	s_cbranch_execnz .LBB2_4963
; %bb.5337:
	s_getpc_b64 s[34:35]
.Lpost_getpc42:
	s_add_u32 s34, s34, (.LBB2_4-.Lpost_getpc42)&4294967295
	s_addc_u32 s35, s35, (.LBB2_4-.Lpost_getpc42)>>32
	s_setpc_b64 s[34:35]
.LBB2_4963:
	s_trap 2
	s_sendmsg_rtn_b32 s0, sendmsg(MSG_RTN_GET_DOORBELL)
	s_mov_b32 ttmp2, m0
	s_waitcnt lgkmcnt(0)
	s_and_b32 s0, s0, 0x3ff
	s_delay_alu instid0(SALU_CYCLE_1) | instskip(NEXT) | instid1(SALU_CYCLE_1)
	s_bitset1_b32 s0, 10
	s_mov_b32 m0, s0
	s_sendmsg sendmsg(MSG_INTERRUPT)
	s_mov_b32 m0, ttmp2
.LBB2_4964:                             ; =>This Inner Loop Header: Depth=1
	s_sethalt 5
	s_branch .LBB2_4964
.LBB2_4965:
	s_trap 2
	s_sendmsg_rtn_b32 s0, sendmsg(MSG_RTN_GET_DOORBELL)
	s_mov_b32 ttmp2, m0
	s_waitcnt lgkmcnt(0)
	s_and_b32 s0, s0, 0x3ff
	s_delay_alu instid0(SALU_CYCLE_1) | instskip(NEXT) | instid1(SALU_CYCLE_1)
	s_bitset1_b32 s0, 10
	s_mov_b32 m0, s0
	s_sendmsg sendmsg(MSG_INTERRUPT)
	s_mov_b32 m0, ttmp2
.LBB2_4966:                             ; =>This Inner Loop Header: Depth=1
	s_sethalt 5
	s_branch .LBB2_4966
.LBB2_4967:
	s_trap 2
	s_sendmsg_rtn_b32 s0, sendmsg(MSG_RTN_GET_DOORBELL)
	s_mov_b32 ttmp2, m0
	s_waitcnt lgkmcnt(0)
	s_and_b32 s0, s0, 0x3ff
	s_delay_alu instid0(SALU_CYCLE_1) | instskip(NEXT) | instid1(SALU_CYCLE_1)
	s_bitset1_b32 s0, 10
	s_mov_b32 m0, s0
	s_sendmsg sendmsg(MSG_INTERRUPT)
	s_mov_b32 m0, ttmp2
.LBB2_4968:                             ; =>This Inner Loop Header: Depth=1
	s_sethalt 5
	s_branch .LBB2_4968
.LBB2_4969:
	s_trap 2
	s_sendmsg_rtn_b32 s0, sendmsg(MSG_RTN_GET_DOORBELL)
	s_mov_b32 ttmp2, m0
	s_waitcnt lgkmcnt(0)
	s_and_b32 s0, s0, 0x3ff
	s_delay_alu instid0(SALU_CYCLE_1) | instskip(NEXT) | instid1(SALU_CYCLE_1)
	s_bitset1_b32 s0, 10
	s_mov_b32 m0, s0
	s_sendmsg sendmsg(MSG_INTERRUPT)
	s_mov_b32 m0, ttmp2
.LBB2_4970:                             ; =>This Inner Loop Header: Depth=1
	s_sethalt 5
	s_branch .LBB2_4970
.LBB2_4971:
	s_trap 2
	s_sendmsg_rtn_b32 s0, sendmsg(MSG_RTN_GET_DOORBELL)
	s_mov_b32 ttmp2, m0
	s_waitcnt lgkmcnt(0)
	s_and_b32 s0, s0, 0x3ff
	s_delay_alu instid0(SALU_CYCLE_1) | instskip(NEXT) | instid1(SALU_CYCLE_1)
	s_bitset1_b32 s0, 10
	s_mov_b32 m0, s0
	s_sendmsg sendmsg(MSG_INTERRUPT)
	s_mov_b32 m0, ttmp2
.LBB2_4972:                             ; =>This Inner Loop Header: Depth=1
	s_sethalt 5
	s_branch .LBB2_4972
.LBB2_4973:
	s_trap 2
	s_sendmsg_rtn_b32 s0, sendmsg(MSG_RTN_GET_DOORBELL)
	s_mov_b32 ttmp2, m0
	s_waitcnt lgkmcnt(0)
	s_and_b32 s0, s0, 0x3ff
	s_delay_alu instid0(SALU_CYCLE_1) | instskip(NEXT) | instid1(SALU_CYCLE_1)
	s_bitset1_b32 s0, 10
	s_mov_b32 m0, s0
	s_sendmsg sendmsg(MSG_INTERRUPT)
	s_mov_b32 m0, ttmp2
.LBB2_4974:                             ; =>This Inner Loop Header: Depth=1
	s_sethalt 5
	s_branch .LBB2_4974
.LBB2_4975:
	s_trap 2
	s_sendmsg_rtn_b32 s0, sendmsg(MSG_RTN_GET_DOORBELL)
	s_mov_b32 ttmp2, m0
	s_waitcnt lgkmcnt(0)
	s_and_b32 s0, s0, 0x3ff
	s_delay_alu instid0(SALU_CYCLE_1) | instskip(NEXT) | instid1(SALU_CYCLE_1)
	s_bitset1_b32 s0, 10
	s_mov_b32 m0, s0
	s_sendmsg sendmsg(MSG_INTERRUPT)
	s_mov_b32 m0, ttmp2
.LBB2_4976:                             ; =>This Inner Loop Header: Depth=1
	s_sethalt 5
	s_branch .LBB2_4976
.LBB2_4977:
	s_trap 2
	s_sendmsg_rtn_b32 s0, sendmsg(MSG_RTN_GET_DOORBELL)
	s_mov_b32 ttmp2, m0
	s_waitcnt lgkmcnt(0)
	s_and_b32 s0, s0, 0x3ff
	s_delay_alu instid0(SALU_CYCLE_1) | instskip(NEXT) | instid1(SALU_CYCLE_1)
	s_bitset1_b32 s0, 10
	s_mov_b32 m0, s0
	s_sendmsg sendmsg(MSG_INTERRUPT)
	s_mov_b32 m0, ttmp2
.LBB2_4978:                             ; =>This Inner Loop Header: Depth=1
	s_sethalt 5
	s_branch .LBB2_4978
.LBB2_4979:
	s_trap 2
	s_sendmsg_rtn_b32 s0, sendmsg(MSG_RTN_GET_DOORBELL)
	s_mov_b32 ttmp2, m0
	s_waitcnt lgkmcnt(0)
	s_and_b32 s0, s0, 0x3ff
	s_delay_alu instid0(SALU_CYCLE_1) | instskip(NEXT) | instid1(SALU_CYCLE_1)
	s_bitset1_b32 s0, 10
	s_mov_b32 m0, s0
	s_sendmsg sendmsg(MSG_INTERRUPT)
	s_mov_b32 m0, ttmp2
.LBB2_4980:                             ; =>This Inner Loop Header: Depth=1
	s_sethalt 5
	s_branch .LBB2_4980
.LBB2_4981:
	s_trap 2
	s_sendmsg_rtn_b32 s0, sendmsg(MSG_RTN_GET_DOORBELL)
	s_mov_b32 ttmp2, m0
	s_waitcnt lgkmcnt(0)
	s_and_b32 s0, s0, 0x3ff
	s_delay_alu instid0(SALU_CYCLE_1) | instskip(NEXT) | instid1(SALU_CYCLE_1)
	s_bitset1_b32 s0, 10
	s_mov_b32 m0, s0
	s_sendmsg sendmsg(MSG_INTERRUPT)
	s_mov_b32 m0, ttmp2
.LBB2_4982:                             ; =>This Inner Loop Header: Depth=1
	s_sethalt 5
	s_branch .LBB2_4982
.LBB2_4983:                             ;   in Loop: Header=BB2_4987 Depth=1
	s_or_b32 exec_lo, exec_lo, s10
	v_mov_b32_e32 v6, 0
	s_or_not1_b32 s7, s7, exec_lo
.LBB2_4984:                             ;   in Loop: Header=BB2_4987 Depth=1
	s_or_b32 exec_lo, exec_lo, s6
	s_delay_alu instid0(VALU_DEP_1)
	v_mov_b32_e32 v0, v6
	s_and_b32 s6, s7, exec_lo
.LBB2_4985:                             ;   in Loop: Header=BB2_4987 Depth=1
	s_or_b32 exec_lo, exec_lo, s5
	s_xor_b32 s5, s6, -1
	s_and_not1_b32 s3, s3, exec_lo
	s_and_b32 s5, s5, exec_lo
	s_delay_alu instid0(SALU_CYCLE_1)
	s_or_b32 s3, s3, s5
.LBB2_4986:                             ;   in Loop: Header=BB2_4987 Depth=1
	s_or_b32 exec_lo, exec_lo, s4
	s_delay_alu instid0(SALU_CYCLE_1) | instskip(NEXT) | instid1(SALU_CYCLE_1)
	s_and_b32 s4, exec_lo, s3
	s_or_b32 s2, s4, s2
	s_delay_alu instid0(SALU_CYCLE_1)
	s_and_not1_b32 exec_lo, exec_lo, s2
	s_cbranch_execz .LBB2_5002
.LBB2_4987:                             ; =>This Inner Loop Header: Depth=1
	flat_load_b64 v[6:7], v[4:5] glc dlc
	s_waitcnt vmcnt(0)
	s_or_b32 s3, s3, exec_lo
	s_mov_b32 s4, exec_lo
	s_waitcnt lgkmcnt(0)
	v_cmpx_ne_u64_e32 -1, v[6:7]
	s_cbranch_execz .LBB2_4986
; %bb.4988:                             ;   in Loop: Header=BB2_4987 Depth=1
	v_and_b32_e32 v6, 64, v30
	s_mov_b32 s6, 0
	s_mov_b32 s5, exec_lo
	s_delay_alu instid0(VALU_DEP_1)
	v_cmpx_eq_u32_e32 0, v6
	s_cbranch_execz .LBB2_4985
; %bb.4989:                             ;   in Loop: Header=BB2_4987 Depth=1
	v_add_nc_u32_e32 v6, 1, v0
	s_mov_b32 s7, -1
	s_mov_b32 s6, exec_lo
	v_cmpx_lt_i32_e32 0x270e, v0
	s_cbranch_execz .LBB2_4984
; %bb.4990:                             ;   in Loop: Header=BB2_4987 Depth=1
	s_cbranch_execnz .LBB2_4994
; %bb.4991:                             ;   in Loop: Header=BB2_4987 Depth=1
	ds_load_b64 v[6:7], v0
	s_mov_b32 s10, exec_lo
	s_waitcnt lgkmcnt(0)
	s_waitcnt_vscnt null, 0x0
	flat_load_b32 v0, v[6:7] glc
	s_waitcnt vmcnt(0) lgkmcnt(0)
	buffer_gl1_inv
	buffer_gl0_inv
	v_cmpx_ne_u32_e32 0, v0
	s_cbranch_execz .LBB2_4983
; %bb.4992:                             ;   in Loop: Header=BB2_4987 Depth=1
	ds_store_b32 v0, v0
	s_cbranch_execnz .LBB2_5016
; %bb.4993:                             ;   in Loop: Header=BB2_4987 Depth=1
	v_or_b32_e32 v30, 64, v30
	s_xor_b32 s7, exec_lo, -1
	s_branch .LBB2_4983
.LBB2_4994:
	s_trap 2
	s_sendmsg_rtn_b32 s0, sendmsg(MSG_RTN_GET_DOORBELL)
	s_mov_b32 ttmp2, m0
	s_waitcnt lgkmcnt(0)
	s_and_b32 s0, s0, 0x3ff
	s_delay_alu instid0(SALU_CYCLE_1) | instskip(NEXT) | instid1(SALU_CYCLE_1)
	s_bitset1_b32 s0, 10
	s_mov_b32 m0, s0
	s_sendmsg sendmsg(MSG_INTERRUPT)
	s_mov_b32 m0, ttmp2
.LBB2_4995:                             ; =>This Inner Loop Header: Depth=1
	s_sethalt 5
	s_branch .LBB2_4995
.LBB2_4996:
	s_trap 2
	s_sendmsg_rtn_b32 s0, sendmsg(MSG_RTN_GET_DOORBELL)
	s_mov_b32 ttmp2, m0
	s_waitcnt lgkmcnt(0)
	s_and_b32 s0, s0, 0x3ff
	s_delay_alu instid0(SALU_CYCLE_1) | instskip(NEXT) | instid1(SALU_CYCLE_1)
	s_bitset1_b32 s0, 10
	s_mov_b32 m0, s0
	s_sendmsg sendmsg(MSG_INTERRUPT)
	s_mov_b32 m0, ttmp2
.LBB2_4997:                             ; =>This Inner Loop Header: Depth=1
	s_sethalt 5
	s_branch .LBB2_4997
.LBB2_4998:
	s_trap 2
	s_sendmsg_rtn_b32 s0, sendmsg(MSG_RTN_GET_DOORBELL)
	s_mov_b32 ttmp2, m0
	s_waitcnt lgkmcnt(0)
	s_and_b32 s0, s0, 0x3ff
	s_delay_alu instid0(SALU_CYCLE_1) | instskip(NEXT) | instid1(SALU_CYCLE_1)
	s_bitset1_b32 s0, 10
	s_mov_b32 m0, s0
	s_sendmsg sendmsg(MSG_INTERRUPT)
	s_mov_b32 m0, ttmp2
.LBB2_4999:                             ; =>This Inner Loop Header: Depth=1
	s_sethalt 5
	s_branch .LBB2_4999
.LBB2_5000:
	s_trap 2
	s_sendmsg_rtn_b32 s0, sendmsg(MSG_RTN_GET_DOORBELL)
	s_mov_b32 ttmp2, m0
	s_waitcnt lgkmcnt(0)
	s_and_b32 s0, s0, 0x3ff
	s_delay_alu instid0(SALU_CYCLE_1) | instskip(NEXT) | instid1(SALU_CYCLE_1)
	s_bitset1_b32 s0, 10
	s_mov_b32 m0, s0
	s_sendmsg sendmsg(MSG_INTERRUPT)
	s_mov_b32 m0, ttmp2
.LBB2_5001:                             ; =>This Inner Loop Header: Depth=1
	s_sethalt 5
	s_branch .LBB2_5001
.LBB2_5002:
	s_or_b32 exec_lo, exec_lo, s2
.LBB2_5003:
	s_delay_alu instid0(SALU_CYCLE_1) | instskip(SKIP_2) | instid1(VALU_DEP_1)
	s_or_b32 exec_lo, exec_lo, s1
	v_and_b32_e32 v0, 0x2000, v30
	s_mov_b32 s1, exec_lo
	v_cmpx_ne_u32_e32 0, v0
	s_cbranch_execz .LBB2_5006
; %bb.5004:
	s_cbranch_execnz .LBB2_5014
; %bb.5005:
	ds_load_b64 v[4:5], v0
	s_waitcnt lgkmcnt(0)
	flat_store_b64 v[2:3], v[4:5] offset:16
.LBB2_5006:
	s_or_b32 exec_lo, exec_lo, s1
	v_cmp_ne_u32_e32 vcc_lo, 32, v1
	s_and_b32 exec_lo, exec_lo, vcc_lo
	s_cbranch_execz .LBB2_5175
; %bb.5007:
	s_mov_b32 s1, exec_lo
	v_cmpx_ne_u32_e64 v54, v1
	s_xor_b32 s1, exec_lo, s1
	s_cbranch_execz .LBB2_5173
; %bb.5008:
	v_and_b32_e32 v0, 31, v31
	s_mov_b32 s2, exec_lo
	s_delay_alu instid0(VALU_DEP_1)
	v_cmpx_eq_u32_e32 0, v0
	s_cbranch_execz .LBB2_5172
; %bb.5009:
	s_mov_b32 s4, exec_lo
	s_mov_b32 s3, exec_lo
	v_mbcnt_lo_u32_b32 v0, s4, 0
	s_waitcnt lgkmcnt(0)
	s_waitcnt_vscnt null, 0x0
	buffer_gl1_inv
	buffer_gl0_inv
	v_cmpx_eq_u32_e32 0, v0
	s_cbranch_execz .LBB2_5011
; %bb.5010:
	s_bcnt1_i32_b32 s4, s4
	s_delay_alu instid0(SALU_CYCLE_1)
	v_dual_mov_b32 v3, 0 :: v_dual_mov_b32 v2, s4
	ds_add_u64 v0, v[2:3]
	s_cbranch_execnz .LBB2_5059
.LBB2_5011:
	s_or_b32 exec_lo, exec_lo, s3
	s_cbranch_execnz .LBB2_5042
; %bb.5012:
	v_ashrrev_i32_e32 v0, 31, v1
	s_mov_b32 s3, exec_lo
	s_delay_alu instid0(VALU_DEP_1) | instskip(NEXT) | instid1(VALU_DEP_1)
	v_lshrrev_b32_e32 v0, 27, v0
	v_add_nc_u32_e32 v0, v1, v0
	ds_load_b64 v[2:3], v0
	v_ashrrev_i32_e32 v0, 5, v0
	s_delay_alu instid0(VALU_DEP_1) | instskip(SKIP_1) | instid1(VALU_DEP_2)
	v_ashrrev_i32_e32 v1, 31, v0
	v_add_co_u32 v0, vcc_lo, v24, v0
	v_add_co_ci_u32_e32 v1, vcc_lo, v25, v1, vcc_lo
	s_waitcnt lgkmcnt(0)
	s_delay_alu instid0(VALU_DEP_1)
	v_cmpx_lt_u64_e64 v[2:3], v[0:1]
	s_cbranch_execz .LBB2_5171
; %bb.5013:
	s_mov_b32 s4, 0
	s_mov_b32 s7, 0
                                        ; implicit-def: $sgpr5
                                        ; implicit-def: $sgpr6
	s_branch .LBB2_5049
.LBB2_5014:
	s_trap 2
	s_sendmsg_rtn_b32 s0, sendmsg(MSG_RTN_GET_DOORBELL)
	s_mov_b32 ttmp2, m0
	s_waitcnt lgkmcnt(0)
	s_and_b32 s0, s0, 0x3ff
	s_delay_alu instid0(SALU_CYCLE_1) | instskip(NEXT) | instid1(SALU_CYCLE_1)
	s_bitset1_b32 s0, 10
	s_mov_b32 m0, s0
	s_sendmsg sendmsg(MSG_INTERRUPT)
	s_mov_b32 m0, ttmp2
.LBB2_5015:                             ; =>This Inner Loop Header: Depth=1
	s_sethalt 5
	s_branch .LBB2_5015
.LBB2_5016:
	s_trap 2
	s_sendmsg_rtn_b32 s0, sendmsg(MSG_RTN_GET_DOORBELL)
	s_mov_b32 ttmp2, m0
	s_waitcnt lgkmcnt(0)
	s_and_b32 s0, s0, 0x3ff
	s_delay_alu instid0(SALU_CYCLE_1) | instskip(NEXT) | instid1(SALU_CYCLE_1)
	s_bitset1_b32 s0, 10
	s_mov_b32 m0, s0
	s_sendmsg sendmsg(MSG_INTERRUPT)
	s_mov_b32 m0, ttmp2
.LBB2_5017:                             ; =>This Inner Loop Header: Depth=1
	s_sethalt 5
	s_branch .LBB2_5017
.LBB2_5018:
	s_trap 2
	s_sendmsg_rtn_b32 s0, sendmsg(MSG_RTN_GET_DOORBELL)
	s_mov_b32 ttmp2, m0
	s_waitcnt lgkmcnt(0)
	s_and_b32 s0, s0, 0x3ff
	s_delay_alu instid0(SALU_CYCLE_1) | instskip(NEXT) | instid1(SALU_CYCLE_1)
	s_bitset1_b32 s0, 10
	s_mov_b32 m0, s0
	s_sendmsg sendmsg(MSG_INTERRUPT)
	s_mov_b32 m0, ttmp2
.LBB2_5019:                             ; =>This Inner Loop Header: Depth=1
	s_sethalt 5
	s_branch .LBB2_5019
.LBB2_5020:
	s_trap 2
	s_sendmsg_rtn_b32 s0, sendmsg(MSG_RTN_GET_DOORBELL)
	s_mov_b32 ttmp2, m0
	s_waitcnt lgkmcnt(0)
	s_and_b32 s0, s0, 0x3ff
	s_delay_alu instid0(SALU_CYCLE_1) | instskip(NEXT) | instid1(SALU_CYCLE_1)
	s_bitset1_b32 s0, 10
	s_mov_b32 m0, s0
	s_sendmsg sendmsg(MSG_INTERRUPT)
	s_mov_b32 m0, ttmp2
.LBB2_5021:                             ; =>This Inner Loop Header: Depth=1
	s_sethalt 5
	s_branch .LBB2_5021
.LBB2_5022:
	s_trap 2
	s_sendmsg_rtn_b32 s0, sendmsg(MSG_RTN_GET_DOORBELL)
	s_mov_b32 ttmp2, m0
	s_waitcnt lgkmcnt(0)
	s_and_b32 s0, s0, 0x3ff
	s_delay_alu instid0(SALU_CYCLE_1) | instskip(NEXT) | instid1(SALU_CYCLE_1)
	s_bitset1_b32 s0, 10
	s_mov_b32 m0, s0
	s_sendmsg sendmsg(MSG_INTERRUPT)
	s_mov_b32 m0, ttmp2
.LBB2_5023:                             ; =>This Inner Loop Header: Depth=1
	s_sethalt 5
	s_branch .LBB2_5023
.LBB2_5024:
	s_trap 2
	s_sendmsg_rtn_b32 s0, sendmsg(MSG_RTN_GET_DOORBELL)
	s_mov_b32 ttmp2, m0
	s_waitcnt lgkmcnt(0)
	s_and_b32 s0, s0, 0x3ff
	s_delay_alu instid0(SALU_CYCLE_1) | instskip(NEXT) | instid1(SALU_CYCLE_1)
	s_bitset1_b32 s0, 10
	s_mov_b32 m0, s0
	s_sendmsg sendmsg(MSG_INTERRUPT)
	s_mov_b32 m0, ttmp2
.LBB2_5025:                             ; =>This Inner Loop Header: Depth=1
	s_sethalt 5
	s_branch .LBB2_5025
.LBB2_5026:
	s_trap 2
	s_sendmsg_rtn_b32 s0, sendmsg(MSG_RTN_GET_DOORBELL)
	s_mov_b32 ttmp2, m0
	s_waitcnt lgkmcnt(0)
	s_and_b32 s0, s0, 0x3ff
	s_delay_alu instid0(SALU_CYCLE_1) | instskip(NEXT) | instid1(SALU_CYCLE_1)
	s_bitset1_b32 s0, 10
	s_mov_b32 m0, s0
	s_sendmsg sendmsg(MSG_INTERRUPT)
	s_mov_b32 m0, ttmp2
.LBB2_5027:                             ; =>This Inner Loop Header: Depth=1
	s_sethalt 5
	s_branch .LBB2_5027
.LBB2_5028:
	s_trap 2
	s_sendmsg_rtn_b32 s0, sendmsg(MSG_RTN_GET_DOORBELL)
	s_mov_b32 ttmp2, m0
	s_waitcnt lgkmcnt(0)
	s_and_b32 s0, s0, 0x3ff
	s_delay_alu instid0(SALU_CYCLE_1) | instskip(NEXT) | instid1(SALU_CYCLE_1)
	s_bitset1_b32 s0, 10
	s_mov_b32 m0, s0
	s_sendmsg sendmsg(MSG_INTERRUPT)
	s_mov_b32 m0, ttmp2
.LBB2_5029:                             ; =>This Inner Loop Header: Depth=1
	s_sethalt 5
	s_branch .LBB2_5029
.LBB2_5030:
	s_trap 2
	s_sendmsg_rtn_b32 s0, sendmsg(MSG_RTN_GET_DOORBELL)
	s_mov_b32 ttmp2, m0
	s_waitcnt lgkmcnt(0)
	s_and_b32 s0, s0, 0x3ff
	s_delay_alu instid0(SALU_CYCLE_1) | instskip(NEXT) | instid1(SALU_CYCLE_1)
	s_bitset1_b32 s0, 10
	s_mov_b32 m0, s0
	s_sendmsg sendmsg(MSG_INTERRUPT)
	s_mov_b32 m0, ttmp2
.LBB2_5031:                             ; =>This Inner Loop Header: Depth=1
	s_sethalt 5
	s_branch .LBB2_5031
.LBB2_5032:
	s_trap 2
	s_sendmsg_rtn_b32 s0, sendmsg(MSG_RTN_GET_DOORBELL)
	s_mov_b32 ttmp2, m0
	s_waitcnt lgkmcnt(0)
	s_and_b32 s0, s0, 0x3ff
	s_delay_alu instid0(SALU_CYCLE_1) | instskip(NEXT) | instid1(SALU_CYCLE_1)
	s_bitset1_b32 s0, 10
	s_mov_b32 m0, s0
	s_sendmsg sendmsg(MSG_INTERRUPT)
	s_mov_b32 m0, ttmp2
.LBB2_5033:                             ; =>This Inner Loop Header: Depth=1
	s_sethalt 5
	s_branch .LBB2_5033
.LBB2_5034:
	s_trap 2
	s_sendmsg_rtn_b32 s0, sendmsg(MSG_RTN_GET_DOORBELL)
	s_mov_b32 ttmp2, m0
	s_waitcnt lgkmcnt(0)
	s_and_b32 s0, s0, 0x3ff
	s_delay_alu instid0(SALU_CYCLE_1) | instskip(NEXT) | instid1(SALU_CYCLE_1)
	s_bitset1_b32 s0, 10
	s_mov_b32 m0, s0
	s_sendmsg sendmsg(MSG_INTERRUPT)
	s_mov_b32 m0, ttmp2
.LBB2_5035:                             ; =>This Inner Loop Header: Depth=1
	s_sethalt 5
	s_branch .LBB2_5035
.LBB2_5036:
	s_trap 2
	s_sendmsg_rtn_b32 s0, sendmsg(MSG_RTN_GET_DOORBELL)
	s_mov_b32 ttmp2, m0
	s_waitcnt lgkmcnt(0)
	s_and_b32 s0, s0, 0x3ff
	s_delay_alu instid0(SALU_CYCLE_1) | instskip(NEXT) | instid1(SALU_CYCLE_1)
	s_bitset1_b32 s0, 10
	s_mov_b32 m0, s0
	s_sendmsg sendmsg(MSG_INTERRUPT)
	s_mov_b32 m0, ttmp2
.LBB2_5037:                             ; =>This Inner Loop Header: Depth=1
	s_sethalt 5
	s_branch .LBB2_5037
.LBB2_5038:
	s_trap 2
	s_sendmsg_rtn_b32 s0, sendmsg(MSG_RTN_GET_DOORBELL)
	s_mov_b32 ttmp2, m0
	s_waitcnt lgkmcnt(0)
	s_and_b32 s0, s0, 0x3ff
	s_delay_alu instid0(SALU_CYCLE_1) | instskip(NEXT) | instid1(SALU_CYCLE_1)
	s_bitset1_b32 s0, 10
	s_mov_b32 m0, s0
	s_sendmsg sendmsg(MSG_INTERRUPT)
	s_mov_b32 m0, ttmp2
.LBB2_5039:                             ; =>This Inner Loop Header: Depth=1
	s_sethalt 5
	s_branch .LBB2_5039
.LBB2_5040:
	s_trap 2
	s_sendmsg_rtn_b32 s0, sendmsg(MSG_RTN_GET_DOORBELL)
	s_mov_b32 ttmp2, m0
	s_waitcnt lgkmcnt(0)
	s_and_b32 s0, s0, 0x3ff
	s_delay_alu instid0(SALU_CYCLE_1) | instskip(NEXT) | instid1(SALU_CYCLE_1)
	s_bitset1_b32 s0, 10
	s_mov_b32 m0, s0
	s_sendmsg sendmsg(MSG_INTERRUPT)
	s_mov_b32 m0, ttmp2
.LBB2_5041:                             ; =>This Inner Loop Header: Depth=1
	s_sethalt 5
	s_branch .LBB2_5041
.LBB2_5042:
	s_trap 2
	s_sendmsg_rtn_b32 s0, sendmsg(MSG_RTN_GET_DOORBELL)
	s_mov_b32 ttmp2, m0
	s_waitcnt lgkmcnt(0)
	s_and_b32 s0, s0, 0x3ff
	s_delay_alu instid0(SALU_CYCLE_1) | instskip(NEXT) | instid1(SALU_CYCLE_1)
	s_bitset1_b32 s0, 10
	s_mov_b32 m0, s0
	s_sendmsg sendmsg(MSG_INTERRUPT)
	s_mov_b32 m0, ttmp2
.LBB2_5043:                             ; =>This Inner Loop Header: Depth=1
	s_sethalt 5
	s_branch .LBB2_5043
.LBB2_5044:
	s_trap 2
	s_sendmsg_rtn_b32 s0, sendmsg(MSG_RTN_GET_DOORBELL)
	s_mov_b32 ttmp2, m0
	s_waitcnt lgkmcnt(0)
	s_and_b32 s0, s0, 0x3ff
	s_delay_alu instid0(SALU_CYCLE_1) | instskip(NEXT) | instid1(SALU_CYCLE_1)
	s_bitset1_b32 s0, 10
	s_mov_b32 m0, s0
	s_sendmsg sendmsg(MSG_INTERRUPT)
	s_mov_b32 m0, ttmp2
.LBB2_5045:                             ; =>This Inner Loop Header: Depth=1
	s_sethalt 5
	s_branch .LBB2_5045
.LBB2_5046:
	s_trap 2
	s_sendmsg_rtn_b32 s0, sendmsg(MSG_RTN_GET_DOORBELL)
	s_mov_b32 ttmp2, m0
	s_waitcnt lgkmcnt(0)
	s_and_b32 s0, s0, 0x3ff
	s_delay_alu instid0(SALU_CYCLE_1) | instskip(NEXT) | instid1(SALU_CYCLE_1)
	s_bitset1_b32 s0, 10
	s_mov_b32 m0, s0
	s_sendmsg sendmsg(MSG_INTERRUPT)
	s_mov_b32 m0, ttmp2
.LBB2_5047:                             ; =>This Inner Loop Header: Depth=1
	s_sethalt 5
	s_branch .LBB2_5047
.LBB2_5048:                             ;   in Loop: Header=BB2_5049 Depth=1
	s_or_b32 exec_lo, exec_lo, s12
	s_delay_alu instid0(SALU_CYCLE_1) | instskip(NEXT) | instid1(SALU_CYCLE_1)
	s_and_b32 s10, exec_lo, s11
	s_or_b32 s4, s10, s4
	s_and_not1_b32 s5, s5, exec_lo
	s_and_b32 s10, s6, exec_lo
	s_delay_alu instid0(SALU_CYCLE_1)
	s_or_b32 s5, s5, s10
	s_and_not1_b32 exec_lo, exec_lo, s4
	s_cbranch_execz .LBB2_5169
.LBB2_5049:                             ; =>This Inner Loop Header: Depth=1
	s_add_i32 s7, s7, 1
                                        ; implicit-def: $sgpr11
	s_delay_alu instid0(SALU_CYCLE_1) | instskip(SKIP_1) | instid1(SALU_CYCLE_1)
	s_cmpk_lg_i32 s7, 0x2710
	s_cselect_b32 s10, -1, 0
	s_and_b32 vcc_lo, exec_lo, s10
	s_cbranch_vccz .LBB2_5053
.LBB2_5050:                             ;   in Loop: Header=BB2_5049 Depth=1
	s_and_not1_b32 s6, s6, exec_lo
	s_and_b32 s12, s11, exec_lo
	s_mov_b32 s11, -1
	s_or_b32 s6, s6, s12
	s_and_saveexec_b32 s12, s10
	s_cbranch_execz .LBB2_5048
; %bb.5051:                             ;   in Loop: Header=BB2_5049 Depth=1
	s_sleep 1
	s_cbranch_execnz .LBB2_5075
; %bb.5052:                             ;   in Loop: Header=BB2_5049 Depth=1
	ds_load_b64 v[2:3], v0
	s_and_not1_b32 s6, s6, exec_lo
	s_waitcnt lgkmcnt(0)
	v_cmp_ge_u64_e32 vcc_lo, v[2:3], v[0:1]
	s_or_not1_b32 s11, vcc_lo, exec_lo
	s_branch .LBB2_5048
.LBB2_5053:                             ;   in Loop: Header=BB2_5049 Depth=1
	s_cbranch_execnz .LBB2_5083
; %bb.5054:                             ;   in Loop: Header=BB2_5049 Depth=1
	ds_load_b64 v[2:3], v0
	s_and_not1_b32 s10, s10, exec_lo
	s_mov_b32 s7, 0
	s_mov_b32 s11, -1
	s_waitcnt lgkmcnt(0)
	flat_load_b32 v2, v[2:3] glc
	s_waitcnt vmcnt(0) lgkmcnt(0)
	buffer_gl1_inv
	buffer_gl0_inv
	v_cmp_eq_u32_e32 vcc_lo, 0, v2
	s_and_b32 s12, vcc_lo, exec_lo
	s_delay_alu instid0(SALU_CYCLE_1)
	s_or_b32 s10, s10, s12
	s_branch .LBB2_5050
.LBB2_5055:
	s_trap 2
	s_sendmsg_rtn_b32 s0, sendmsg(MSG_RTN_GET_DOORBELL)
	s_mov_b32 ttmp2, m0
	s_waitcnt lgkmcnt(0)
	s_and_b32 s0, s0, 0x3ff
	s_delay_alu instid0(SALU_CYCLE_1) | instskip(NEXT) | instid1(SALU_CYCLE_1)
	s_bitset1_b32 s0, 10
	s_mov_b32 m0, s0
	s_sendmsg sendmsg(MSG_INTERRUPT)
	s_mov_b32 m0, ttmp2
.LBB2_5056:                             ; =>This Inner Loop Header: Depth=1
	s_sethalt 5
	s_branch .LBB2_5056
.LBB2_5057:
	s_trap 2
	s_sendmsg_rtn_b32 s0, sendmsg(MSG_RTN_GET_DOORBELL)
	s_mov_b32 ttmp2, m0
	s_waitcnt lgkmcnt(0)
	s_and_b32 s0, s0, 0x3ff
	s_delay_alu instid0(SALU_CYCLE_1) | instskip(NEXT) | instid1(SALU_CYCLE_1)
	s_bitset1_b32 s0, 10
	s_mov_b32 m0, s0
	s_sendmsg sendmsg(MSG_INTERRUPT)
	s_mov_b32 m0, ttmp2
.LBB2_5058:                             ; =>This Inner Loop Header: Depth=1
	s_sethalt 5
	s_branch .LBB2_5058
.LBB2_5059:
	s_trap 2
	s_sendmsg_rtn_b32 s0, sendmsg(MSG_RTN_GET_DOORBELL)
	s_mov_b32 ttmp2, m0
	s_waitcnt lgkmcnt(0)
	s_and_b32 s0, s0, 0x3ff
	s_delay_alu instid0(SALU_CYCLE_1) | instskip(NEXT) | instid1(SALU_CYCLE_1)
	s_bitset1_b32 s0, 10
	s_mov_b32 m0, s0
	s_sendmsg sendmsg(MSG_INTERRUPT)
	s_mov_b32 m0, ttmp2
.LBB2_5060:                             ; =>This Inner Loop Header: Depth=1
	s_sethalt 5
	s_branch .LBB2_5060
.LBB2_5061:
	s_trap 2
	s_sendmsg_rtn_b32 s0, sendmsg(MSG_RTN_GET_DOORBELL)
	s_mov_b32 ttmp2, m0
	s_waitcnt lgkmcnt(0)
	s_and_b32 s0, s0, 0x3ff
	s_delay_alu instid0(SALU_CYCLE_1) | instskip(NEXT) | instid1(SALU_CYCLE_1)
	s_bitset1_b32 s0, 10
	s_mov_b32 m0, s0
	s_sendmsg sendmsg(MSG_INTERRUPT)
	s_mov_b32 m0, ttmp2
.LBB2_5062:                             ; =>This Inner Loop Header: Depth=1
	s_sethalt 5
	s_branch .LBB2_5062
.LBB2_5063:
	s_trap 2
	s_sendmsg_rtn_b32 s0, sendmsg(MSG_RTN_GET_DOORBELL)
	s_mov_b32 ttmp2, m0
	s_waitcnt lgkmcnt(0)
	s_and_b32 s0, s0, 0x3ff
	s_delay_alu instid0(SALU_CYCLE_1) | instskip(NEXT) | instid1(SALU_CYCLE_1)
	s_bitset1_b32 s0, 10
	s_mov_b32 m0, s0
	s_sendmsg sendmsg(MSG_INTERRUPT)
	s_mov_b32 m0, ttmp2
.LBB2_5064:                             ; =>This Inner Loop Header: Depth=1
	s_sethalt 5
	s_branch .LBB2_5064
.LBB2_5065:
	s_trap 2
	s_sendmsg_rtn_b32 s0, sendmsg(MSG_RTN_GET_DOORBELL)
	s_mov_b32 ttmp2, m0
	s_waitcnt lgkmcnt(0)
	s_and_b32 s0, s0, 0x3ff
	s_delay_alu instid0(SALU_CYCLE_1) | instskip(NEXT) | instid1(SALU_CYCLE_1)
	s_bitset1_b32 s0, 10
	s_mov_b32 m0, s0
	s_sendmsg sendmsg(MSG_INTERRUPT)
	s_mov_b32 m0, ttmp2
.LBB2_5066:                             ; =>This Inner Loop Header: Depth=1
	s_sethalt 5
	s_branch .LBB2_5066
.LBB2_5067:
	s_trap 2
	s_sendmsg_rtn_b32 s0, sendmsg(MSG_RTN_GET_DOORBELL)
	s_mov_b32 ttmp2, m0
	s_waitcnt lgkmcnt(0)
	s_and_b32 s0, s0, 0x3ff
	s_delay_alu instid0(SALU_CYCLE_1) | instskip(NEXT) | instid1(SALU_CYCLE_1)
	s_bitset1_b32 s0, 10
	s_mov_b32 m0, s0
	s_sendmsg sendmsg(MSG_INTERRUPT)
	s_mov_b32 m0, ttmp2
.LBB2_5068:                             ; =>This Inner Loop Header: Depth=1
	s_sethalt 5
	s_branch .LBB2_5068
.LBB2_5069:
	s_trap 2
	s_sendmsg_rtn_b32 s0, sendmsg(MSG_RTN_GET_DOORBELL)
	s_mov_b32 ttmp2, m0
	s_waitcnt lgkmcnt(0)
	s_and_b32 s0, s0, 0x3ff
	s_delay_alu instid0(SALU_CYCLE_1) | instskip(NEXT) | instid1(SALU_CYCLE_1)
	s_bitset1_b32 s0, 10
	s_mov_b32 m0, s0
	s_sendmsg sendmsg(MSG_INTERRUPT)
	s_mov_b32 m0, ttmp2
.LBB2_5070:                             ; =>This Inner Loop Header: Depth=1
	s_sethalt 5
	s_branch .LBB2_5070
.LBB2_5071:
	s_trap 2
	s_sendmsg_rtn_b32 s0, sendmsg(MSG_RTN_GET_DOORBELL)
	s_mov_b32 ttmp2, m0
	s_waitcnt lgkmcnt(0)
	s_and_b32 s0, s0, 0x3ff
	s_delay_alu instid0(SALU_CYCLE_1) | instskip(NEXT) | instid1(SALU_CYCLE_1)
	s_bitset1_b32 s0, 10
	s_mov_b32 m0, s0
	s_sendmsg sendmsg(MSG_INTERRUPT)
	s_mov_b32 m0, ttmp2
.LBB2_5072:                             ; =>This Inner Loop Header: Depth=1
	s_sethalt 5
	s_branch .LBB2_5072
.LBB2_5073:
	s_trap 2
	s_sendmsg_rtn_b32 s0, sendmsg(MSG_RTN_GET_DOORBELL)
	s_mov_b32 ttmp2, m0
	s_waitcnt lgkmcnt(0)
	s_and_b32 s0, s0, 0x3ff
	s_delay_alu instid0(SALU_CYCLE_1) | instskip(NEXT) | instid1(SALU_CYCLE_1)
	s_bitset1_b32 s0, 10
	s_mov_b32 m0, s0
	s_sendmsg sendmsg(MSG_INTERRUPT)
	s_mov_b32 m0, ttmp2
.LBB2_5074:                             ; =>This Inner Loop Header: Depth=1
	s_sethalt 5
	s_branch .LBB2_5074
.LBB2_5075:
	s_trap 2
	s_sendmsg_rtn_b32 s0, sendmsg(MSG_RTN_GET_DOORBELL)
	s_mov_b32 ttmp2, m0
	s_waitcnt lgkmcnt(0)
	s_and_b32 s0, s0, 0x3ff
	s_delay_alu instid0(SALU_CYCLE_1) | instskip(NEXT) | instid1(SALU_CYCLE_1)
	s_bitset1_b32 s0, 10
	s_mov_b32 m0, s0
	s_sendmsg sendmsg(MSG_INTERRUPT)
	s_mov_b32 m0, ttmp2
.LBB2_5076:                             ; =>This Inner Loop Header: Depth=1
	s_sethalt 5
	s_branch .LBB2_5076
.LBB2_5077:
	s_trap 2
	s_sendmsg_rtn_b32 s0, sendmsg(MSG_RTN_GET_DOORBELL)
	s_mov_b32 ttmp2, m0
	s_waitcnt lgkmcnt(0)
	s_and_b32 s0, s0, 0x3ff
	s_delay_alu instid0(SALU_CYCLE_1) | instskip(NEXT) | instid1(SALU_CYCLE_1)
	s_bitset1_b32 s0, 10
	s_mov_b32 m0, s0
	s_sendmsg sendmsg(MSG_INTERRUPT)
	s_mov_b32 m0, ttmp2
.LBB2_5078:                             ; =>This Inner Loop Header: Depth=1
	s_sethalt 5
	s_branch .LBB2_5078
.LBB2_5079:
	s_trap 2
	s_sendmsg_rtn_b32 s0, sendmsg(MSG_RTN_GET_DOORBELL)
	s_mov_b32 ttmp2, m0
	s_waitcnt lgkmcnt(0)
	s_and_b32 s0, s0, 0x3ff
	s_delay_alu instid0(SALU_CYCLE_1) | instskip(NEXT) | instid1(SALU_CYCLE_1)
	s_bitset1_b32 s0, 10
	s_mov_b32 m0, s0
	s_sendmsg sendmsg(MSG_INTERRUPT)
	s_mov_b32 m0, ttmp2
.LBB2_5080:                             ; =>This Inner Loop Header: Depth=1
	s_sethalt 5
	s_branch .LBB2_5080
.LBB2_5081:
	s_trap 2
	s_sendmsg_rtn_b32 s0, sendmsg(MSG_RTN_GET_DOORBELL)
	s_mov_b32 ttmp2, m0
	s_waitcnt lgkmcnt(0)
	s_and_b32 s0, s0, 0x3ff
	s_delay_alu instid0(SALU_CYCLE_1) | instskip(NEXT) | instid1(SALU_CYCLE_1)
	s_bitset1_b32 s0, 10
	s_mov_b32 m0, s0
	s_sendmsg sendmsg(MSG_INTERRUPT)
	s_mov_b32 m0, ttmp2
.LBB2_5082:                             ; =>This Inner Loop Header: Depth=1
	s_sethalt 5
	s_branch .LBB2_5082
.LBB2_5083:
	s_trap 2
	s_sendmsg_rtn_b32 s0, sendmsg(MSG_RTN_GET_DOORBELL)
	s_mov_b32 ttmp2, m0
	s_waitcnt lgkmcnt(0)
	s_and_b32 s0, s0, 0x3ff
	s_delay_alu instid0(SALU_CYCLE_1) | instskip(NEXT) | instid1(SALU_CYCLE_1)
	s_bitset1_b32 s0, 10
	s_mov_b32 m0, s0
	s_sendmsg sendmsg(MSG_INTERRUPT)
	s_mov_b32 m0, ttmp2
.LBB2_5084:                             ; =>This Inner Loop Header: Depth=1
	s_sethalt 5
	s_branch .LBB2_5084
.LBB2_5085:
	s_trap 2
	s_sendmsg_rtn_b32 s0, sendmsg(MSG_RTN_GET_DOORBELL)
	s_mov_b32 ttmp2, m0
	s_waitcnt lgkmcnt(0)
	s_and_b32 s0, s0, 0x3ff
	s_delay_alu instid0(SALU_CYCLE_1) | instskip(NEXT) | instid1(SALU_CYCLE_1)
	s_bitset1_b32 s0, 10
	s_mov_b32 m0, s0
	s_sendmsg sendmsg(MSG_INTERRUPT)
	s_mov_b32 m0, ttmp2
.LBB2_5086:                             ; =>This Inner Loop Header: Depth=1
	s_sethalt 5
	s_branch .LBB2_5086
.LBB2_5087:
	s_trap 2
	s_sendmsg_rtn_b32 s0, sendmsg(MSG_RTN_GET_DOORBELL)
	s_mov_b32 ttmp2, m0
	s_waitcnt lgkmcnt(0)
	s_and_b32 s0, s0, 0x3ff
	s_delay_alu instid0(SALU_CYCLE_1) | instskip(NEXT) | instid1(SALU_CYCLE_1)
	s_bitset1_b32 s0, 10
	s_mov_b32 m0, s0
	s_sendmsg sendmsg(MSG_INTERRUPT)
	s_mov_b32 m0, ttmp2
.LBB2_5088:                             ; =>This Inner Loop Header: Depth=1
	s_sethalt 5
	s_branch .LBB2_5088
.LBB2_5089:
	s_trap 2
	s_sendmsg_rtn_b32 s0, sendmsg(MSG_RTN_GET_DOORBELL)
	s_mov_b32 ttmp2, m0
	s_waitcnt lgkmcnt(0)
	s_and_b32 s0, s0, 0x3ff
	s_delay_alu instid0(SALU_CYCLE_1) | instskip(NEXT) | instid1(SALU_CYCLE_1)
	s_bitset1_b32 s0, 10
	s_mov_b32 m0, s0
	s_sendmsg sendmsg(MSG_INTERRUPT)
	s_mov_b32 m0, ttmp2
.LBB2_5090:                             ; =>This Inner Loop Header: Depth=1
	s_sethalt 5
	s_branch .LBB2_5090
.LBB2_5091:
	s_trap 2
	s_sendmsg_rtn_b32 s0, sendmsg(MSG_RTN_GET_DOORBELL)
	s_mov_b32 ttmp2, m0
	s_waitcnt lgkmcnt(0)
	s_and_b32 s0, s0, 0x3ff
	s_delay_alu instid0(SALU_CYCLE_1) | instskip(NEXT) | instid1(SALU_CYCLE_1)
	s_bitset1_b32 s0, 10
	s_mov_b32 m0, s0
	s_sendmsg sendmsg(MSG_INTERRUPT)
	s_mov_b32 m0, ttmp2
.LBB2_5092:                             ; =>This Inner Loop Header: Depth=1
	s_sethalt 5
	s_branch .LBB2_5092
.LBB2_5093:
	s_trap 2
	s_sendmsg_rtn_b32 s0, sendmsg(MSG_RTN_GET_DOORBELL)
	s_mov_b32 ttmp2, m0
	s_waitcnt lgkmcnt(0)
	s_and_b32 s0, s0, 0x3ff
	s_delay_alu instid0(SALU_CYCLE_1) | instskip(NEXT) | instid1(SALU_CYCLE_1)
	s_bitset1_b32 s0, 10
	s_mov_b32 m0, s0
	s_sendmsg sendmsg(MSG_INTERRUPT)
	s_mov_b32 m0, ttmp2
.LBB2_5094:                             ; =>This Inner Loop Header: Depth=1
	s_sethalt 5
	s_branch .LBB2_5094
.LBB2_5095:
	s_trap 2
	s_sendmsg_rtn_b32 s0, sendmsg(MSG_RTN_GET_DOORBELL)
	s_mov_b32 ttmp2, m0
	s_waitcnt lgkmcnt(0)
	s_and_b32 s0, s0, 0x3ff
	s_delay_alu instid0(SALU_CYCLE_1) | instskip(NEXT) | instid1(SALU_CYCLE_1)
	s_bitset1_b32 s0, 10
	s_mov_b32 m0, s0
	s_sendmsg sendmsg(MSG_INTERRUPT)
	s_mov_b32 m0, ttmp2
.LBB2_5096:                             ; =>This Inner Loop Header: Depth=1
	s_sethalt 5
	s_branch .LBB2_5096
.LBB2_5097:
	s_trap 2
	s_sendmsg_rtn_b32 s0, sendmsg(MSG_RTN_GET_DOORBELL)
	s_mov_b32 ttmp2, m0
	s_waitcnt lgkmcnt(0)
	s_and_b32 s0, s0, 0x3ff
	s_delay_alu instid0(SALU_CYCLE_1) | instskip(NEXT) | instid1(SALU_CYCLE_1)
	s_bitset1_b32 s0, 10
	s_mov_b32 m0, s0
	s_sendmsg sendmsg(MSG_INTERRUPT)
	s_mov_b32 m0, ttmp2
.LBB2_5098:                             ; =>This Inner Loop Header: Depth=1
	s_sethalt 5
	s_branch .LBB2_5098
.LBB2_5099:
	s_trap 2
	s_sendmsg_rtn_b32 s0, sendmsg(MSG_RTN_GET_DOORBELL)
	s_mov_b32 ttmp2, m0
	s_waitcnt lgkmcnt(0)
	s_and_b32 s0, s0, 0x3ff
	s_delay_alu instid0(SALU_CYCLE_1) | instskip(NEXT) | instid1(SALU_CYCLE_1)
	s_bitset1_b32 s0, 10
	s_mov_b32 m0, s0
	s_sendmsg sendmsg(MSG_INTERRUPT)
	s_mov_b32 m0, ttmp2
.LBB2_5100:                             ; =>This Inner Loop Header: Depth=1
	s_sethalt 5
	s_branch .LBB2_5100
.LBB2_5101:
	s_trap 2
	s_sendmsg_rtn_b32 s0, sendmsg(MSG_RTN_GET_DOORBELL)
	s_mov_b32 ttmp2, m0
	s_waitcnt lgkmcnt(0)
	s_and_b32 s0, s0, 0x3ff
	s_delay_alu instid0(SALU_CYCLE_1) | instskip(NEXT) | instid1(SALU_CYCLE_1)
	s_bitset1_b32 s0, 10
	s_mov_b32 m0, s0
	s_sendmsg sendmsg(MSG_INTERRUPT)
	s_mov_b32 m0, ttmp2
.LBB2_5102:                             ; =>This Inner Loop Header: Depth=1
	s_sethalt 5
	s_branch .LBB2_5102
.LBB2_5103:
	s_trap 2
	s_sendmsg_rtn_b32 s0, sendmsg(MSG_RTN_GET_DOORBELL)
	s_mov_b32 ttmp2, m0
	s_waitcnt lgkmcnt(0)
	s_and_b32 s0, s0, 0x3ff
	s_delay_alu instid0(SALU_CYCLE_1) | instskip(NEXT) | instid1(SALU_CYCLE_1)
	s_bitset1_b32 s0, 10
	s_mov_b32 m0, s0
	s_sendmsg sendmsg(MSG_INTERRUPT)
	s_mov_b32 m0, ttmp2
.LBB2_5104:                             ; =>This Inner Loop Header: Depth=1
	s_sethalt 5
	s_branch .LBB2_5104
.LBB2_5105:
	s_trap 2
	s_sendmsg_rtn_b32 s0, sendmsg(MSG_RTN_GET_DOORBELL)
	s_mov_b32 ttmp2, m0
	s_waitcnt lgkmcnt(0)
	s_and_b32 s0, s0, 0x3ff
	s_delay_alu instid0(SALU_CYCLE_1) | instskip(NEXT) | instid1(SALU_CYCLE_1)
	s_bitset1_b32 s0, 10
	s_mov_b32 m0, s0
	s_sendmsg sendmsg(MSG_INTERRUPT)
	s_mov_b32 m0, ttmp2
.LBB2_5106:                             ; =>This Inner Loop Header: Depth=1
	s_sethalt 5
	s_branch .LBB2_5106
.LBB2_5107:
	s_trap 2
	s_sendmsg_rtn_b32 s0, sendmsg(MSG_RTN_GET_DOORBELL)
	s_mov_b32 ttmp2, m0
	s_waitcnt lgkmcnt(0)
	s_and_b32 s0, s0, 0x3ff
	s_delay_alu instid0(SALU_CYCLE_1) | instskip(NEXT) | instid1(SALU_CYCLE_1)
	s_bitset1_b32 s0, 10
	s_mov_b32 m0, s0
	s_sendmsg sendmsg(MSG_INTERRUPT)
	s_mov_b32 m0, ttmp2
.LBB2_5108:                             ; =>This Inner Loop Header: Depth=1
	s_sethalt 5
	s_branch .LBB2_5108
.LBB2_5109:
	s_trap 2
	s_sendmsg_rtn_b32 s0, sendmsg(MSG_RTN_GET_DOORBELL)
	s_mov_b32 ttmp2, m0
	s_waitcnt lgkmcnt(0)
	s_and_b32 s0, s0, 0x3ff
	s_delay_alu instid0(SALU_CYCLE_1) | instskip(NEXT) | instid1(SALU_CYCLE_1)
	s_bitset1_b32 s0, 10
	s_mov_b32 m0, s0
	s_sendmsg sendmsg(MSG_INTERRUPT)
	s_mov_b32 m0, ttmp2
.LBB2_5110:                             ; =>This Inner Loop Header: Depth=1
	s_sethalt 5
	s_branch .LBB2_5110
.LBB2_5111:
	s_trap 2
	s_sendmsg_rtn_b32 s0, sendmsg(MSG_RTN_GET_DOORBELL)
	s_mov_b32 ttmp2, m0
	s_waitcnt lgkmcnt(0)
	s_and_b32 s0, s0, 0x3ff
	s_delay_alu instid0(SALU_CYCLE_1) | instskip(NEXT) | instid1(SALU_CYCLE_1)
	s_bitset1_b32 s0, 10
	s_mov_b32 m0, s0
	s_sendmsg sendmsg(MSG_INTERRUPT)
	s_mov_b32 m0, ttmp2
.LBB2_5112:                             ; =>This Inner Loop Header: Depth=1
	s_sethalt 5
	s_branch .LBB2_5112
.LBB2_5113:
	s_trap 2
	s_sendmsg_rtn_b32 s0, sendmsg(MSG_RTN_GET_DOORBELL)
	s_mov_b32 ttmp2, m0
	s_waitcnt lgkmcnt(0)
	s_and_b32 s0, s0, 0x3ff
	s_delay_alu instid0(SALU_CYCLE_1) | instskip(NEXT) | instid1(SALU_CYCLE_1)
	s_bitset1_b32 s0, 10
	s_mov_b32 m0, s0
	s_sendmsg sendmsg(MSG_INTERRUPT)
	s_mov_b32 m0, ttmp2
.LBB2_5114:                             ; =>This Inner Loop Header: Depth=1
	s_sethalt 5
	s_branch .LBB2_5114
.LBB2_5115:
	s_trap 2
	s_sendmsg_rtn_b32 s0, sendmsg(MSG_RTN_GET_DOORBELL)
	s_mov_b32 ttmp2, m0
	s_waitcnt lgkmcnt(0)
	s_and_b32 s0, s0, 0x3ff
	s_delay_alu instid0(SALU_CYCLE_1) | instskip(NEXT) | instid1(SALU_CYCLE_1)
	s_bitset1_b32 s0, 10
	s_mov_b32 m0, s0
	s_sendmsg sendmsg(MSG_INTERRUPT)
	s_mov_b32 m0, ttmp2
.LBB2_5116:                             ; =>This Inner Loop Header: Depth=1
	s_sethalt 5
	s_branch .LBB2_5116
.LBB2_5117:
	s_trap 2
	s_sendmsg_rtn_b32 s0, sendmsg(MSG_RTN_GET_DOORBELL)
	s_mov_b32 ttmp2, m0
	s_waitcnt lgkmcnt(0)
	s_and_b32 s0, s0, 0x3ff
	s_delay_alu instid0(SALU_CYCLE_1) | instskip(NEXT) | instid1(SALU_CYCLE_1)
	s_bitset1_b32 s0, 10
	s_mov_b32 m0, s0
	s_sendmsg sendmsg(MSG_INTERRUPT)
	s_mov_b32 m0, ttmp2
.LBB2_5118:                             ; =>This Inner Loop Header: Depth=1
	s_sethalt 5
	s_branch .LBB2_5118
.LBB2_5119:
	s_trap 2
	s_sendmsg_rtn_b32 s0, sendmsg(MSG_RTN_GET_DOORBELL)
	s_mov_b32 ttmp2, m0
	s_waitcnt lgkmcnt(0)
	s_and_b32 s0, s0, 0x3ff
	s_delay_alu instid0(SALU_CYCLE_1) | instskip(NEXT) | instid1(SALU_CYCLE_1)
	s_bitset1_b32 s0, 10
	s_mov_b32 m0, s0
	s_sendmsg sendmsg(MSG_INTERRUPT)
	s_mov_b32 m0, ttmp2
.LBB2_5120:                             ; =>This Inner Loop Header: Depth=1
	s_sethalt 5
	s_branch .LBB2_5120
.LBB2_5121:
	s_trap 2
	s_sendmsg_rtn_b32 s0, sendmsg(MSG_RTN_GET_DOORBELL)
	s_mov_b32 ttmp2, m0
	s_waitcnt lgkmcnt(0)
	s_and_b32 s0, s0, 0x3ff
	s_delay_alu instid0(SALU_CYCLE_1) | instskip(NEXT) | instid1(SALU_CYCLE_1)
	s_bitset1_b32 s0, 10
	s_mov_b32 m0, s0
	s_sendmsg sendmsg(MSG_INTERRUPT)
	s_mov_b32 m0, ttmp2
.LBB2_5122:                             ; =>This Inner Loop Header: Depth=1
	s_sethalt 5
	s_branch .LBB2_5122
.LBB2_5123:
	s_trap 2
	s_sendmsg_rtn_b32 s0, sendmsg(MSG_RTN_GET_DOORBELL)
	s_mov_b32 ttmp2, m0
	s_waitcnt lgkmcnt(0)
	s_and_b32 s0, s0, 0x3ff
	s_delay_alu instid0(SALU_CYCLE_1) | instskip(NEXT) | instid1(SALU_CYCLE_1)
	s_bitset1_b32 s0, 10
	s_mov_b32 m0, s0
	s_sendmsg sendmsg(MSG_INTERRUPT)
	s_mov_b32 m0, ttmp2
.LBB2_5124:                             ; =>This Inner Loop Header: Depth=1
	s_sethalt 5
	s_branch .LBB2_5124
.LBB2_5125:
	s_trap 2
	s_sendmsg_rtn_b32 s0, sendmsg(MSG_RTN_GET_DOORBELL)
	s_mov_b32 ttmp2, m0
	s_waitcnt lgkmcnt(0)
	s_and_b32 s0, s0, 0x3ff
	s_delay_alu instid0(SALU_CYCLE_1) | instskip(NEXT) | instid1(SALU_CYCLE_1)
	s_bitset1_b32 s0, 10
	s_mov_b32 m0, s0
	s_sendmsg sendmsg(MSG_INTERRUPT)
	s_mov_b32 m0, ttmp2
.LBB2_5126:                             ; =>This Inner Loop Header: Depth=1
	s_sethalt 5
	s_branch .LBB2_5126
.LBB2_5127:
	s_trap 2
	s_sendmsg_rtn_b32 s0, sendmsg(MSG_RTN_GET_DOORBELL)
	s_mov_b32 ttmp2, m0
	s_waitcnt lgkmcnt(0)
	s_and_b32 s0, s0, 0x3ff
	s_delay_alu instid0(SALU_CYCLE_1) | instskip(NEXT) | instid1(SALU_CYCLE_1)
	s_bitset1_b32 s0, 10
	s_mov_b32 m0, s0
	s_sendmsg sendmsg(MSG_INTERRUPT)
	s_mov_b32 m0, ttmp2
.LBB2_5128:                             ; =>This Inner Loop Header: Depth=1
	s_sethalt 5
	s_branch .LBB2_5128
.LBB2_5129:
	s_trap 2
	s_sendmsg_rtn_b32 s0, sendmsg(MSG_RTN_GET_DOORBELL)
	s_mov_b32 ttmp2, m0
	s_waitcnt lgkmcnt(0)
	s_and_b32 s0, s0, 0x3ff
	s_delay_alu instid0(SALU_CYCLE_1) | instskip(NEXT) | instid1(SALU_CYCLE_1)
	s_bitset1_b32 s0, 10
	s_mov_b32 m0, s0
	s_sendmsg sendmsg(MSG_INTERRUPT)
	s_mov_b32 m0, ttmp2
.LBB2_5130:                             ; =>This Inner Loop Header: Depth=1
	s_sethalt 5
	s_branch .LBB2_5130
.LBB2_5131:
	s_trap 2
	s_sendmsg_rtn_b32 s0, sendmsg(MSG_RTN_GET_DOORBELL)
	s_mov_b32 ttmp2, m0
	s_waitcnt lgkmcnt(0)
	s_and_b32 s0, s0, 0x3ff
	s_delay_alu instid0(SALU_CYCLE_1) | instskip(NEXT) | instid1(SALU_CYCLE_1)
	s_bitset1_b32 s0, 10
	s_mov_b32 m0, s0
	s_sendmsg sendmsg(MSG_INTERRUPT)
	s_mov_b32 m0, ttmp2
.LBB2_5132:                             ; =>This Inner Loop Header: Depth=1
	s_sethalt 5
	s_branch .LBB2_5132
.LBB2_5133:
	s_trap 2
	s_sendmsg_rtn_b32 s0, sendmsg(MSG_RTN_GET_DOORBELL)
	s_mov_b32 ttmp2, m0
	s_waitcnt lgkmcnt(0)
	s_and_b32 s0, s0, 0x3ff
	s_delay_alu instid0(SALU_CYCLE_1) | instskip(NEXT) | instid1(SALU_CYCLE_1)
	s_bitset1_b32 s0, 10
	s_mov_b32 m0, s0
	s_sendmsg sendmsg(MSG_INTERRUPT)
	s_mov_b32 m0, ttmp2
.LBB2_5134:                             ; =>This Inner Loop Header: Depth=1
	s_sethalt 5
	s_branch .LBB2_5134
.LBB2_5135:
	s_trap 2
	s_sendmsg_rtn_b32 s0, sendmsg(MSG_RTN_GET_DOORBELL)
	s_mov_b32 ttmp2, m0
	s_waitcnt lgkmcnt(0)
	s_and_b32 s0, s0, 0x3ff
	s_delay_alu instid0(SALU_CYCLE_1) | instskip(NEXT) | instid1(SALU_CYCLE_1)
	s_bitset1_b32 s0, 10
	s_mov_b32 m0, s0
	s_sendmsg sendmsg(MSG_INTERRUPT)
	s_mov_b32 m0, ttmp2
.LBB2_5136:                             ; =>This Inner Loop Header: Depth=1
	s_sethalt 5
	s_branch .LBB2_5136
.LBB2_5137:
	s_trap 2
	s_sendmsg_rtn_b32 s0, sendmsg(MSG_RTN_GET_DOORBELL)
	s_mov_b32 ttmp2, m0
	s_waitcnt lgkmcnt(0)
	s_and_b32 s0, s0, 0x3ff
	s_delay_alu instid0(SALU_CYCLE_1) | instskip(NEXT) | instid1(SALU_CYCLE_1)
	s_bitset1_b32 s0, 10
	s_mov_b32 m0, s0
	s_sendmsg sendmsg(MSG_INTERRUPT)
	s_mov_b32 m0, ttmp2
.LBB2_5138:                             ; =>This Inner Loop Header: Depth=1
	s_sethalt 5
	s_branch .LBB2_5138
.LBB2_5139:
	s_trap 2
	s_sendmsg_rtn_b32 s0, sendmsg(MSG_RTN_GET_DOORBELL)
	s_mov_b32 ttmp2, m0
	s_waitcnt lgkmcnt(0)
	s_and_b32 s0, s0, 0x3ff
	s_delay_alu instid0(SALU_CYCLE_1) | instskip(NEXT) | instid1(SALU_CYCLE_1)
	s_bitset1_b32 s0, 10
	s_mov_b32 m0, s0
	s_sendmsg sendmsg(MSG_INTERRUPT)
	s_mov_b32 m0, ttmp2
.LBB2_5140:                             ; =>This Inner Loop Header: Depth=1
	s_sethalt 5
	s_branch .LBB2_5140
.LBB2_5141:
	s_trap 2
	s_sendmsg_rtn_b32 s0, sendmsg(MSG_RTN_GET_DOORBELL)
	s_mov_b32 ttmp2, m0
	s_waitcnt lgkmcnt(0)
	s_and_b32 s0, s0, 0x3ff
	s_delay_alu instid0(SALU_CYCLE_1) | instskip(NEXT) | instid1(SALU_CYCLE_1)
	s_bitset1_b32 s0, 10
	s_mov_b32 m0, s0
	s_sendmsg sendmsg(MSG_INTERRUPT)
	s_mov_b32 m0, ttmp2
.LBB2_5142:                             ; =>This Inner Loop Header: Depth=1
	s_sethalt 5
	s_branch .LBB2_5142
.LBB2_5143:
	s_trap 2
	s_sendmsg_rtn_b32 s0, sendmsg(MSG_RTN_GET_DOORBELL)
	s_mov_b32 ttmp2, m0
	s_waitcnt lgkmcnt(0)
	s_and_b32 s0, s0, 0x3ff
	s_delay_alu instid0(SALU_CYCLE_1) | instskip(NEXT) | instid1(SALU_CYCLE_1)
	s_bitset1_b32 s0, 10
	s_mov_b32 m0, s0
	s_sendmsg sendmsg(MSG_INTERRUPT)
	s_mov_b32 m0, ttmp2
.LBB2_5144:                             ; =>This Inner Loop Header: Depth=1
	s_sethalt 5
	s_branch .LBB2_5144
.LBB2_5145:
	s_trap 2
	s_sendmsg_rtn_b32 s0, sendmsg(MSG_RTN_GET_DOORBELL)
	s_mov_b32 ttmp2, m0
	s_waitcnt lgkmcnt(0)
	s_and_b32 s0, s0, 0x3ff
	s_delay_alu instid0(SALU_CYCLE_1) | instskip(NEXT) | instid1(SALU_CYCLE_1)
	s_bitset1_b32 s0, 10
	s_mov_b32 m0, s0
	s_sendmsg sendmsg(MSG_INTERRUPT)
	s_mov_b32 m0, ttmp2
.LBB2_5146:                             ; =>This Inner Loop Header: Depth=1
	s_sethalt 5
	s_branch .LBB2_5146
.LBB2_5147:
	s_trap 2
	s_sendmsg_rtn_b32 s0, sendmsg(MSG_RTN_GET_DOORBELL)
	s_mov_b32 ttmp2, m0
	s_waitcnt lgkmcnt(0)
	s_and_b32 s0, s0, 0x3ff
	s_delay_alu instid0(SALU_CYCLE_1) | instskip(NEXT) | instid1(SALU_CYCLE_1)
	s_bitset1_b32 s0, 10
	s_mov_b32 m0, s0
	s_sendmsg sendmsg(MSG_INTERRUPT)
	s_mov_b32 m0, ttmp2
.LBB2_5148:                             ; =>This Inner Loop Header: Depth=1
	s_sethalt 5
	s_branch .LBB2_5148
.LBB2_5149:
	s_trap 2
	s_sendmsg_rtn_b32 s0, sendmsg(MSG_RTN_GET_DOORBELL)
	s_mov_b32 ttmp2, m0
	s_waitcnt lgkmcnt(0)
	s_and_b32 s0, s0, 0x3ff
	s_delay_alu instid0(SALU_CYCLE_1) | instskip(NEXT) | instid1(SALU_CYCLE_1)
	s_bitset1_b32 s0, 10
	s_mov_b32 m0, s0
	s_sendmsg sendmsg(MSG_INTERRUPT)
	s_mov_b32 m0, ttmp2
.LBB2_5150:                             ; =>This Inner Loop Header: Depth=1
	s_sethalt 5
	s_branch .LBB2_5150
.LBB2_5151:
	s_trap 2
	s_sendmsg_rtn_b32 s0, sendmsg(MSG_RTN_GET_DOORBELL)
	s_mov_b32 ttmp2, m0
	s_waitcnt lgkmcnt(0)
	s_and_b32 s0, s0, 0x3ff
	s_delay_alu instid0(SALU_CYCLE_1) | instskip(NEXT) | instid1(SALU_CYCLE_1)
	s_bitset1_b32 s0, 10
	s_mov_b32 m0, s0
	s_sendmsg sendmsg(MSG_INTERRUPT)
	s_mov_b32 m0, ttmp2
.LBB2_5152:                             ; =>This Inner Loop Header: Depth=1
	s_sethalt 5
	s_branch .LBB2_5152
.LBB2_5153:
	s_trap 2
	s_sendmsg_rtn_b32 s0, sendmsg(MSG_RTN_GET_DOORBELL)
	s_mov_b32 ttmp2, m0
	s_waitcnt lgkmcnt(0)
	s_and_b32 s0, s0, 0x3ff
	s_delay_alu instid0(SALU_CYCLE_1) | instskip(NEXT) | instid1(SALU_CYCLE_1)
	s_bitset1_b32 s0, 10
	s_mov_b32 m0, s0
	s_sendmsg sendmsg(MSG_INTERRUPT)
	s_mov_b32 m0, ttmp2
.LBB2_5154:                             ; =>This Inner Loop Header: Depth=1
	s_sethalt 5
	s_branch .LBB2_5154
.LBB2_5155:
	s_trap 2
	s_sendmsg_rtn_b32 s0, sendmsg(MSG_RTN_GET_DOORBELL)
	s_mov_b32 ttmp2, m0
	s_waitcnt lgkmcnt(0)
	s_and_b32 s0, s0, 0x3ff
	s_delay_alu instid0(SALU_CYCLE_1) | instskip(NEXT) | instid1(SALU_CYCLE_1)
	s_bitset1_b32 s0, 10
	s_mov_b32 m0, s0
	s_sendmsg sendmsg(MSG_INTERRUPT)
	s_mov_b32 m0, ttmp2
.LBB2_5156:                             ; =>This Inner Loop Header: Depth=1
	s_sethalt 5
	s_branch .LBB2_5156
.LBB2_5157:
	s_trap 2
	s_sendmsg_rtn_b32 s0, sendmsg(MSG_RTN_GET_DOORBELL)
	s_mov_b32 ttmp2, m0
	s_waitcnt lgkmcnt(0)
	s_and_b32 s0, s0, 0x3ff
	s_delay_alu instid0(SALU_CYCLE_1) | instskip(NEXT) | instid1(SALU_CYCLE_1)
	s_bitset1_b32 s0, 10
	s_mov_b32 m0, s0
	s_sendmsg sendmsg(MSG_INTERRUPT)
	s_mov_b32 m0, ttmp2
.LBB2_5158:                             ; =>This Inner Loop Header: Depth=1
	s_sethalt 5
	s_branch .LBB2_5158
.LBB2_5159:
	s_trap 2
	s_sendmsg_rtn_b32 s0, sendmsg(MSG_RTN_GET_DOORBELL)
	s_mov_b32 ttmp2, m0
	s_waitcnt lgkmcnt(0)
	s_and_b32 s0, s0, 0x3ff
	s_delay_alu instid0(SALU_CYCLE_1) | instskip(NEXT) | instid1(SALU_CYCLE_1)
	s_bitset1_b32 s0, 10
	s_mov_b32 m0, s0
	s_sendmsg sendmsg(MSG_INTERRUPT)
	s_mov_b32 m0, ttmp2
.LBB2_5160:                             ; =>This Inner Loop Header: Depth=1
	s_sethalt 5
	s_branch .LBB2_5160
.LBB2_5161:
	s_trap 2
	s_sendmsg_rtn_b32 s0, sendmsg(MSG_RTN_GET_DOORBELL)
	s_mov_b32 ttmp2, m0
	s_waitcnt lgkmcnt(0)
	s_and_b32 s0, s0, 0x3ff
	s_delay_alu instid0(SALU_CYCLE_1) | instskip(NEXT) | instid1(SALU_CYCLE_1)
	s_bitset1_b32 s0, 10
	s_mov_b32 m0, s0
	s_sendmsg sendmsg(MSG_INTERRUPT)
	s_mov_b32 m0, ttmp2
.LBB2_5162:                             ; =>This Inner Loop Header: Depth=1
	s_sethalt 5
	s_branch .LBB2_5162
.LBB2_5163:
	s_trap 2
	s_sendmsg_rtn_b32 s0, sendmsg(MSG_RTN_GET_DOORBELL)
	s_mov_b32 ttmp2, m0
	s_waitcnt lgkmcnt(0)
	s_and_b32 s0, s0, 0x3ff
	s_delay_alu instid0(SALU_CYCLE_1) | instskip(NEXT) | instid1(SALU_CYCLE_1)
	s_bitset1_b32 s0, 10
	s_mov_b32 m0, s0
	s_sendmsg sendmsg(MSG_INTERRUPT)
	s_mov_b32 m0, ttmp2
.LBB2_5164:                             ; =>This Inner Loop Header: Depth=1
	s_sethalt 5
	s_branch .LBB2_5164
.LBB2_5165:
	s_trap 2
	s_sendmsg_rtn_b32 s0, sendmsg(MSG_RTN_GET_DOORBELL)
	s_mov_b32 ttmp2, m0
	s_waitcnt lgkmcnt(0)
	s_and_b32 s0, s0, 0x3ff
	s_delay_alu instid0(SALU_CYCLE_1) | instskip(NEXT) | instid1(SALU_CYCLE_1)
	s_bitset1_b32 s0, 10
	s_mov_b32 m0, s0
	s_sendmsg sendmsg(MSG_INTERRUPT)
	s_mov_b32 m0, ttmp2
.LBB2_5166:                             ; =>This Inner Loop Header: Depth=1
	s_sethalt 5
	s_branch .LBB2_5166
.LBB2_5167:
	s_trap 2
	s_sendmsg_rtn_b32 s0, sendmsg(MSG_RTN_GET_DOORBELL)
	s_mov_b32 ttmp2, m0
	s_waitcnt lgkmcnt(0)
	s_and_b32 s0, s0, 0x3ff
	s_delay_alu instid0(SALU_CYCLE_1) | instskip(NEXT) | instid1(SALU_CYCLE_1)
	s_bitset1_b32 s0, 10
	s_mov_b32 m0, s0
	s_sendmsg sendmsg(MSG_INTERRUPT)
	s_mov_b32 m0, ttmp2
.LBB2_5168:                             ; =>This Inner Loop Header: Depth=1
	s_sethalt 5
	s_branch .LBB2_5168
.LBB2_5169:
	s_or_b32 exec_lo, exec_lo, s4
	s_and_saveexec_b32 s4, s5
	s_delay_alu instid0(SALU_CYCLE_1)
	s_xor_b32 s4, exec_lo, s4
	s_cbranch_execz .LBB2_5171
; %bb.5170:
	v_mov_b32_e32 v0, 1
	ds_store_b32 v0, v0
	s_cbranch_execnz .LBB2_5223
.LBB2_5171:
	s_or_b32 exec_lo, exec_lo, s3
	;;#ASMSTART
	s_wakeup
	;;#ASMEND
.LBB2_5172:
	s_or_b32 exec_lo, exec_lo, s2
.LBB2_5173:
	s_and_not1_saveexec_b32 s1, s1
	s_cbranch_execz .LBB2_5175
; %bb.5174:
	s_waitcnt lgkmcnt(0)
	s_waitcnt_vscnt null, 0x0
	buffer_gl1_inv
	buffer_gl0_inv
	s_barrier
.LBB2_5175:
	s_or_b32 exec_lo, exec_lo, s0
.LBB2_5176:
	s_and_not1_saveexec_b32 s21, s13
	s_cbranch_execz .LBB2_5178
; %bb.5177:
	s_getpc_b64 s[0:1]
	s_add_u32 s0, s0, __PRETTY_FUNCTION__._ZN10PrimitivesI11rccl_float813FuncPreMulSumIS0_E12FanSymmetricILi1EELi0E11ProtoSimpleILi1ELi1ELi0ELi1ELi0ELi0EELi0ELb0ELi0ELi0ELi0EEC2EiiPKiS9_PKvPvmhhhP15ncclDevWorkCollP14ncclDevWorkP2pii@rel32@lo+4
	s_addc_u32 s1, s1, __PRETTY_FUNCTION__._ZN10PrimitivesI11rccl_float813FuncPreMulSumIS0_E12FanSymmetricILi1EELi0E11ProtoSimpleILi1ELi1ELi0ELi1ELi0ELi0EELi0ELb0ELi0ELi0ELi0EEC2EiiPKiS9_PKvPvmhhhP15ncclDevWorkCollP14ncclDevWorkP2pii@rel32@hi+12
	s_delay_alu instid0(SALU_CYCLE_1) | instskip(SKIP_3) | instid1(SALU_CYCLE_1)
	v_dual_mov_b32 v0, s0 :: v_dual_mov_b32 v1, s1
	s_getpc_b64 s[2:3]
	s_add_u32 s2, s2, __assert_fail@rel32@lo+4
	s_addc_u32 s3, s3, __assert_fail@rel32@hi+12
	s_swappc_b64 s[30:31], s[2:3]
	; divergent unreachable
.LBB2_5178:
	s_or_b32 exec_lo, exec_lo, s21
	scratch_load_b32 v40, off, s33          ; 4-byte Folded Reload
	v_readlane_b32 s30, v41, 0
	v_readlane_b32 s31, v41, 1
	;; [unrolled: 1-line block ×3, first 2 shown]
	s_or_saveexec_b32 s1, -1
	scratch_load_b32 v41, off, s33 offset:4 ; 4-byte Folded Reload
	s_mov_b32 exec_lo, s1
	s_add_i32 s32, s32, -16
	s_mov_b32 s33, s0
	s_waitcnt vmcnt(0) lgkmcnt(0)
	s_setpc_b64 s[30:31]
.LBB2_5179:
	s_trap 2
	s_sendmsg_rtn_b32 s0, sendmsg(MSG_RTN_GET_DOORBELL)
	s_mov_b32 ttmp2, m0
	s_waitcnt lgkmcnt(0)
	s_and_b32 s0, s0, 0x3ff
	s_delay_alu instid0(SALU_CYCLE_1) | instskip(NEXT) | instid1(SALU_CYCLE_1)
	s_bitset1_b32 s0, 10
	s_mov_b32 m0, s0
	s_sendmsg sendmsg(MSG_INTERRUPT)
	s_mov_b32 m0, ttmp2
.LBB2_5180:                             ; =>This Inner Loop Header: Depth=1
	s_sethalt 5
	s_branch .LBB2_5180
.LBB2_5181:
	s_trap 2
	s_sendmsg_rtn_b32 s0, sendmsg(MSG_RTN_GET_DOORBELL)
	s_mov_b32 ttmp2, m0
	s_waitcnt lgkmcnt(0)
	s_and_b32 s0, s0, 0x3ff
	s_delay_alu instid0(SALU_CYCLE_1) | instskip(NEXT) | instid1(SALU_CYCLE_1)
	s_bitset1_b32 s0, 10
	s_mov_b32 m0, s0
	s_sendmsg sendmsg(MSG_INTERRUPT)
	s_mov_b32 m0, ttmp2
.LBB2_5182:                             ; =>This Inner Loop Header: Depth=1
	s_sethalt 5
	s_branch .LBB2_5182
.LBB2_5183:
	s_trap 2
	s_sendmsg_rtn_b32 s0, sendmsg(MSG_RTN_GET_DOORBELL)
	s_mov_b32 ttmp2, m0
	s_waitcnt lgkmcnt(0)
	s_and_b32 s0, s0, 0x3ff
	s_delay_alu instid0(SALU_CYCLE_1) | instskip(NEXT) | instid1(SALU_CYCLE_1)
	s_bitset1_b32 s0, 10
	s_mov_b32 m0, s0
	s_sendmsg sendmsg(MSG_INTERRUPT)
	s_mov_b32 m0, ttmp2
.LBB2_5184:                             ; =>This Inner Loop Header: Depth=1
	s_sethalt 5
	s_branch .LBB2_5184
.LBB2_5185:
	s_trap 2
	s_sendmsg_rtn_b32 s0, sendmsg(MSG_RTN_GET_DOORBELL)
	s_mov_b32 ttmp2, m0
	s_waitcnt lgkmcnt(0)
	s_and_b32 s0, s0, 0x3ff
	s_delay_alu instid0(SALU_CYCLE_1) | instskip(NEXT) | instid1(SALU_CYCLE_1)
	s_bitset1_b32 s0, 10
	s_mov_b32 m0, s0
	s_sendmsg sendmsg(MSG_INTERRUPT)
	s_mov_b32 m0, ttmp2
.LBB2_5186:                             ; =>This Inner Loop Header: Depth=1
	s_sethalt 5
	s_branch .LBB2_5186
.LBB2_5187:
	s_trap 2
	s_sendmsg_rtn_b32 s0, sendmsg(MSG_RTN_GET_DOORBELL)
	s_mov_b32 ttmp2, m0
	s_waitcnt lgkmcnt(0)
	s_and_b32 s0, s0, 0x3ff
	s_delay_alu instid0(SALU_CYCLE_1) | instskip(NEXT) | instid1(SALU_CYCLE_1)
	s_bitset1_b32 s0, 10
	s_mov_b32 m0, s0
	s_sendmsg sendmsg(MSG_INTERRUPT)
	s_mov_b32 m0, ttmp2
.LBB2_5188:                             ; =>This Inner Loop Header: Depth=1
	s_sethalt 5
	s_branch .LBB2_5188
.LBB2_5189:
	s_trap 2
	s_sendmsg_rtn_b32 s0, sendmsg(MSG_RTN_GET_DOORBELL)
	s_mov_b32 ttmp2, m0
	s_waitcnt lgkmcnt(0)
	s_and_b32 s0, s0, 0x3ff
	s_delay_alu instid0(SALU_CYCLE_1) | instskip(NEXT) | instid1(SALU_CYCLE_1)
	s_bitset1_b32 s0, 10
	s_mov_b32 m0, s0
	s_sendmsg sendmsg(MSG_INTERRUPT)
	s_mov_b32 m0, ttmp2
.LBB2_5190:                             ; =>This Inner Loop Header: Depth=1
	s_sethalt 5
	s_branch .LBB2_5190
.LBB2_5191:
	s_trap 2
	s_sendmsg_rtn_b32 s0, sendmsg(MSG_RTN_GET_DOORBELL)
	s_mov_b32 ttmp2, m0
	s_waitcnt lgkmcnt(0)
	s_and_b32 s0, s0, 0x3ff
	s_delay_alu instid0(SALU_CYCLE_1) | instskip(NEXT) | instid1(SALU_CYCLE_1)
	s_bitset1_b32 s0, 10
	s_mov_b32 m0, s0
	s_sendmsg sendmsg(MSG_INTERRUPT)
	s_mov_b32 m0, ttmp2
.LBB2_5192:                             ; =>This Inner Loop Header: Depth=1
	s_sethalt 5
	s_branch .LBB2_5192
.LBB2_5193:
	s_trap 2
	s_sendmsg_rtn_b32 s0, sendmsg(MSG_RTN_GET_DOORBELL)
	s_mov_b32 ttmp2, m0
	s_waitcnt lgkmcnt(0)
	s_and_b32 s0, s0, 0x3ff
	s_delay_alu instid0(SALU_CYCLE_1) | instskip(NEXT) | instid1(SALU_CYCLE_1)
	s_bitset1_b32 s0, 10
	s_mov_b32 m0, s0
	s_sendmsg sendmsg(MSG_INTERRUPT)
	s_mov_b32 m0, ttmp2
.LBB2_5194:                             ; =>This Inner Loop Header: Depth=1
	s_sethalt 5
	s_branch .LBB2_5194
.LBB2_5195:
	s_trap 2
	s_sendmsg_rtn_b32 s0, sendmsg(MSG_RTN_GET_DOORBELL)
	s_mov_b32 ttmp2, m0
	s_waitcnt lgkmcnt(0)
	s_and_b32 s0, s0, 0x3ff
	s_delay_alu instid0(SALU_CYCLE_1) | instskip(NEXT) | instid1(SALU_CYCLE_1)
	s_bitset1_b32 s0, 10
	s_mov_b32 m0, s0
	s_sendmsg sendmsg(MSG_INTERRUPT)
	s_mov_b32 m0, ttmp2
.LBB2_5196:                             ; =>This Inner Loop Header: Depth=1
	s_sethalt 5
	s_branch .LBB2_5196
.LBB2_5197:
	s_trap 2
	s_sendmsg_rtn_b32 s0, sendmsg(MSG_RTN_GET_DOORBELL)
	s_mov_b32 ttmp2, m0
	s_waitcnt lgkmcnt(0)
	s_and_b32 s0, s0, 0x3ff
	s_delay_alu instid0(SALU_CYCLE_1) | instskip(NEXT) | instid1(SALU_CYCLE_1)
	s_bitset1_b32 s0, 10
	s_mov_b32 m0, s0
	s_sendmsg sendmsg(MSG_INTERRUPT)
	s_mov_b32 m0, ttmp2
.LBB2_5198:                             ; =>This Inner Loop Header: Depth=1
	s_sethalt 5
	s_branch .LBB2_5198
.LBB2_5199:
	s_trap 2
	s_sendmsg_rtn_b32 s0, sendmsg(MSG_RTN_GET_DOORBELL)
	s_mov_b32 ttmp2, m0
	s_waitcnt lgkmcnt(0)
	s_and_b32 s0, s0, 0x3ff
	s_delay_alu instid0(SALU_CYCLE_1) | instskip(NEXT) | instid1(SALU_CYCLE_1)
	s_bitset1_b32 s0, 10
	s_mov_b32 m0, s0
	s_sendmsg sendmsg(MSG_INTERRUPT)
	s_mov_b32 m0, ttmp2
.LBB2_5200:                             ; =>This Inner Loop Header: Depth=1
	s_sethalt 5
	s_branch .LBB2_5200
.LBB2_5201:
	s_trap 2
	s_sendmsg_rtn_b32 s0, sendmsg(MSG_RTN_GET_DOORBELL)
	s_mov_b32 ttmp2, m0
	s_waitcnt lgkmcnt(0)
	s_and_b32 s0, s0, 0x3ff
	s_delay_alu instid0(SALU_CYCLE_1) | instskip(NEXT) | instid1(SALU_CYCLE_1)
	s_bitset1_b32 s0, 10
	s_mov_b32 m0, s0
	s_sendmsg sendmsg(MSG_INTERRUPT)
	s_mov_b32 m0, ttmp2
.LBB2_5202:                             ; =>This Inner Loop Header: Depth=1
	s_sethalt 5
	s_branch .LBB2_5202
.LBB2_5203:
	s_trap 2
	s_sendmsg_rtn_b32 s0, sendmsg(MSG_RTN_GET_DOORBELL)
	s_mov_b32 ttmp2, m0
	s_waitcnt lgkmcnt(0)
	s_and_b32 s0, s0, 0x3ff
	s_delay_alu instid0(SALU_CYCLE_1) | instskip(NEXT) | instid1(SALU_CYCLE_1)
	s_bitset1_b32 s0, 10
	s_mov_b32 m0, s0
	s_sendmsg sendmsg(MSG_INTERRUPT)
	s_mov_b32 m0, ttmp2
.LBB2_5204:                             ; =>This Inner Loop Header: Depth=1
	s_sethalt 5
	s_branch .LBB2_5204
.LBB2_5205:
	s_trap 2
	s_sendmsg_rtn_b32 s0, sendmsg(MSG_RTN_GET_DOORBELL)
	s_mov_b32 ttmp2, m0
	s_waitcnt lgkmcnt(0)
	s_and_b32 s0, s0, 0x3ff
	s_delay_alu instid0(SALU_CYCLE_1) | instskip(NEXT) | instid1(SALU_CYCLE_1)
	s_bitset1_b32 s0, 10
	s_mov_b32 m0, s0
	s_sendmsg sendmsg(MSG_INTERRUPT)
	s_mov_b32 m0, ttmp2
.LBB2_5206:                             ; =>This Inner Loop Header: Depth=1
	s_sethalt 5
	s_branch .LBB2_5206
.LBB2_5207:
	s_trap 2
	s_sendmsg_rtn_b32 s0, sendmsg(MSG_RTN_GET_DOORBELL)
	s_mov_b32 ttmp2, m0
	s_waitcnt lgkmcnt(0)
	s_and_b32 s0, s0, 0x3ff
	s_delay_alu instid0(SALU_CYCLE_1) | instskip(NEXT) | instid1(SALU_CYCLE_1)
	s_bitset1_b32 s0, 10
	s_mov_b32 m0, s0
	s_sendmsg sendmsg(MSG_INTERRUPT)
	s_mov_b32 m0, ttmp2
.LBB2_5208:                             ; =>This Inner Loop Header: Depth=1
	s_sethalt 5
	s_branch .LBB2_5208
.LBB2_5209:
	s_trap 2
	s_sendmsg_rtn_b32 s0, sendmsg(MSG_RTN_GET_DOORBELL)
	s_mov_b32 ttmp2, m0
	s_waitcnt lgkmcnt(0)
	s_and_b32 s0, s0, 0x3ff
	s_delay_alu instid0(SALU_CYCLE_1) | instskip(NEXT) | instid1(SALU_CYCLE_1)
	s_bitset1_b32 s0, 10
	s_mov_b32 m0, s0
	s_sendmsg sendmsg(MSG_INTERRUPT)
	s_mov_b32 m0, ttmp2
.LBB2_5210:                             ; =>This Inner Loop Header: Depth=1
	s_sethalt 5
	s_branch .LBB2_5210
.LBB2_5211:
	s_trap 2
	s_sendmsg_rtn_b32 s0, sendmsg(MSG_RTN_GET_DOORBELL)
	s_mov_b32 ttmp2, m0
	s_waitcnt lgkmcnt(0)
	s_and_b32 s0, s0, 0x3ff
	s_delay_alu instid0(SALU_CYCLE_1) | instskip(NEXT) | instid1(SALU_CYCLE_1)
	s_bitset1_b32 s0, 10
	s_mov_b32 m0, s0
	s_sendmsg sendmsg(MSG_INTERRUPT)
	s_mov_b32 m0, ttmp2
.LBB2_5212:                             ; =>This Inner Loop Header: Depth=1
	s_sethalt 5
	s_branch .LBB2_5212
.LBB2_5213:
	s_trap 2
	s_sendmsg_rtn_b32 s0, sendmsg(MSG_RTN_GET_DOORBELL)
	s_mov_b32 ttmp2, m0
	s_waitcnt lgkmcnt(0)
	s_and_b32 s0, s0, 0x3ff
	s_delay_alu instid0(SALU_CYCLE_1) | instskip(NEXT) | instid1(SALU_CYCLE_1)
	s_bitset1_b32 s0, 10
	s_mov_b32 m0, s0
	s_sendmsg sendmsg(MSG_INTERRUPT)
	s_mov_b32 m0, ttmp2
.LBB2_5214:                             ; =>This Inner Loop Header: Depth=1
	s_sethalt 5
	s_branch .LBB2_5214
.LBB2_5215:
	s_trap 2
	s_sendmsg_rtn_b32 s0, sendmsg(MSG_RTN_GET_DOORBELL)
	s_mov_b32 ttmp2, m0
	s_waitcnt lgkmcnt(0)
	s_and_b32 s0, s0, 0x3ff
	s_delay_alu instid0(SALU_CYCLE_1) | instskip(NEXT) | instid1(SALU_CYCLE_1)
	s_bitset1_b32 s0, 10
	s_mov_b32 m0, s0
	s_sendmsg sendmsg(MSG_INTERRUPT)
	s_mov_b32 m0, ttmp2
.LBB2_5216:                             ; =>This Inner Loop Header: Depth=1
	s_sethalt 5
	s_branch .LBB2_5216
.LBB2_5217:
	s_trap 2
	s_sendmsg_rtn_b32 s0, sendmsg(MSG_RTN_GET_DOORBELL)
	s_mov_b32 ttmp2, m0
	s_waitcnt lgkmcnt(0)
	s_and_b32 s0, s0, 0x3ff
	s_delay_alu instid0(SALU_CYCLE_1) | instskip(NEXT) | instid1(SALU_CYCLE_1)
	s_bitset1_b32 s0, 10
	s_mov_b32 m0, s0
	s_sendmsg sendmsg(MSG_INTERRUPT)
	s_mov_b32 m0, ttmp2
.LBB2_5218:                             ; =>This Inner Loop Header: Depth=1
	s_sethalt 5
	s_branch .LBB2_5218
.LBB2_5219:
	s_trap 2
	s_sendmsg_rtn_b32 s0, sendmsg(MSG_RTN_GET_DOORBELL)
	s_mov_b32 ttmp2, m0
	s_waitcnt lgkmcnt(0)
	s_and_b32 s0, s0, 0x3ff
	s_delay_alu instid0(SALU_CYCLE_1) | instskip(NEXT) | instid1(SALU_CYCLE_1)
	s_bitset1_b32 s0, 10
	s_mov_b32 m0, s0
	s_sendmsg sendmsg(MSG_INTERRUPT)
	s_mov_b32 m0, ttmp2
.LBB2_5220:                             ; =>This Inner Loop Header: Depth=1
	s_sethalt 5
	s_branch .LBB2_5220
.LBB2_5221:
	s_trap 2
	s_sendmsg_rtn_b32 s0, sendmsg(MSG_RTN_GET_DOORBELL)
	s_mov_b32 ttmp2, m0
	s_waitcnt lgkmcnt(0)
	s_and_b32 s0, s0, 0x3ff
	s_delay_alu instid0(SALU_CYCLE_1) | instskip(NEXT) | instid1(SALU_CYCLE_1)
	s_bitset1_b32 s0, 10
	s_mov_b32 m0, s0
	s_sendmsg sendmsg(MSG_INTERRUPT)
	s_mov_b32 m0, ttmp2
.LBB2_5222:                             ; =>This Inner Loop Header: Depth=1
	s_sethalt 5
	s_branch .LBB2_5222
.LBB2_5223:
	s_trap 2
	s_sendmsg_rtn_b32 s0, sendmsg(MSG_RTN_GET_DOORBELL)
	s_mov_b32 ttmp2, m0
	s_waitcnt lgkmcnt(0)
	s_and_b32 s0, s0, 0x3ff
	s_delay_alu instid0(SALU_CYCLE_1) | instskip(NEXT) | instid1(SALU_CYCLE_1)
	s_bitset1_b32 s0, 10
	s_mov_b32 m0, s0
	s_sendmsg sendmsg(MSG_INTERRUPT)
	s_mov_b32 m0, ttmp2
.LBB2_5224:                             ; =>This Inner Loop Header: Depth=1
	s_sethalt 5
	s_branch .LBB2_5224
.LBB2_5225:
	s_trap 2
	s_sendmsg_rtn_b32 s0, sendmsg(MSG_RTN_GET_DOORBELL)
	s_mov_b32 ttmp2, m0
	s_waitcnt lgkmcnt(0)
	s_and_b32 s0, s0, 0x3ff
	s_delay_alu instid0(SALU_CYCLE_1) | instskip(NEXT) | instid1(SALU_CYCLE_1)
	s_bitset1_b32 s0, 10
	s_mov_b32 m0, s0
	s_sendmsg sendmsg(MSG_INTERRUPT)
	s_mov_b32 m0, ttmp2
.LBB2_5226:                             ; =>This Inner Loop Header: Depth=1
	s_sethalt 5
	s_branch .LBB2_5226
.LBB2_5227:
	s_trap 2
	s_sendmsg_rtn_b32 s0, sendmsg(MSG_RTN_GET_DOORBELL)
	s_mov_b32 ttmp2, m0
	s_waitcnt lgkmcnt(0)
	s_and_b32 s0, s0, 0x3ff
	s_delay_alu instid0(SALU_CYCLE_1) | instskip(NEXT) | instid1(SALU_CYCLE_1)
	s_bitset1_b32 s0, 10
	s_mov_b32 m0, s0
	s_sendmsg sendmsg(MSG_INTERRUPT)
	s_mov_b32 m0, ttmp2
.LBB2_5228:                             ; =>This Inner Loop Header: Depth=1
	s_sethalt 5
	s_branch .LBB2_5228
.LBB2_5229:
	s_trap 2
	s_sendmsg_rtn_b32 s0, sendmsg(MSG_RTN_GET_DOORBELL)
	s_mov_b32 ttmp2, m0
	s_waitcnt lgkmcnt(0)
	s_and_b32 s0, s0, 0x3ff
	s_delay_alu instid0(SALU_CYCLE_1) | instskip(NEXT) | instid1(SALU_CYCLE_1)
	s_bitset1_b32 s0, 10
	s_mov_b32 m0, s0
	s_sendmsg sendmsg(MSG_INTERRUPT)
	s_mov_b32 m0, ttmp2
.LBB2_5230:                             ; =>This Inner Loop Header: Depth=1
	s_sethalt 5
	s_branch .LBB2_5230
.LBB2_5231:
	s_trap 2
	s_sendmsg_rtn_b32 s0, sendmsg(MSG_RTN_GET_DOORBELL)
	s_mov_b32 ttmp2, m0
	s_waitcnt lgkmcnt(0)
	s_and_b32 s0, s0, 0x3ff
	s_delay_alu instid0(SALU_CYCLE_1) | instskip(NEXT) | instid1(SALU_CYCLE_1)
	s_bitset1_b32 s0, 10
	s_mov_b32 m0, s0
	s_sendmsg sendmsg(MSG_INTERRUPT)
	s_mov_b32 m0, ttmp2
.LBB2_5232:                             ; =>This Inner Loop Header: Depth=1
	s_sethalt 5
	s_branch .LBB2_5232
.LBB2_5233:
	s_trap 2
	s_sendmsg_rtn_b32 s0, sendmsg(MSG_RTN_GET_DOORBELL)
	s_mov_b32 ttmp2, m0
	s_waitcnt lgkmcnt(0)
	s_and_b32 s0, s0, 0x3ff
	s_delay_alu instid0(SALU_CYCLE_1) | instskip(NEXT) | instid1(SALU_CYCLE_1)
	s_bitset1_b32 s0, 10
	s_mov_b32 m0, s0
	s_sendmsg sendmsg(MSG_INTERRUPT)
	s_mov_b32 m0, ttmp2
.LBB2_5234:                             ; =>This Inner Loop Header: Depth=1
	s_sethalt 5
	s_branch .LBB2_5234
.LBB2_5235:
	s_trap 2
	s_sendmsg_rtn_b32 s0, sendmsg(MSG_RTN_GET_DOORBELL)
	s_mov_b32 ttmp2, m0
	s_waitcnt lgkmcnt(0)
	s_and_b32 s0, s0, 0x3ff
	s_delay_alu instid0(SALU_CYCLE_1) | instskip(NEXT) | instid1(SALU_CYCLE_1)
	s_bitset1_b32 s0, 10
	s_mov_b32 m0, s0
	s_sendmsg sendmsg(MSG_INTERRUPT)
	s_mov_b32 m0, ttmp2
.LBB2_5236:                             ; =>This Inner Loop Header: Depth=1
	s_sethalt 5
	s_branch .LBB2_5236
.LBB2_5237:
	s_trap 2
	s_sendmsg_rtn_b32 s0, sendmsg(MSG_RTN_GET_DOORBELL)
	s_mov_b32 ttmp2, m0
	s_waitcnt lgkmcnt(0)
	s_and_b32 s0, s0, 0x3ff
	s_delay_alu instid0(SALU_CYCLE_1) | instskip(NEXT) | instid1(SALU_CYCLE_1)
	s_bitset1_b32 s0, 10
	s_mov_b32 m0, s0
	s_sendmsg sendmsg(MSG_INTERRUPT)
	s_mov_b32 m0, ttmp2
.LBB2_5238:                             ; =>This Inner Loop Header: Depth=1
	s_sethalt 5
	s_branch .LBB2_5238
.LBB2_5239:
	s_trap 2
	s_sendmsg_rtn_b32 s0, sendmsg(MSG_RTN_GET_DOORBELL)
	s_mov_b32 ttmp2, m0
	s_waitcnt lgkmcnt(0)
	s_and_b32 s0, s0, 0x3ff
	s_delay_alu instid0(SALU_CYCLE_1) | instskip(NEXT) | instid1(SALU_CYCLE_1)
	s_bitset1_b32 s0, 10
	s_mov_b32 m0, s0
	s_sendmsg sendmsg(MSG_INTERRUPT)
	s_mov_b32 m0, ttmp2
.LBB2_5240:                             ; =>This Inner Loop Header: Depth=1
	s_sethalt 5
	s_branch .LBB2_5240
.LBB2_5241:
	s_trap 2
	s_sendmsg_rtn_b32 s0, sendmsg(MSG_RTN_GET_DOORBELL)
	s_mov_b32 ttmp2, m0
	s_waitcnt lgkmcnt(0)
	s_and_b32 s0, s0, 0x3ff
	s_delay_alu instid0(SALU_CYCLE_1) | instskip(NEXT) | instid1(SALU_CYCLE_1)
	s_bitset1_b32 s0, 10
	s_mov_b32 m0, s0
	s_sendmsg sendmsg(MSG_INTERRUPT)
	s_mov_b32 m0, ttmp2
.LBB2_5242:                             ; =>This Inner Loop Header: Depth=1
	s_sethalt 5
	s_branch .LBB2_5242
.LBB2_5243:
	s_trap 2
	s_sendmsg_rtn_b32 s0, sendmsg(MSG_RTN_GET_DOORBELL)
	s_mov_b32 ttmp2, m0
	s_waitcnt lgkmcnt(0)
	s_and_b32 s0, s0, 0x3ff
	s_delay_alu instid0(SALU_CYCLE_1) | instskip(NEXT) | instid1(SALU_CYCLE_1)
	s_bitset1_b32 s0, 10
	s_mov_b32 m0, s0
	s_sendmsg sendmsg(MSG_INTERRUPT)
	s_mov_b32 m0, ttmp2
.LBB2_5244:                             ; =>This Inner Loop Header: Depth=1
	s_sethalt 5
	s_branch .LBB2_5244
.LBB2_5245:
	s_trap 2
	s_sendmsg_rtn_b32 s0, sendmsg(MSG_RTN_GET_DOORBELL)
	s_mov_b32 ttmp2, m0
	s_waitcnt lgkmcnt(0)
	s_and_b32 s0, s0, 0x3ff
	s_delay_alu instid0(SALU_CYCLE_1) | instskip(NEXT) | instid1(SALU_CYCLE_1)
	s_bitset1_b32 s0, 10
	s_mov_b32 m0, s0
	s_sendmsg sendmsg(MSG_INTERRUPT)
	s_mov_b32 m0, ttmp2
.LBB2_5246:                             ; =>This Inner Loop Header: Depth=1
	s_sethalt 5
	s_branch .LBB2_5246
.LBB2_5247:
	s_trap 2
	s_sendmsg_rtn_b32 s0, sendmsg(MSG_RTN_GET_DOORBELL)
	s_mov_b32 ttmp2, m0
	s_waitcnt lgkmcnt(0)
	s_and_b32 s0, s0, 0x3ff
	s_delay_alu instid0(SALU_CYCLE_1) | instskip(NEXT) | instid1(SALU_CYCLE_1)
	s_bitset1_b32 s0, 10
	s_mov_b32 m0, s0
	s_sendmsg sendmsg(MSG_INTERRUPT)
	s_mov_b32 m0, ttmp2
.LBB2_5248:                             ; =>This Inner Loop Header: Depth=1
	s_sethalt 5
	s_branch .LBB2_5248
.LBB2_5249:
	s_trap 2
	s_sendmsg_rtn_b32 s0, sendmsg(MSG_RTN_GET_DOORBELL)
	s_mov_b32 ttmp2, m0
	s_waitcnt lgkmcnt(0)
	s_and_b32 s0, s0, 0x3ff
	s_delay_alu instid0(SALU_CYCLE_1) | instskip(NEXT) | instid1(SALU_CYCLE_1)
	s_bitset1_b32 s0, 10
	s_mov_b32 m0, s0
	s_sendmsg sendmsg(MSG_INTERRUPT)
	s_mov_b32 m0, ttmp2
.LBB2_5250:                             ; =>This Inner Loop Header: Depth=1
	s_sethalt 5
	s_branch .LBB2_5250
.LBB2_5251:
	s_trap 2
	s_sendmsg_rtn_b32 s0, sendmsg(MSG_RTN_GET_DOORBELL)
	s_mov_b32 ttmp2, m0
	s_waitcnt lgkmcnt(0)
	s_and_b32 s0, s0, 0x3ff
	s_delay_alu instid0(SALU_CYCLE_1) | instskip(NEXT) | instid1(SALU_CYCLE_1)
	s_bitset1_b32 s0, 10
	s_mov_b32 m0, s0
	s_sendmsg sendmsg(MSG_INTERRUPT)
	s_mov_b32 m0, ttmp2
.LBB2_5252:                             ; =>This Inner Loop Header: Depth=1
	s_sethalt 5
	s_branch .LBB2_5252
.Lfunc_end2:
	.size	_ZN12_GLOBAL__N_17runRingI11rccl_float813FuncPreMulSumIS1_E11ProtoSimpleILi1ELi1ELi0ELi1ELi0ELi0EELi0ELi1ELi0EEEviiP15ncclDevWorkColl, .Lfunc_end2-_ZN12_GLOBAL__N_17runRingI11rccl_float813FuncPreMulSumIS1_E11ProtoSimpleILi1ELi1ELi0ELi1ELi0ELi0EELi0ELi1ELi0EEEviiP15ncclDevWorkColl
                                        ; -- End function
	.section	.AMDGPU.csdata,"",@progbits
; Function info:
; codeLenInByte = 208852
; NumSgprs: 38
; NumVgprs: 162
; ScratchSize: 80
; MemoryBound: 1
	.text
	.p2align	2                               ; -- Begin function _Z53ncclDevFunc_Reduce_RING_SIMPLE_PreMulSum_f8e4m3_0_0_1v
	.type	_Z53ncclDevFunc_Reduce_RING_SIMPLE_PreMulSum_f8e4m3_0_0_1v,@function
_Z53ncclDevFunc_Reduce_RING_SIMPLE_PreMulSum_f8e4m3_0_0_1v: ; @_Z53ncclDevFunc_Reduce_RING_SIMPLE_PreMulSum_f8e4m3_0_0_1v
; %bb.0:
	s_waitcnt vmcnt(0) expcnt(0) lgkmcnt(0)
	s_mov_b32 s0, s33
	s_mov_b32 s33, s32
	s_or_saveexec_b32 s1, -1
	scratch_store_b32 off, v40, s33 offset:4 ; 4-byte Folded Spill
	s_mov_b32 exec_lo, s1
	v_writelane_b32 v40, s0, 10
	s_add_i32 s32, s32, 16
	scratch_store_b32 off, v41, s33         ; 4-byte Folded Spill
	v_writelane_b32 v40, s34, 0
	v_writelane_b32 v40, s35, 1
	;; [unrolled: 1-line block ×10, first 2 shown]
	s_cbranch_execnz .LBB3_7
; %bb.1:
	ds_load_b32 v0, v0
	v_and_b32_e32 v162, 0x3ff, v31
	s_mov_b32 s0, exec_lo
	s_waitcnt lgkmcnt(0)
	s_delay_alu instid0(VALU_DEP_1)
	v_cmpx_lt_i32_e64 v162, v0
	s_cbranch_execz .LBB3_9
; %bb.2:
	s_load_b32 s1, s[8:9], 0x0
	v_mov_b32_e32 v1, 0
	s_waitcnt lgkmcnt(0)
	s_cmp_lt_u32 s12, s1
	s_cselect_b32 s1, 12, 18
	s_delay_alu instid0(SALU_CYCLE_1)
	s_add_u32 s2, s8, s1
	s_addc_u32 s3, s9, 0
	s_mov_b32 s1, 0
	global_load_u16 v1, v1, s[2:3]
	s_cbranch_execnz .LBB3_24
; %bb.3:
	ds_load_b32 v2, v0
	v_mov_b32_e32 v3, v162
	s_mov_b32 s2, 0
                                        ; implicit-def: $vgpr4
	s_waitcnt vmcnt(0) lgkmcnt(0)
	v_mul_lo_u32 v2, v2, v1
	s_branch .LBB3_5
	.p2align	6
.LBB3_4:                                ;   in Loop: Header=BB3_5 Depth=1
	s_or_b32 exec_lo, exec_lo, s3
	v_add_nc_u32_e32 v3, v3, v1
	v_add_nc_u32_e32 v4, v4, v2
	s_delay_alu instid0(VALU_DEP_2) | instskip(SKIP_1) | instid1(SALU_CYCLE_1)
	v_cmp_ge_i32_e32 vcc_lo, v3, v0
	s_or_b32 s1, vcc_lo, s1
	s_and_not1_b32 exec_lo, exec_lo, s1
	s_cbranch_execz .LBB3_9
.LBB3_5:                                ; =>This Inner Loop Header: Depth=1
	ds_load_b32 v5, v4
	s_mov_b32 s3, exec_lo
	s_waitcnt lgkmcnt(0)
	v_and_b32_e32 v5, 0x1000000, v5
	s_delay_alu instid0(VALU_DEP_1)
	v_cmpx_ne_u32_e32 0, v5
	s_cbranch_execz .LBB3_4
; %bb.6:                                ;   in Loop: Header=BB3_5 Depth=1
	ds_load_b64 v[5:6], v4 offset:104
	s_waitcnt lgkmcnt(0)
	flat_load_u8 v5, v[5:6]
	s_waitcnt vmcnt(0) lgkmcnt(0)
	v_dual_mov_b32 v6, s2 :: v_dual_and_b32 v5, 0xffff, v5
	ds_store_b64 v4, v[5:6] offset:104
	s_branch .LBB3_4
.LBB3_7:
	s_trap 2
	s_sendmsg_rtn_b32 s0, sendmsg(MSG_RTN_GET_DOORBELL)
	s_mov_b32 ttmp2, m0
	s_waitcnt lgkmcnt(0)
	s_and_b32 s0, s0, 0x3ff
	s_delay_alu instid0(SALU_CYCLE_1) | instskip(NEXT) | instid1(SALU_CYCLE_1)
	s_bitset1_b32 s0, 10
	s_mov_b32 m0, s0
	s_sendmsg sendmsg(MSG_INTERRUPT)
	s_mov_b32 m0, ttmp2
.LBB3_8:                                ; =>This Inner Loop Header: Depth=1
	s_sethalt 5
	s_branch .LBB3_8
.LBB3_9:
	s_or_b32 exec_lo, exec_lo, s0
	s_waitcnt lgkmcnt(0)
	s_waitcnt_vscnt null, 0x0
	s_barrier
	buffer_gl0_inv
	s_cbranch_execnz .LBB3_22
; %bb.10:
	ds_load_b32 v0, v0
	s_waitcnt lgkmcnt(0)
	v_cmp_gt_i32_e32 vcc_lo, 1, v0
	s_cbranch_vccnz .LBB3_21
; %bb.11:
	s_mov_b32 s40, 0
	s_mov_b64 s[38:39], src_shared_base
.LBB3_12:                               ; =>This Inner Loop Header: Depth=1
	s_cbranch_execnz .LBB3_26
; %bb.13:                               ;   in Loop: Header=BB3_12 Depth=1
	ds_load_b32 v0, v0
	s_cmp_eq_u32 s40, 0
	s_cbranch_scc1 .LBB3_17
; %bb.14:                               ;   in Loop: Header=BB3_12 Depth=1
	s_cbranch_execnz .LBB3_30
; %bb.15:                               ;   in Loop: Header=BB3_12 Depth=1
	s_waitcnt lgkmcnt(0)
	ds_load_b32 v1, v0
	s_waitcnt lgkmcnt(0)
	v_xor_b32_e32 v1, v1, v0
	s_delay_alu instid0(VALU_DEP_1) | instskip(NEXT) | instid1(VALU_DEP_1)
	v_and_b32_e32 v1, 0xff0000, v1
	v_cmp_eq_u32_e32 vcc_lo, 0, v1
	s_cbranch_vccnz .LBB3_17
; %bb.16:                               ;   in Loop: Header=BB3_12 Depth=1
	s_waitcnt_vscnt null, 0x0
	s_barrier
	buffer_gl0_inv
	ds_load_b32 v0, v0
.LBB3_17:                               ;   in Loop: Header=BB3_12 Depth=1
	s_waitcnt lgkmcnt(0)
	v_lshrrev_b32_e32 v0, 11, v0
	s_mov_b32 s41, exec_lo
	s_delay_alu instid0(VALU_DEP_1) | instskip(NEXT) | instid1(VALU_DEP_1)
	v_and_b32_e32 v1, 0x1fe0, v0
	v_cmpx_lt_u32_e64 v162, v1
	s_cbranch_execz .LBB3_19
; %bb.18:                               ;   in Loop: Header=BB3_12 Depth=1
	v_dual_mov_b32 v163, v31 :: v_dual_mov_b32 v0, v162
	v_mov_b32_e32 v3, s39
	s_getpc_b64 s[0:1]
	s_add_u32 s0, s0, _ZN12_GLOBAL__N_17runRingI11rccl_float813FuncPreMulSumIS1_E11ProtoSimpleILi1ELi1ELi0ELi1ELi0ELi0EELi0ELi1ELi0EEEviiP15ncclDevWorkColl@rel32@lo+4
	s_addc_u32 s1, s1, _ZN12_GLOBAL__N_17runRingI11rccl_float813FuncPreMulSumIS1_E11ProtoSimpleILi1ELi1ELi0ELi1ELi0ELi0EELi0ELi1ELi0EEEviiP15ncclDevWorkColl@rel32@hi+12
	s_mov_b64 s[36:37], s[8:9]
	s_mov_b32 s38, s12
	s_swappc_b64 s[30:31], s[0:1]
	v_mov_b32_e32 v31, v163
	s_mov_b32 s12, s38
	s_mov_b64 s[8:9], s[36:37]
.LBB3_19:                               ;   in Loop: Header=BB3_12 Depth=1
	s_or_b32 exec_lo, exec_lo, s41
	s_cbranch_execnz .LBB3_28
; %bb.20:                               ;   in Loop: Header=BB3_12 Depth=1
	ds_load_b32 v0, v0
	s_add_i32 s40, s40, 1
	s_waitcnt lgkmcnt(0)
	v_cmp_lt_i32_e32 vcc_lo, s40, v0
	s_cbranch_vccnz .LBB3_12
.LBB3_21:
	scratch_load_b32 v41, off, s33          ; 4-byte Folded Reload
	v_readlane_b32 s30, v40, 8
	v_readlane_b32 s31, v40, 9
	;; [unrolled: 1-line block ×11, first 2 shown]
	s_or_saveexec_b32 s1, -1
	scratch_load_b32 v40, off, s33 offset:4 ; 4-byte Folded Reload
	s_mov_b32 exec_lo, s1
	s_add_i32 s32, s32, -16
	s_mov_b32 s33, s0
	s_waitcnt vmcnt(0)
	s_setpc_b64 s[30:31]
.LBB3_22:
	s_trap 2
	s_sendmsg_rtn_b32 s0, sendmsg(MSG_RTN_GET_DOORBELL)
	s_mov_b32 ttmp2, m0
	s_waitcnt lgkmcnt(0)
	s_and_b32 s0, s0, 0x3ff
	s_delay_alu instid0(SALU_CYCLE_1) | instskip(NEXT) | instid1(SALU_CYCLE_1)
	s_bitset1_b32 s0, 10
	s_mov_b32 m0, s0
	s_sendmsg sendmsg(MSG_INTERRUPT)
	s_mov_b32 m0, ttmp2
.LBB3_23:                               ; =>This Inner Loop Header: Depth=1
	s_sethalt 5
	s_branch .LBB3_23
.LBB3_24:
	s_trap 2
	s_sendmsg_rtn_b32 s0, sendmsg(MSG_RTN_GET_DOORBELL)
	s_mov_b32 ttmp2, m0
	s_waitcnt lgkmcnt(0)
	s_and_b32 s0, s0, 0x3ff
	s_delay_alu instid0(SALU_CYCLE_1) | instskip(NEXT) | instid1(SALU_CYCLE_1)
	s_bitset1_b32 s0, 10
	s_mov_b32 m0, s0
	s_sendmsg sendmsg(MSG_INTERRUPT)
	s_mov_b32 m0, ttmp2
.LBB3_25:                               ; =>This Inner Loop Header: Depth=1
	s_sethalt 5
	s_branch .LBB3_25
.LBB3_26:
	s_trap 2
	s_sendmsg_rtn_b32 s0, sendmsg(MSG_RTN_GET_DOORBELL)
	s_mov_b32 ttmp2, m0
	s_waitcnt lgkmcnt(0)
	s_and_b32 s0, s0, 0x3ff
	s_delay_alu instid0(SALU_CYCLE_1) | instskip(NEXT) | instid1(SALU_CYCLE_1)
	s_bitset1_b32 s0, 10
	s_mov_b32 m0, s0
	s_sendmsg sendmsg(MSG_INTERRUPT)
	s_mov_b32 m0, ttmp2
.LBB3_27:                               ; =>This Inner Loop Header: Depth=1
	s_sethalt 5
	s_branch .LBB3_27
.LBB3_28:
	s_trap 2
	s_sendmsg_rtn_b32 s0, sendmsg(MSG_RTN_GET_DOORBELL)
	s_mov_b32 ttmp2, m0
	s_waitcnt lgkmcnt(0)
	s_and_b32 s0, s0, 0x3ff
	s_delay_alu instid0(SALU_CYCLE_1) | instskip(NEXT) | instid1(SALU_CYCLE_1)
	s_bitset1_b32 s0, 10
	s_mov_b32 m0, s0
	s_sendmsg sendmsg(MSG_INTERRUPT)
	s_mov_b32 m0, ttmp2
.LBB3_29:                               ; =>This Inner Loop Header: Depth=1
	s_sethalt 5
	s_branch .LBB3_29
.LBB3_30:
	s_trap 2
	s_sendmsg_rtn_b32 s0, sendmsg(MSG_RTN_GET_DOORBELL)
	s_mov_b32 ttmp2, m0
	s_waitcnt lgkmcnt(0)
	s_and_b32 s0, s0, 0x3ff
	s_delay_alu instid0(SALU_CYCLE_1) | instskip(NEXT) | instid1(SALU_CYCLE_1)
	s_bitset1_b32 s0, 10
	s_mov_b32 m0, s0
	s_sendmsg sendmsg(MSG_INTERRUPT)
	s_mov_b32 m0, ttmp2
.LBB3_31:                               ; =>This Inner Loop Header: Depth=1
	s_sethalt 5
	s_branch .LBB3_31
.Lfunc_end3:
	.size	_Z53ncclDevFunc_Reduce_RING_SIMPLE_PreMulSum_f8e4m3_0_0_1v, .Lfunc_end3-_Z53ncclDevFunc_Reduce_RING_SIMPLE_PreMulSum_f8e4m3_0_0_1v
                                        ; -- End function
	.section	.AMDGPU.csdata,"",@progbits
; Function info:
; codeLenInByte = 1080
; NumSgprs: 44
; NumVgprs: 164
; ScratchSize: 96
; MemoryBound: 0
	.text
	.p2align	2                               ; -- Begin function _ZN12_GLOBAL__N_17runRingI11rccl_float813FuncPreMulSumIS1_E11ProtoSimpleILi1ELi1ELi0ELi2ELi0ELi0EELi0ELi2ELi0EEEviiP15ncclDevWorkColl
	.type	_ZN12_GLOBAL__N_17runRingI11rccl_float813FuncPreMulSumIS1_E11ProtoSimpleILi1ELi1ELi0ELi2ELi0ELi0EELi0ELi2ELi0EEEviiP15ncclDevWorkColl,@function
_ZN12_GLOBAL__N_17runRingI11rccl_float813FuncPreMulSumIS1_E11ProtoSimpleILi1ELi1ELi0ELi2ELi0ELi0EELi0ELi2ELi0EEEviiP15ncclDevWorkColl: ; @_ZN12_GLOBAL__N_17runRingI11rccl_float813FuncPreMulSumIS1_E11ProtoSimpleILi1ELi1ELi0ELi2ELi0ELi0EELi0ELi2ELi0EEEviiP15ncclDevWorkColl
; %bb.0:
	s_waitcnt vmcnt(0) expcnt(0) lgkmcnt(0)
	s_mov_b32 s0, s33
	s_mov_b32 s33, s32
	s_or_saveexec_b32 s1, -1
	scratch_store_b32 off, v62, s33 offset:56 ; 4-byte Folded Spill
	s_mov_b32 exec_lo, s1
	v_writelane_b32 v62, s0, 2
	s_add_i32 s32, s32, 64
	s_clause 0xd
	scratch_store_b32 off, v40, s33 offset:52
	; meta instruction
	scratch_store_b32 off, v41, s33 offset:48
	; meta instruction
	;; [unrolled: 2-line block ×13, first 2 shown]
	scratch_store_b32 off, v61, s33
	v_writelane_b32 v62, s30, 0
	v_writelane_b32 v62, s31, 1
	s_cbranch_execz .LBB4_1
; %bb.7817:
	s_getpc_b64 s[34:35]
.Lpost_getpc44:
	s_add_u32 s34, s34, (.LBB4_7519-.Lpost_getpc44)&4294967295
	s_addc_u32 s35, s35, (.LBB4_7519-.Lpost_getpc44)>>32
	s_setpc_b64 s[34:35]
.LBB4_1:
	ds_load_b64 v[14:15], v0
	ds_load_b32 v9, v0
	flat_load_b64 v[6:7], v[2:3]
	s_mov_b32 s0, exec_lo
                                        ; implicit-def: $vgpr28_vgpr29
                                        ; implicit-def: $vgpr18_vgpr19
	s_waitcnt lgkmcnt(2)
	v_ashrrev_i32_e32 v5, 31, v15
	v_mov_b32_e32 v4, v15
	s_delay_alu instid0(VALU_DEP_1) | instskip(NEXT) | instid1(VALU_DEP_1)
	v_lshlrev_b64 v[4:5], 2, v[4:5]
	v_add_co_u32 v4, vcc_lo, v14, v4
	s_delay_alu instid0(VALU_DEP_2) | instskip(NEXT) | instid1(VALU_DEP_2)
	v_add_co_ci_u32_e32 v5, vcc_lo, v15, v5, vcc_lo
	v_add_co_u32 v4, vcc_lo, -4, v4
	s_delay_alu instid0(VALU_DEP_2) | instskip(SKIP_4) | instid1(VALU_DEP_1)
	v_add_co_ci_u32_e32 v5, vcc_lo, -1, v5, vcc_lo
	flat_load_u16 v16, v[2:3] offset:8
	flat_load_b32 v36, v[4:5]
                                        ; implicit-def: $vgpr4_vgpr5
	s_waitcnt vmcnt(2) lgkmcnt(2)
	v_dual_mov_b32 v15, v7 :: v_dual_and_b32 v8, 0xff, v6
	v_cmpx_ne_u32_e64 v8, v9
	s_xor_b32 s0, exec_lo, s0
	s_cbranch_execz .LBB4_2
; %bb.7819:
	s_getpc_b64 s[34:35]
.Lpost_getpc45:
	s_add_u32 s34, s34, (.LBB4_7521-.Lpost_getpc45)&4294967295
	s_addc_u32 s35, s35, (.LBB4_7521-.Lpost_getpc45)>>32
	s_setpc_b64 s[34:35]
.LBB4_2:
	s_and_not1_saveexec_b32 s0, s0
	s_cbranch_execz .LBB4_3
; %bb.7821:
	s_getpc_b64 s[34:35]
.Lpost_getpc46:
	s_add_u32 s34, s34, (.LBB4_7526-.Lpost_getpc46)&4294967295
	s_addc_u32 s35, s35, (.LBB4_7526-.Lpost_getpc46)>>32
	s_setpc_b64 s[34:35]
.LBB4_3:
	s_or_b32 exec_lo, exec_lo, s0
	s_cbranch_execz .LBB4_4
; %bb.7823:
	s_getpc_b64 s[34:35]
.Lpost_getpc47:
	s_add_u32 s34, s34, (.LBB4_7527-.Lpost_getpc47)&4294967295
	s_addc_u32 s35, s35, (.LBB4_7527-.Lpost_getpc47)>>32
	s_setpc_b64 s[34:35]
.LBB4_4:
	ds_load_b64 v[6:7], v0
	s_mov_b32 s1, exec_lo
	s_waitcnt lgkmcnt(0)
	v_cmp_ne_u32_e32 vcc_lo, -1, v6
	v_cndmask_b32_e64 v17, 0, 1, vcc_lo
	v_cmp_ne_u32_e32 vcc_lo, -1, v7
	s_delay_alu instid0(VALU_DEP_2) | instskip(NEXT) | instid1(VALU_DEP_1)
	v_add_co_ci_u32_e64 v6, s0, 0, v17, vcc_lo
	v_lshlrev_b32_e32 v7, 1, v6
	s_delay_alu instid0(VALU_DEP_1)
	v_cmpx_le_i32_e64 v7, v1
	s_xor_b32 s13, exec_lo, s1
	s_cbranch_execnz .LBB4_5
; %bb.7825:
	s_getpc_b64 s[34:35]
.Lpost_getpc48:
	s_add_u32 s34, s34, (.LBB4_7740-.Lpost_getpc48)&4294967295
	s_addc_u32 s35, s35, (.LBB4_7740-.Lpost_getpc48)>>32
	s_setpc_b64 s[34:35]
.LBB4_5:
	s_clause 0x1
	flat_load_b128 v[10:13], v[2:3] offset:16
	flat_load_b64 v[29:30], v[2:3] offset:104
	s_cbranch_execz .LBB4_6
; %bb.7827:
	s_getpc_b64 s[34:35]
.Lpost_getpc49:
	s_add_u32 s34, s34, (.LBB4_7529-.Lpost_getpc49)&4294967295
	s_addc_u32 s35, s35, (.LBB4_7529-.Lpost_getpc49)>>32
	s_setpc_b64 s[34:35]
.LBB4_6:
	s_load_b32 s0, s[8:9], 0x0
	v_mov_b32_e32 v2, 0
	v_mov_b32_e32 v64, 4
	s_waitcnt lgkmcnt(0)
	s_cmp_lt_u32 s12, s0
	s_cselect_b32 s0, 12, 18
	s_delay_alu instid0(SALU_CYCLE_1)
	s_add_u32 s0, s8, s0
	s_addc_u32 s1, s9, 0
	global_load_u16 v37, v2, s[0:1]
	ds_load_b32 v2, v0
	s_mov_b32 s1, exec_lo
	s_waitcnt lgkmcnt(0)
	v_readfirstlane_b32 s14, v2
	v_cmpx_ge_i32_e64 v0, v17
	s_cbranch_execz .LBB4_16
; %bb.7:
	v_cmp_le_u32_e64 s0, v6, v0
                                        ; implicit-def: $vgpr64
	s_delay_alu instid0(VALU_DEP_1) | instskip(NEXT) | instid1(SALU_CYCLE_1)
	s_and_saveexec_b32 s2, s0
	s_xor_b32 s0, exec_lo, s2
	s_cbranch_execz .LBB4_13
; %bb.8:
	v_cndmask_b32_e64 v2, 0, 1, vcc_lo
	s_mov_b32 s2, exec_lo
                                        ; implicit-def: $sgpr3
	s_delay_alu instid0(VALU_DEP_1) | instskip(NEXT) | instid1(VALU_DEP_1)
	v_sub_nc_u32_e32 v2, v1, v2
	v_cmpx_ge_u32_e64 v0, v2
	s_xor_b32 s2, exec_lo, s2
; %bb.9:
	s_mov_b32 s3, 16
                                        ; implicit-def: $vgpr6
; %bb.10:
	s_or_saveexec_b32 s2, s2
	v_mov_b32_e32 v64, s3
	s_xor_b32 exec_lo, exec_lo, s2
; %bb.11:
	v_sub_nc_u32_e32 v2, v1, v6
	s_delay_alu instid0(VALU_DEP_1) | instskip(SKIP_1) | instid1(VALU_DEP_1)
	v_cmp_ge_i32_e32 vcc_lo, v0, v2
	v_cndmask_b32_e64 v2, 0, 1, vcc_lo
	v_lshlrev_b32_e32 v64, 5, v2
; %bb.12:
	s_or_b32 exec_lo, exec_lo, s2
.LBB4_13:
	s_and_not1_saveexec_b32 s0, s0
; %bb.14:
	v_mov_b32_e32 v64, 8
; %bb.15:
	s_or_b32 exec_lo, exec_lo, s0
.LBB4_16:
	s_delay_alu instid0(SALU_CYCLE_1) | instskip(NEXT) | instid1(VALU_DEP_1)
	s_or_b32 exec_lo, exec_lo, s1
	v_and_b32_e32 v2, 36, v64
	v_mov_b32_e32 v32, -1
	s_delay_alu instid0(VALU_DEP_2)
	v_cmp_ne_u32_e32 vcc_lo, 0, v2
	s_and_saveexec_b32 s0, vcc_lo
	s_cbranch_execz .LBB4_19
; %bb.17:
	s_cbranch_execz .LBB4_18
; %bb.7829:
	s_getpc_b64 s[34:35]
.Lpost_getpc50:
	s_add_u32 s34, s34, (.LBB4_7531-.Lpost_getpc50)&4294967295
	s_addc_u32 s35, s35, (.LBB4_7531-.Lpost_getpc50)>>32
	s_setpc_b64 s[34:35]
.LBB4_18:
	ds_load_b32 v32, v0
.LBB4_19:
	s_or_b32 exec_lo, exec_lo, s0
	v_and_b32_e32 v2, 24, v64
	s_mov_b32 s1, exec_lo
	s_delay_alu instid0(VALU_DEP_1)
	v_cmpx_ne_u32_e32 0, v2
	s_cbranch_execz .LBB4_22
; %bb.20:
	s_cbranch_execz .LBB4_21
; %bb.7831:
	s_getpc_b64 s[34:35]
.Lpost_getpc51:
	s_add_u32 s34, s34, (.LBB4_7533-.Lpost_getpc51)&4294967295
	s_addc_u32 s35, s35, (.LBB4_7533-.Lpost_getpc51)>>32
	s_setpc_b64 s[34:35]
.LBB4_21:
	s_waitcnt lgkmcnt(0)
	ds_load_b32 v32, v0
.LBB4_22:
	s_or_b32 exec_lo, exec_lo, s1
	s_waitcnt vmcnt(4)
	v_lshrrev_b64 v[2:3], 31, v[15:16]
	v_mov_b32_e32 v20, 0
	v_mov_b32_e32 v21, 0
                                        ; implicit-def: $vgpr65
                                        ; implicit-def: $vgpr26_vgpr27
                                        ; implicit-def: $vgpr24_vgpr25
                                        ; implicit-def: $vgpr22_vgpr23
	s_delay_alu instid0(VALU_DEP_3) | instskip(NEXT) | instid1(VALU_DEP_2)
	v_and_b32_e32 v16, 3, v2
	v_dual_mov_b32 v6, v20 :: v_dual_mov_b32 v7, v21
                                        ; implicit-def: $vgpr2_vgpr3
	s_and_saveexec_b32 s0, vcc_lo
	s_cbranch_execz .LBB4_35
; %bb.23:
	s_cbranch_execz .LBB4_24
; %bb.7833:
	s_getpc_b64 s[34:35]
.Lpost_getpc52:
	s_add_u32 s34, s34, (.LBB4_7535-.Lpost_getpc52)&4294967295
	s_addc_u32 s35, s35, (.LBB4_7535-.Lpost_getpc52)>>32
	s_setpc_b64 s[34:35]
.LBB4_24:
	ds_load_b64 v[2:3], v0
	s_waitcnt lgkmcnt(1)
	v_ashrrev_i32_e32 v33, 31, v32
	v_and_b32_e32 v8, 0xffff, v16
	s_delay_alu instid0(VALU_DEP_2) | instskip(SKIP_1) | instid1(VALU_DEP_1)
	v_lshlrev_b64 v[6:7], 3, v[32:33]
	s_waitcnt lgkmcnt(0)
	v_add_co_u32 v2, vcc_lo, v2, v6
	s_delay_alu instid0(VALU_DEP_2)
	v_add_co_ci_u32_e32 v3, vcc_lo, v3, v7, vcc_lo
	flat_load_b64 v[2:3], v[2:3]
	s_waitcnt vmcnt(0) lgkmcnt(0)
	v_mad_u64_u32 v[6:7], null, 0xa8, v8, v[2:3]
	flat_load_b32 v2, v[6:7] offset:640
	v_add_co_u32 v20, vcc_lo, 0x1f8, v6
	v_add_co_ci_u32_e32 v21, vcc_lo, 0, v7, vcc_lo
	s_waitcnt vmcnt(0) lgkmcnt(0)
	v_cmp_eq_u32_e32 vcc_lo, 1, v2
                                        ; implicit-def: $vgpr2_vgpr3
	s_and_saveexec_b32 s1, vcc_lo
	s_cbranch_execz .LBB4_27
; %bb.25:
	flat_load_b64 v[2:3], v[20:21] offset:144
	s_waitcnt vmcnt(0) lgkmcnt(0)
	flat_load_b64 v[6:7], v[2:3]
	s_cbranch_execz .LBB4_26
; %bb.7835:
	s_getpc_b64 s[34:35]
.Lpost_getpc53:
	s_add_u32 s34, s34, (.LBB4_7541-.Lpost_getpc53)&4294967295
	s_addc_u32 s35, s35, (.LBB4_7541-.Lpost_getpc53)>>32
	s_setpc_b64 s[34:35]
.LBB4_26:
	s_waitcnt vmcnt(0) lgkmcnt(0)
	ds_store_b64 v0, v[6:7]
	flat_load_b64 v[6:7], v[2:3] offset:8
	v_or_b32_e32 v64, 0x2000, v64
	s_waitcnt vmcnt(0) lgkmcnt(0)
	ds_store_b64 v0, v[6:7]
	flat_load_b64 v[6:7], v[2:3] offset:16
	s_waitcnt vmcnt(0) lgkmcnt(0)
	ds_store_b64 v0, v[6:7]
.LBB4_27:
	s_or_b32 exec_lo, exec_lo, s1
	flat_load_b64 v[8:9], v[20:21] offset:104
	v_and_b32_e32 v6, 32, v64
	s_mov_b32 s1, exec_lo
                                        ; implicit-def: $vgpr22_vgpr23
	s_delay_alu instid0(VALU_DEP_1)
	v_cmpx_ne_u32_e32 0, v6
	s_cbranch_execz .LBB4_29
; %bb.28:
	flat_load_b64 v[22:23], v[20:21] offset:56
	s_waitcnt vmcnt(0) lgkmcnt(0)
	s_waitcnt_vscnt null, 0x0
	flat_store_b64 v[22:23], v[8:9]
.LBB4_29:
	s_or_b32 exec_lo, exec_lo, s1
	v_and_b32_e32 v24, 4, v64
	v_mov_b32_e32 v6, 0
	v_mov_b32_e32 v7, 0
                                        ; implicit-def: $vgpr65
                                        ; implicit-def: $vgpr26_vgpr27
	s_delay_alu instid0(VALU_DEP_3)
	v_cmp_ne_u32_e32 vcc_lo, 0, v24
                                        ; implicit-def: $vgpr24_vgpr25
	s_and_saveexec_b32 s1, vcc_lo
	s_cbranch_execz .LBB4_34
; %bb.30:
	v_and_b32_e32 v6, 0x800, v64
	s_mov_b32 s2, exec_lo
	s_delay_alu instid0(VALU_DEP_1)
	v_cmpx_eq_u32_e32 0, v6
	s_cbranch_execz .LBB4_33
; %bb.31:
	s_cbranch_execz .LBB4_32
; %bb.7837:
	s_getpc_b64 s[34:35]
.Lpost_getpc54:
	s_add_u32 s34, s34, (.LBB4_7545-.Lpost_getpc54)&4294967295
	s_addc_u32 s35, s35, (.LBB4_7545-.Lpost_getpc54)>>32
	s_setpc_b64 s[34:35]
.LBB4_32:
	ds_store_b64 v0, v[20:21]
.LBB4_33:
	s_or_b32 exec_lo, exec_lo, s2
	flat_load_b64 v[22:23], v[20:21] offset:48
	v_or_b32_e32 v33, 0x100, v64
	s_waitcnt vmcnt(0) lgkmcnt(0)
	flat_load_b64 v[26:27], v[22:23] glc
	s_clause 0x2
	flat_load_b64 v[6:7], v[20:21] offset:96
	flat_load_b32 v65, v[20:21] offset:72
	flat_load_b64 v[24:25], v[20:21] offset:16
	s_waitcnt vmcnt(2) lgkmcnt(2)
	v_cmp_eq_u64_e32 vcc_lo, 0, v[6:7]
	v_cndmask_b32_e32 v64, v33, v64, vcc_lo
.LBB4_34:
	s_or_b32 exec_lo, exec_lo, s1
.LBB4_35:
	s_delay_alu instid0(SALU_CYCLE_1) | instskip(NEXT) | instid1(VALU_DEP_1)
	s_or_b32 exec_lo, exec_lo, s0
	v_and_b32_e32 v33, 24, v64
	s_mov_b32 s0, exec_lo
                                        ; implicit-def: $vgpr34_vgpr35
	s_delay_alu instid0(VALU_DEP_1)
	v_cmpx_ne_u32_e32 0, v33
	s_cbranch_execz .LBB4_45
; %bb.36:
	s_cbranch_execz .LBB4_37
; %bb.7839:
	s_getpc_b64 s[34:35]
.Lpost_getpc55:
	s_add_u32 s34, s34, (.LBB4_7537-.Lpost_getpc55)&4294967295
	s_addc_u32 s35, s35, (.LBB4_7537-.Lpost_getpc55)>>32
	s_setpc_b64 s[34:35]
.LBB4_37:
	ds_load_b64 v[6:7], v0
	s_waitcnt lgkmcnt(1)
	v_ashrrev_i32_e32 v33, 31, v32
	s_mov_b32 s1, exec_lo
                                        ; implicit-def: $vgpr34_vgpr35
	s_waitcnt vmcnt(0)
	s_delay_alu instid0(VALU_DEP_1) | instskip(SKIP_1) | instid1(VALU_DEP_1)
	v_lshlrev_b64 v[8:9], 3, v[32:33]
	s_waitcnt lgkmcnt(0)
	v_add_co_u32 v6, vcc_lo, v6, v8
	s_delay_alu instid0(VALU_DEP_2)
	v_add_co_ci_u32_e32 v7, vcc_lo, v7, v9, vcc_lo
	v_and_b32_e32 v8, 0xffff, v16
	v_or_b32_e32 v16, 0x100, v64
	flat_load_b64 v[6:7], v[6:7]
	s_waitcnt vmcnt(0) lgkmcnt(0)
	v_mad_u64_u32 v[20:21], null, 0xa8, v8, v[6:7]
	flat_load_b128 v[6:9], v[20:21] offset:96
	s_waitcnt vmcnt(0) lgkmcnt(0)
	v_cmp_eq_u64_e32 vcc_lo, 0, v[6:7]
	v_cndmask_b32_e32 v64, v16, v64, vcc_lo
	s_delay_alu instid0(VALU_DEP_1) | instskip(NEXT) | instid1(VALU_DEP_1)
	v_and_b32_e32 v16, 16, v64
	v_cmpx_ne_u32_e32 0, v16
; %bb.38:
	s_clause 0x2
	flat_load_b64 v[34:35], v[20:21] offset:120
	flat_load_b64 v[22:23], v[20:21] offset:48
	;; [unrolled: 1-line block ×3, first 2 shown]
; %bb.39:
	s_or_b32 exec_lo, exec_lo, s1
	v_and_b32_e32 v16, 8, v64
	s_mov_b32 s1, exec_lo
	s_delay_alu instid0(VALU_DEP_1)
	v_cmpx_ne_u32_e32 0, v16
	s_cbranch_execz .LBB4_44
; %bb.40:
	v_and_b32_e32 v16, 0x800, v64
	s_mov_b32 s2, exec_lo
	s_delay_alu instid0(VALU_DEP_1)
	v_cmpx_eq_u32_e32 0, v16
	s_cbranch_execz .LBB4_43
; %bb.41:
	s_cbranch_execz .LBB4_42
; %bb.7841:
	s_getpc_b64 s[34:35]
.Lpost_getpc56:
	s_add_u32 s34, s34, (.LBB4_7562-.Lpost_getpc56)&4294967295
	s_addc_u32 s35, s35, (.LBB4_7562-.Lpost_getpc56)>>32
	s_setpc_b64 s[34:35]
.LBB4_42:
	ds_store_b64 v0, v[20:21]
.LBB4_43:
	s_or_b32 exec_lo, exec_lo, s2
	s_waitcnt vmcnt(1) lgkmcnt(1)
	flat_load_b64 v[22:23], v[20:21] offset:56
	s_waitcnt vmcnt(0) lgkmcnt(0)
	flat_load_b64 v[26:27], v[22:23] glc
	s_clause 0x1
	flat_load_b32 v65, v[20:21] offset:72
	flat_load_b64 v[24:25], v[20:21] offset:16
.LBB4_44:
	s_or_b32 exec_lo, exec_lo, s1
.LBB4_45:
	s_delay_alu instid0(SALU_CYCLE_1) | instskip(SKIP_1) | instid1(VALU_DEP_1)
	s_or_b32 exec_lo, exec_lo, s0
	v_cmp_eq_u32_e64 s0, 0, v0
	s_and_saveexec_b32 s1, s0
	s_cbranch_execz .LBB4_48
; %bb.46:
	s_waitcnt vmcnt(2)
	ds_store_2addr_b64 v0, v[12:13], v[10:11] offset1:1
	s_cbranch_execz .LBB4_47
; %bb.7843:
	s_getpc_b64 s[34:35]
.Lpost_getpc57:
	s_add_u32 s34, s34, (.LBB4_7539-.Lpost_getpc57)&4294967295
	s_addc_u32 s35, s35, (.LBB4_7539-.Lpost_getpc57)>>32
	s_setpc_b64 s[34:35]
.LBB4_47:
	v_mov_b32_e32 v10, 0
	s_delay_alu instid0(VALU_DEP_1)
	v_mov_b32_e32 v11, v10
	ds_store_b64 v0, v[10:11]
	s_waitcnt vmcnt(1)
	ds_store_b64 v0, v[29:30]
.LBB4_48:
	s_or_b32 exec_lo, exec_lo, s1
	s_waitcnt vmcnt(2)
	v_bfe_u32 v10, v15, 1, 30
	s_waitcnt lgkmcnt(0)
	v_dual_mov_b32 v33, 0 :: v_dual_and_b32 v32, 0x3ffffe00, v28
	s_waitcnt vmcnt(0)
	v_and_b32_e32 v30, 0xffff, v37
                                        ; implicit-def: $vgpr28_vgpr29
	s_mov_b32 s1, exec_lo
	v_cmpx_ne_u32_e64 v36, v10
	s_xor_b32 s15, exec_lo, s1
	s_cbranch_execnz .LBB4_49
; %bb.7845:
	s_getpc_b64 s[34:35]
.Lpost_getpc58:
	s_add_u32 s34, s34, (.LBB4_5726-.Lpost_getpc58)&4294967295
	s_addc_u32 s35, s35, (.LBB4_5726-.Lpost_getpc58)>>32
	s_setpc_b64 s[34:35]
.LBB4_49:
	v_cmp_ne_u64_e64 s1, 0, v[4:5]
                                        ; implicit-def: $vgpr28_vgpr29
	s_mov_b32 s2, exec_lo
	v_cmpx_ne_u32_e64 v14, v10
	s_xor_b32 s16, exec_lo, s2
	s_cbranch_execz .LBB4_2893
; %bb.50:
	v_mov_b32_e32 v28, 0
	v_mov_b32_e32 v29, 0
	s_and_saveexec_b32 s17, s1
	s_cbranch_execz .LBB4_2892
; %bb.51:
	v_cmp_ge_i32_e64 s2, v0, v1
	s_cbranch_execz .LBB4_52
; %bb.7847:
	s_getpc_b64 s[34:35]
.Lpost_getpc59:
	s_add_u32 s34, s34, (.LBB4_7560-.Lpost_getpc59)&4294967295
	s_addc_u32 s35, s35, (.LBB4_7560-.Lpost_getpc59)>>32
	s_setpc_b64 s[34:35]
.LBB4_52:
	v_ashrrev_i32_e32 v10, 31, v0
	v_lshrrev_b32_e32 v67, 5, v1
	v_dual_mov_b32 v38, 0 :: v_dual_and_b32 v11, 31, v31
	s_ashr_i32 s5, s14, 31
	s_delay_alu instid0(VALU_DEP_3)
	v_lshrrev_b32_e32 v10, 27, v10
	s_lshr_b32 s5, s5, 24
	v_and_b32_e32 v83, 0xffffffe0, v1
	s_add_i32 s11, s14, s5
	v_cmp_eq_u32_e64 s5, 0, v11
	v_dual_mov_b32 v37, 0 :: v_dual_add_nc_u32 v10, v0, v10
	v_cmp_eq_u32_e32 vcc_lo, 32, v1
	v_ashrrev_i32_e32 v66, 31, v65
	v_cmp_ne_u32_e64 s3, 32, v1
	s_delay_alu instid0(VALU_DEP_4) | instskip(SKIP_3) | instid1(VALU_DEP_4)
	v_dual_mov_b32 v39, 0 :: v_dual_and_b32 v12, 0xffffffe0, v10
	v_dual_mov_b32 v28, v38 :: v_dual_lshlrev_b32 v69, 9, v67
	v_ashrrev_i32_e32 v68, 5, v10
	v_lshl_add_u32 v10, v67, 10, 0xfffffc00
	v_sub_nc_u32_e32 v70, v0, v12
	s_delay_alu instid0(VALU_DEP_4) | instskip(NEXT) | instid1(VALU_DEP_4)
	v_add_nc_u32_e32 v13, 0xfffffe00, v69
	v_dual_mov_b32 v87, 1 :: v_dual_lshlrev_b32 v12, 10, v68
	s_delay_alu instid0(VALU_DEP_4) | instskip(SKIP_1) | instid1(VALU_DEP_4)
	v_ashrrev_i32_e32 v11, 31, v10
	v_add_co_u32 v80, s6, 0x400, v10
	v_ashrrev_i32_e32 v10, 31, v13
	s_delay_alu instid0(VALU_DEP_4) | instskip(SKIP_2) | instid1(VALU_DEP_4)
	v_lshl_add_u32 v71, v70, 4, v12
	v_add_co_u32 v84, s10, 0x200, v13
	v_add_co_ci_u32_e64 v81, s6, 0, v11, s6
	v_add_co_ci_u32_e64 v85, s10, 0, v10, s10
	v_cmp_eq_u64_e64 s10, 0, v[34:35]
	v_cmp_ne_u32_e64 s4, v30, v1
	v_cmp_le_i32_e64 s6, v70, v17
	v_cmp_lt_i32_e64 s7, v70, v17
	v_ashrrev_i32_e32 v82, 31, v71
	v_ashrrev_i32_e32 v86, 31, v83
	v_mov_b32_e32 v29, v39
	s_ashr_i32 s19, s11, 8
	s_mov_b32 s18, 0
	s_xor_b32 s20, vcc_lo, -1
.LBB4_53:                               ; =>This Loop Header: Depth=1
                                        ;     Child Loop BB4_63 Depth 2
                                        ;     Child Loop BB4_93 Depth 2
	;; [unrolled: 1-line block ×10, first 2 shown]
	v_sub_co_u32 v10, vcc_lo, v4, v38
	v_sub_co_ci_u32_e32 v11, vcc_lo, v5, v39, vcc_lo
	v_mov_b32_e32 v12, 0
	s_delay_alu instid0(VALU_DEP_2) | instskip(SKIP_2) | instid1(VALU_DEP_2)
	v_cmp_lt_u64_e32 vcc_lo, v[32:33], v[10:11]
	v_cndmask_b32_e32 v48, v10, v32, vcc_lo
	v_cndmask_b32_e64 v49, v11, 0, vcc_lo
	v_add_nc_u32_e32 v10, 15, v48
	s_delay_alu instid0(VALU_DEP_2) | instskip(NEXT) | instid1(VALU_DEP_2)
	v_cmp_eq_u64_e32 vcc_lo, 0, v[48:49]
	v_and_b32_e32 v10, 0x7ffffff0, v10
	s_or_b32 s21, s2, vcc_lo
	s_delay_alu instid0(SALU_CYCLE_1) | instskip(NEXT) | instid1(VALU_DEP_1)
	s_xor_b32 s11, s21, -1
	v_max_i32_e32 v49, s19, v10
	s_and_saveexec_b32 s22, s11
	s_cbranch_execz .LBB4_2830
; %bb.54:                               ;   in Loop: Header=BB4_53 Depth=1
	s_and_saveexec_b32 s11, s0
	s_cbranch_execz .LBB4_57
; %bb.55:                               ;   in Loop: Header=BB4_53 Depth=1
	s_cbranch_execz .LBB4_56
; %bb.7849:
	s_getpc_b64 s[34:35]
.Lpost_getpc60:
	s_add_u32 s34, s34, (.LBB4_7588-.Lpost_getpc60)&4294967295
	s_addc_u32 s35, s35, (.LBB4_7588-.Lpost_getpc60)>>32
	s_setpc_b64 s[34:35]
.LBB4_56:                               ;   in Loop: Header=BB4_53 Depth=1
	ds_load_b64 v[10:11], v0
	v_mov_b32_e32 v36, v37
	s_waitcnt lgkmcnt(0)
	v_add_co_u32 v10, vcc_lo, v10, v18
	v_add_co_ci_u32_e32 v11, vcc_lo, v11, v19, vcc_lo
	s_delay_alu instid0(VALU_DEP_2) | instskip(NEXT) | instid1(VALU_DEP_2)
	v_add_co_u32 v10, vcc_lo, v10, v38
	v_add_co_ci_u32_e32 v11, vcc_lo, v11, v39, vcc_lo
	ds_store_b64 v0, v[10:11]
	ds_store_b64 v0, v[36:37]
.LBB4_57:                               ;   in Loop: Header=BB4_53 Depth=1
	s_or_b32 exec_lo, exec_lo, s11
	v_and_b32_e32 v10, 12, v64
	s_mov_b32 s12, -1
	s_mov_b32 s11, exec_lo
	s_delay_alu instid0(VALU_DEP_1)
	v_cmpx_ne_u32_e32 0, v10
	s_cbranch_execz .LBB4_71
; %bb.58:                               ;   in Loop: Header=BB4_53 Depth=1
	v_and_b32_e32 v12, 8, v64
	s_delay_alu instid0(VALU_DEP_1) | instskip(SKIP_3) | instid1(VALU_DEP_1)
	v_add_co_u32 v13, vcc_lo, v26, v12
	v_add_co_ci_u32_e32 v14, vcc_lo, 0, v27, vcc_lo
	v_add_co_u32 v10, vcc_lo, v8, 1
	v_add_co_ci_u32_e32 v11, vcc_lo, 0, v9, vcc_lo
	v_cmp_lt_u64_e32 vcc_lo, v[13:14], v[10:11]
	v_mov_b32_e32 v13, 1
	s_and_saveexec_b32 s12, vcc_lo
	s_cbranch_execz .LBB4_70
; %bb.59:                               ;   in Loop: Header=BB4_53 Depth=1
	v_mov_b32_e32 v13, 0
	s_mov_b32 s23, 0
                                        ; implicit-def: $sgpr24
	s_branch .LBB4_63
.LBB4_60:                               ;   in Loop: Header=BB4_63 Depth=2
	s_or_b32 exec_lo, exec_lo, s28
	v_mov_b32_e32 v14, 0
	s_or_not1_b32 s27, s27, exec_lo
.LBB4_61:                               ;   in Loop: Header=BB4_63 Depth=2
	s_or_b32 exec_lo, exec_lo, s26
	s_delay_alu instid0(VALU_DEP_1) | instskip(SKIP_2) | instid1(SALU_CYCLE_1)
	v_mov_b32_e32 v13, v14
	s_and_not1_b32 s24, s24, exec_lo
	s_and_b32 s26, s27, exec_lo
	s_or_b32 s24, s24, s26
.LBB4_62:                               ;   in Loop: Header=BB4_63 Depth=2
	s_or_b32 exec_lo, exec_lo, s25
	s_waitcnt vmcnt(0) lgkmcnt(0)
	v_add_co_u32 v14, vcc_lo, v26, v12
	v_add_co_ci_u32_e32 v15, vcc_lo, 0, v27, vcc_lo
	s_xor_b32 s25, s24, -1
	s_delay_alu instid0(VALU_DEP_1) | instskip(SKIP_1) | instid1(SALU_CYCLE_1)
	v_cmp_ge_u64_e32 vcc_lo, v[14:15], v[10:11]
	s_or_b32 s25, s25, vcc_lo
	s_and_b32 s25, exec_lo, s25
	s_delay_alu instid0(SALU_CYCLE_1) | instskip(NEXT) | instid1(SALU_CYCLE_1)
	s_or_b32 s23, s25, s23
	s_and_not1_b32 exec_lo, exec_lo, s23
	s_cbranch_execz .LBB4_69
.LBB4_63:                               ;   Parent Loop BB4_53 Depth=1
                                        ; =>  This Inner Loop Header: Depth=2
	s_sleep 1
	flat_load_b64 v[26:27], v[22:23] glc
	v_and_b32_e32 v14, 64, v64
	s_and_not1_b32 s24, s24, exec_lo
	s_mov_b32 s25, exec_lo
	s_delay_alu instid0(VALU_DEP_1)
	v_cmpx_eq_u32_e32 0, v14
	s_cbranch_execz .LBB4_62
; %bb.64:                               ;   in Loop: Header=BB4_63 Depth=2
	v_add_nc_u32_e32 v14, 1, v13
	s_mov_b32 s27, -1
	s_mov_b32 s26, exec_lo
	v_cmpx_lt_i32_e32 0x270e, v13
	s_cbranch_execz .LBB4_61
; %bb.65:                               ;   in Loop: Header=BB4_63 Depth=2
	s_cbranch_execz .LBB4_66
; %bb.7851:
	s_getpc_b64 s[34:35]
.Lpost_getpc61:
	s_add_u32 s34, s34, (.LBB4_7610-.Lpost_getpc61)&4294967295
	s_addc_u32 s35, s35, (.LBB4_7610-.Lpost_getpc61)>>32
	s_setpc_b64 s[34:35]
.LBB4_66:                               ;   in Loop: Header=BB4_63 Depth=2
	ds_load_b64 v[13:14], v0
	s_mov_b32 s28, exec_lo
	s_waitcnt vmcnt(0) lgkmcnt(0)
	s_waitcnt_vscnt null, 0x0
	flat_load_b32 v13, v[13:14] glc
	s_waitcnt vmcnt(0) lgkmcnt(0)
	buffer_gl1_inv
	buffer_gl0_inv
	v_cmpx_ne_u32_e32 0, v13
	s_cbranch_execz .LBB4_60
; %bb.67:                               ;   in Loop: Header=BB4_63 Depth=2
	ds_store_b32 v0, v13
	s_cbranch_execz .LBB4_68
; %bb.7853:
	s_getpc_b64 s[34:35]
.Lpost_getpc62:
	s_add_u32 s34, s34, (.LBB4_7643-.Lpost_getpc62)&4294967295
	s_addc_u32 s35, s35, (.LBB4_7643-.Lpost_getpc62)>>32
	s_setpc_b64 s[34:35]
.LBB4_68:                               ;   in Loop: Header=BB4_63 Depth=2
	v_or_b32_e32 v64, 64, v64
	s_xor_b32 s27, exec_lo, -1
	s_branch .LBB4_60
.LBB4_69:                               ;   in Loop: Header=BB4_53 Depth=1
	s_or_b32 exec_lo, exec_lo, s23
	v_and_b32_e32 v13, 12, v64
.LBB4_70:                               ;   in Loop: Header=BB4_53 Depth=1
	s_or_b32 exec_lo, exec_lo, s12
	s_delay_alu instid0(VALU_DEP_1)
	v_cmp_eq_u32_e32 vcc_lo, 0, v13
	;;#ASMSTART
	s_wakeup
	;;#ASMEND
	s_or_not1_b32 s12, vcc_lo, exec_lo
.LBB4_71:                               ;   in Loop: Header=BB4_53 Depth=1
	s_or_b32 exec_lo, exec_lo, s11
	v_min_u32_e32 v49, v49, v48
	s_xor_b32 s11, s12, -1
	s_delay_alu instid0(SALU_CYCLE_1)
	s_and_saveexec_b32 s12, s11
	s_cbranch_execz .LBB4_84
; %bb.72:                               ;   in Loop: Header=BB4_53 Depth=1
	v_and_b32_e32 v10, 0x108, v64
	v_and_b32_e32 v14, 7, v8
	s_mov_b32 s11, exec_lo
	s_delay_alu instid0(VALU_DEP_2) | instskip(SKIP_1) | instid1(SALU_CYCLE_1)
	v_cmpx_ne_u32_e32 0x108, v10
	s_xor_b32 s11, exec_lo, s11
	s_and_not1_saveexec_b32 s11, s11
	s_cbranch_execz .LBB4_74
; %bb.73:                               ;   in Loop: Header=BB4_53 Depth=1
	v_mad_u64_u32 v[10:11], null, v14, 24, v[6:7]
	v_mov_b32_e32 v50, v37
	flat_store_b64 v[10:11], v[49:50] offset:8
.LBB4_74:                               ;   in Loop: Header=BB4_53 Depth=1
	s_or_b32 exec_lo, exec_lo, s11
	v_and_b32_e32 v10, 0x100, v64
	s_mov_b32 s11, -1
	s_delay_alu instid0(VALU_DEP_1)
	v_cmp_ne_u32_e32 vcc_lo, 0, v10
                                        ; implicit-def: $vgpr10_vgpr11
	s_and_saveexec_b32 s23, vcc_lo
	s_cbranch_execnz .LBB4_77
; %bb.75:                               ;   in Loop: Header=BB4_53 Depth=1
	s_or_b32 exec_lo, exec_lo, s23
	s_and_saveexec_b32 s23, s11
	s_cbranch_execnz .LBB4_80
.LBB4_76:                               ;   in Loop: Header=BB4_53 Depth=1
	s_or_b32 exec_lo, exec_lo, s23
	s_cbranch_execz .LBB4_81
; %bb.7855:
	s_getpc_b64 s[34:35]
.Lpost_getpc63:
	s_add_u32 s34, s34, (.LBB4_7604-.Lpost_getpc63)&4294967295
	s_addc_u32 s35, s35, (.LBB4_7604-.Lpost_getpc63)>>32
	s_setpc_b64 s[34:35]
.LBB4_77:                               ;   in Loop: Header=BB4_53 Depth=1
	v_mad_u64_u32 v[12:13], null, v14, 24, v[6:7]
	s_delay_alu instid0(VALU_DEP_1) | instskip(NEXT) | instid1(VALU_DEP_1)
	v_mov_b32_e32 v10, v13
	v_mad_u64_u32 v[15:16], null, v37, 24, v[10:11]
	s_delay_alu instid0(VALU_DEP_1) | instskip(SKIP_4) | instid1(VALU_DEP_1)
	v_mov_b32_e32 v13, v15
	flat_load_b32 v10, v[12:13]
	s_waitcnt vmcnt(0) lgkmcnt(0)
	v_cmp_ne_u32_e32 vcc_lo, 1, v10
	v_cmp_eq_u32_e64 s11, 1, v10
                                        ; implicit-def: $vgpr10_vgpr11
	s_and_saveexec_b32 s24, s11
	s_cbranch_execz .LBB4_79
; %bb.78:                               ;   in Loop: Header=BB4_53 Depth=1
	flat_load_b32 v10, v[12:13] offset:4 glc
	s_waitcnt vmcnt(0) lgkmcnt(0)
	v_ashrrev_i32_e32 v11, 31, v10
.LBB4_79:                               ;   in Loop: Header=BB4_53 Depth=1
	s_or_b32 exec_lo, exec_lo, s24
	s_delay_alu instid0(SALU_CYCLE_1)
	s_or_not1_b32 s11, vcc_lo, exec_lo
	s_or_b32 exec_lo, exec_lo, s23
	s_and_saveexec_b32 s23, s11
	s_cbranch_execz .LBB4_76
.LBB4_80:                               ;   in Loop: Header=BB4_53 Depth=1
	v_mul_lo_u32 v12, v37, v65
	v_mul_lo_u32 v13, v14, v66
	v_mad_u64_u32 v[10:11], null, v14, v65, 0
	s_delay_alu instid0(VALU_DEP_1)
	v_add3_u32 v11, v11, v13, v12
	s_or_b32 exec_lo, exec_lo, s23
	s_cbranch_execz .LBB4_81
; %bb.7857:
	s_getpc_b64 s[34:35]
.Lpost_getpc64:
	s_add_u32 s34, s34, (.LBB4_7604-.Lpost_getpc64)&4294967295
	s_addc_u32 s35, s35, (.LBB4_7604-.Lpost_getpc64)>>32
	s_setpc_b64 s[34:35]
.LBB4_81:                               ;   in Loop: Header=BB4_53 Depth=1
	s_delay_alu instid0(VALU_DEP_2)
	v_add_co_u32 v10, vcc_lo, v24, v10
	v_and_b32_e32 v12, 0x2000, v64
	v_add_co_ci_u32_e32 v11, vcc_lo, v25, v11, vcc_lo
	s_mov_b32 s11, exec_lo
	ds_store_b64 v0, v[10:11]
	v_cmpx_ne_u32_e32 0, v12
	s_cbranch_execz .LBB4_83
; %bb.82:                               ;   in Loop: Header=BB4_53 Depth=1
	ds_load_b64 v[10:11], v0 offset:584
	s_waitcnt lgkmcnt(0)
	v_add_co_u32 v10, vcc_lo, v10, 1
	v_add_co_ci_u32_e32 v11, vcc_lo, 0, v11, vcc_lo
	ds_store_b64 v0, v[10:11] offset:584
.LBB4_83:                               ;   in Loop: Header=BB4_53 Depth=1
	s_or_b32 exec_lo, exec_lo, s11
	v_add_co_u32 v8, vcc_lo, v8, 1
	v_add_co_ci_u32_e32 v9, vcc_lo, 0, v9, vcc_lo
.LBB4_84:                               ;   in Loop: Header=BB4_53 Depth=1
	s_or_b32 exec_lo, exec_lo, s12
	s_and_saveexec_b32 s11, s3
	s_cbranch_execz .LBB4_106
; %bb.85:                               ;   in Loop: Header=BB4_53 Depth=1
	s_and_saveexec_b32 s12, s4
	s_delay_alu instid0(SALU_CYCLE_1)
	s_xor_b32 s12, exec_lo, s12
	s_cbranch_execz .LBB4_103
; %bb.86:                               ;   in Loop: Header=BB4_53 Depth=1
	s_and_saveexec_b32 s23, s5
	s_cbranch_execz .LBB4_102
; %bb.87:                               ;   in Loop: Header=BB4_53 Depth=1
	s_mov_b32 s25, exec_lo
	s_mov_b32 s24, exec_lo
	v_mbcnt_lo_u32_b32 v10, s25, 0
	s_waitcnt lgkmcnt(0)
	s_waitcnt_vscnt null, 0x0
	buffer_gl1_inv
	buffer_gl0_inv
	v_cmpx_eq_u32_e32 0, v10
	s_cbranch_execz .LBB4_89
; %bb.88:                               ;   in Loop: Header=BB4_53 Depth=1
	s_bcnt1_i32_b32 s25, s25
	s_delay_alu instid0(SALU_CYCLE_1)
	v_mov_b32_e32 v36, s25
	ds_add_u64 v0, v[36:37]
	s_cbranch_execz .LBB4_89
; %bb.7859:
	s_getpc_b64 s[34:35]
.Lpost_getpc65:
	s_add_u32 s34, s34, (.LBB4_7669-.Lpost_getpc65)&4294967295
	s_addc_u32 s35, s35, (.LBB4_7669-.Lpost_getpc65)>>32
	s_setpc_b64 s[34:35]
.LBB4_89:                               ;   in Loop: Header=BB4_53 Depth=1
	s_or_b32 exec_lo, exec_lo, s24
	s_cbranch_execz .LBB4_90
; %bb.7861:
	s_getpc_b64 s[34:35]
.Lpost_getpc66:
	s_add_u32 s34, s34, (.LBB4_7657-.Lpost_getpc66)&4294967295
	s_addc_u32 s35, s35, (.LBB4_7657-.Lpost_getpc66)>>32
	s_setpc_b64 s[34:35]
.LBB4_90:                               ;   in Loop: Header=BB4_53 Depth=1
	ds_load_b64 v[10:11], v0
	v_add_co_u32 v28, vcc_lo, v28, v67
	v_add_co_ci_u32_e32 v29, vcc_lo, 0, v29, vcc_lo
	s_mov_b32 s24, exec_lo
	s_waitcnt lgkmcnt(0)
	s_delay_alu instid0(VALU_DEP_1)
	v_cmpx_lt_u64_e64 v[10:11], v[28:29]
	s_cbranch_execz .LBB4_101
; %bb.91:                               ;   in Loop: Header=BB4_53 Depth=1
	s_mov_b32 s25, 0
	s_mov_b32 s28, 0
                                        ; implicit-def: $sgpr26
                                        ; implicit-def: $sgpr27
	s_branch .LBB4_93
.LBB4_92:                               ;   in Loop: Header=BB4_93 Depth=2
	s_or_b32 exec_lo, exec_lo, vcc_hi
	s_delay_alu instid0(SALU_CYCLE_1) | instskip(NEXT) | instid1(SALU_CYCLE_1)
	s_and_b32 s29, exec_lo, vcc_lo
	s_or_b32 s25, s29, s25
	s_and_not1_b32 s26, s26, exec_lo
	s_and_b32 s29, s27, exec_lo
	s_delay_alu instid0(SALU_CYCLE_1)
	s_or_b32 s26, s26, s29
	s_and_not1_b32 exec_lo, exec_lo, s25
	s_cbranch_execz .LBB4_99
.LBB4_93:                               ;   Parent Loop BB4_53 Depth=1
                                        ; =>  This Inner Loop Header: Depth=2
	s_add_i32 s28, s28, 1
                                        ; implicit-def: $vcc_hi
	s_delay_alu instid0(SALU_CYCLE_1) | instskip(SKIP_1) | instid1(SALU_CYCLE_1)
	s_cmpk_lg_i32 s28, 0x2710
	s_cselect_b32 s29, -1, 0
	s_and_b32 vcc_lo, exec_lo, s29
	s_cbranch_vccz .LBB4_97
.LBB4_94:                               ;   in Loop: Header=BB4_93 Depth=2
	s_and_not1_b32 s27, s27, exec_lo
	s_and_b32 vcc_hi, vcc_hi, exec_lo
	s_mov_b32 vcc_lo, -1
	s_or_b32 s27, s27, vcc_hi
	s_and_saveexec_b32 vcc_hi, s29
	s_cbranch_execz .LBB4_92
; %bb.95:                               ;   in Loop: Header=BB4_93 Depth=2
	s_sleep 1
	s_cbranch_execz .LBB4_96
; %bb.7863:
	s_getpc_b64 s[34:35]
.Lpost_getpc67:
	s_add_u32 s34, s34, (.LBB4_7703-.Lpost_getpc67)&4294967295
	s_addc_u32 s35, s35, (.LBB4_7703-.Lpost_getpc67)>>32
	s_setpc_b64 s[34:35]
.LBB4_96:                               ;   in Loop: Header=BB4_93 Depth=2
	ds_load_b64 v[10:11], v0
	s_and_not1_b32 s27, s27, exec_lo
	s_waitcnt lgkmcnt(0)
	v_cmp_ge_u64_e32 vcc_lo, v[10:11], v[28:29]
	s_or_not1_b32 vcc_lo, vcc_lo, exec_lo
	s_branch .LBB4_92
.LBB4_97:                               ;   in Loop: Header=BB4_93 Depth=2
	s_cbranch_execz .LBB4_98
; %bb.7865:
	s_getpc_b64 s[34:35]
.Lpost_getpc68:
	s_add_u32 s34, s34, (.LBB4_7721-.Lpost_getpc68)&4294967295
	s_addc_u32 s35, s35, (.LBB4_7721-.Lpost_getpc68)>>32
	s_setpc_b64 s[34:35]
.LBB4_98:                               ;   in Loop: Header=BB4_93 Depth=2
	ds_load_b64 v[10:11], v0
	s_and_not1_b32 s29, s29, exec_lo
	s_mov_b32 s28, 0
	s_waitcnt lgkmcnt(0)
	flat_load_b32 v10, v[10:11] glc
	s_waitcnt vmcnt(0) lgkmcnt(0)
	buffer_gl1_inv
	buffer_gl0_inv
	v_cmp_eq_u32_e32 vcc_lo, 0, v10
	s_mov_b32 vcc_hi, -1
	s_and_b32 vcc_lo, vcc_lo, exec_lo
	s_delay_alu instid0(SALU_CYCLE_1)
	s_or_b32 s29, s29, vcc_lo
	s_branch .LBB4_94
.LBB4_99:                               ;   in Loop: Header=BB4_53 Depth=1
	s_or_b32 exec_lo, exec_lo, s25
	s_and_saveexec_b32 s25, s26
	s_delay_alu instid0(SALU_CYCLE_1)
	s_xor_b32 s25, exec_lo, s25
	s_cbranch_execz .LBB4_101
; %bb.100:                              ;   in Loop: Header=BB4_53 Depth=1
	ds_store_b32 v0, v87
	s_cbranch_execz .LBB4_101
; %bb.7867:
	s_getpc_b64 s[34:35]
.Lpost_getpc69:
	s_add_u32 s34, s34, (.LBB4_7799-.Lpost_getpc69)&4294967295
	s_addc_u32 s35, s35, (.LBB4_7799-.Lpost_getpc69)>>32
	s_setpc_b64 s[34:35]
.LBB4_101:                              ;   in Loop: Header=BB4_53 Depth=1
	s_or_b32 exec_lo, exec_lo, s24
	;;#ASMSTART
	s_wakeup
	;;#ASMEND
.LBB4_102:                              ;   in Loop: Header=BB4_53 Depth=1
	s_or_b32 exec_lo, exec_lo, s23
.LBB4_103:                              ;   in Loop: Header=BB4_53 Depth=1
	s_and_not1_saveexec_b32 s12, s12
	s_cbranch_execz .LBB4_105
; %bb.104:                              ;   in Loop: Header=BB4_53 Depth=1
	s_waitcnt lgkmcnt(0)
	s_waitcnt_vscnt null, 0x0
	buffer_gl1_inv
	buffer_gl0_inv
	s_barrier
.LBB4_105:                              ;   in Loop: Header=BB4_53 Depth=1
	s_or_b32 exec_lo, exec_lo, s12
.LBB4_106:                              ;   in Loop: Header=BB4_53 Depth=1
	s_delay_alu instid0(SALU_CYCLE_1)
	s_or_b32 exec_lo, exec_lo, s11
	s_cbranch_execz .LBB4_107
; %bb.7869:
	s_getpc_b64 s[34:35]
.Lpost_getpc70:
	s_add_u32 s34, s34, (.LBB4_7594-.Lpost_getpc70)&4294967295
	s_addc_u32 s35, s35, (.LBB4_7594-.Lpost_getpc70)>>32
	s_setpc_b64 s[34:35]
.LBB4_107:                              ;   in Loop: Header=BB4_53 Depth=1
	ds_load_b32 v10, v0
	v_and_b32_e32 v11, 0x4000, v64
	s_delay_alu instid0(VALU_DEP_1) | instskip(SKIP_1) | instid1(SALU_CYCLE_1)
	v_cmp_ne_u32_e32 vcc_lo, 0, v11
	s_and_b32 s12, s20, vcc_lo
	s_and_saveexec_b32 s11, s12
	s_cbranch_execz .LBB4_129
; %bb.108:                              ;   in Loop: Header=BB4_53 Depth=1
	s_and_saveexec_b32 s12, s4
	s_delay_alu instid0(SALU_CYCLE_1)
	s_xor_b32 s12, exec_lo, s12
	s_cbranch_execz .LBB4_126
; %bb.109:                              ;   in Loop: Header=BB4_53 Depth=1
	s_and_saveexec_b32 s23, s5
	s_cbranch_execz .LBB4_125
; %bb.110:                              ;   in Loop: Header=BB4_53 Depth=1
	s_mov_b32 s25, exec_lo
	s_mov_b32 s24, exec_lo
	v_mbcnt_lo_u32_b32 v11, s25, 0
	s_waitcnt lgkmcnt(0)
	s_waitcnt_vscnt null, 0x0
	buffer_gl1_inv
	buffer_gl0_inv
	v_cmpx_eq_u32_e32 0, v11
	s_cbranch_execz .LBB4_112
; %bb.111:                              ;   in Loop: Header=BB4_53 Depth=1
	s_bcnt1_i32_b32 s25, s25
	s_delay_alu instid0(SALU_CYCLE_1)
	v_mov_b32_e32 v36, s25
	ds_add_u64 v0, v[36:37]
	s_cbranch_execz .LBB4_112
; %bb.7871:
	s_getpc_b64 s[34:35]
.Lpost_getpc71:
	s_add_u32 s34, s34, (.LBB4_7699-.Lpost_getpc71)&4294967295
	s_addc_u32 s35, s35, (.LBB4_7699-.Lpost_getpc71)>>32
	s_setpc_b64 s[34:35]
.LBB4_112:                              ;   in Loop: Header=BB4_53 Depth=1
	s_or_b32 exec_lo, exec_lo, s24
	s_cbranch_execz .LBB4_113
; %bb.7873:
	s_getpc_b64 s[34:35]
.Lpost_getpc72:
	s_add_u32 s34, s34, (.LBB4_7687-.Lpost_getpc72)&4294967295
	s_addc_u32 s35, s35, (.LBB4_7687-.Lpost_getpc72)>>32
	s_setpc_b64 s[34:35]
.LBB4_113:                              ;   in Loop: Header=BB4_53 Depth=1
	ds_load_b64 v[11:12], v0
	v_add_co_u32 v28, vcc_lo, v28, v67
	v_add_co_ci_u32_e32 v29, vcc_lo, 0, v29, vcc_lo
	s_mov_b32 s24, exec_lo
	s_waitcnt lgkmcnt(0)
	s_delay_alu instid0(VALU_DEP_1)
	v_cmpx_lt_u64_e64 v[11:12], v[28:29]
	s_cbranch_execz .LBB4_124
; %bb.114:                              ;   in Loop: Header=BB4_53 Depth=1
	s_mov_b32 s25, 0
	s_mov_b32 s28, 0
                                        ; implicit-def: $sgpr26
                                        ; implicit-def: $sgpr27
	s_branch .LBB4_116
.LBB4_115:                              ;   in Loop: Header=BB4_116 Depth=2
	s_or_b32 exec_lo, exec_lo, vcc_hi
	s_delay_alu instid0(SALU_CYCLE_1) | instskip(NEXT) | instid1(SALU_CYCLE_1)
	s_and_b32 s29, exec_lo, vcc_lo
	s_or_b32 s25, s29, s25
	s_and_not1_b32 s26, s26, exec_lo
	s_and_b32 s29, s27, exec_lo
	s_delay_alu instid0(SALU_CYCLE_1)
	s_or_b32 s26, s26, s29
	s_and_not1_b32 exec_lo, exec_lo, s25
	s_cbranch_execz .LBB4_122
.LBB4_116:                              ;   Parent Loop BB4_53 Depth=1
                                        ; =>  This Inner Loop Header: Depth=2
	s_add_i32 s28, s28, 1
                                        ; implicit-def: $vcc_hi
	s_delay_alu instid0(SALU_CYCLE_1) | instskip(SKIP_1) | instid1(SALU_CYCLE_1)
	s_cmpk_lg_i32 s28, 0x2710
	s_cselect_b32 s29, -1, 0
	s_and_b32 vcc_lo, exec_lo, s29
	s_cbranch_vccz .LBB4_120
.LBB4_117:                              ;   in Loop: Header=BB4_116 Depth=2
	s_and_not1_b32 s27, s27, exec_lo
	s_and_b32 vcc_hi, vcc_hi, exec_lo
	s_mov_b32 vcc_lo, -1
	s_or_b32 s27, s27, vcc_hi
	s_and_saveexec_b32 vcc_hi, s29
	s_cbranch_execz .LBB4_115
; %bb.118:                              ;   in Loop: Header=BB4_116 Depth=2
	s_sleep 1
	s_cbranch_execz .LBB4_119
; %bb.7875:
	s_getpc_b64 s[34:35]
.Lpost_getpc73:
	s_add_u32 s34, s34, (.LBB4_7757-.Lpost_getpc73)&4294967295
	s_addc_u32 s35, s35, (.LBB4_7757-.Lpost_getpc73)>>32
	s_setpc_b64 s[34:35]
.LBB4_119:                              ;   in Loop: Header=BB4_116 Depth=2
	ds_load_b64 v[11:12], v0
	s_and_not1_b32 s27, s27, exec_lo
	s_waitcnt lgkmcnt(0)
	v_cmp_ge_u64_e32 vcc_lo, v[11:12], v[28:29]
	s_or_not1_b32 vcc_lo, vcc_lo, exec_lo
	s_branch .LBB4_115
.LBB4_120:                              ;   in Loop: Header=BB4_116 Depth=2
	s_cbranch_execz .LBB4_121
; %bb.7877:
	s_getpc_b64 s[34:35]
.Lpost_getpc74:
	s_add_u32 s34, s34, (.LBB4_7765-.Lpost_getpc74)&4294967295
	s_addc_u32 s35, s35, (.LBB4_7765-.Lpost_getpc74)>>32
	s_setpc_b64 s[34:35]
.LBB4_121:                              ;   in Loop: Header=BB4_116 Depth=2
	ds_load_b64 v[11:12], v0
	s_and_not1_b32 s29, s29, exec_lo
	s_mov_b32 s28, 0
	s_waitcnt lgkmcnt(0)
	flat_load_b32 v11, v[11:12] glc
	s_waitcnt vmcnt(0) lgkmcnt(0)
	buffer_gl1_inv
	buffer_gl0_inv
	v_cmp_eq_u32_e32 vcc_lo, 0, v11
	s_mov_b32 vcc_hi, -1
	s_and_b32 vcc_lo, vcc_lo, exec_lo
	s_delay_alu instid0(SALU_CYCLE_1)
	s_or_b32 s29, s29, vcc_lo
	s_branch .LBB4_117
.LBB4_122:                              ;   in Loop: Header=BB4_53 Depth=1
	s_or_b32 exec_lo, exec_lo, s25
	s_and_saveexec_b32 s25, s26
	s_delay_alu instid0(SALU_CYCLE_1)
	s_xor_b32 s25, exec_lo, s25
	s_cbranch_execz .LBB4_124
; %bb.123:                              ;   in Loop: Header=BB4_53 Depth=1
	ds_store_b32 v0, v87
	s_cbranch_execz .LBB4_124
; %bb.7879:
	s_getpc_b64 s[34:35]
.Lpost_getpc75:
	s_add_u32 s34, s34, (.LBB4_7809-.Lpost_getpc75)&4294967295
	s_addc_u32 s35, s35, (.LBB4_7809-.Lpost_getpc75)>>32
	s_setpc_b64 s[34:35]
.LBB4_124:                              ;   in Loop: Header=BB4_53 Depth=1
	s_or_b32 exec_lo, exec_lo, s24
	;;#ASMSTART
	s_wakeup
	;;#ASMEND
.LBB4_125:                              ;   in Loop: Header=BB4_53 Depth=1
	s_or_b32 exec_lo, exec_lo, s23
.LBB4_126:                              ;   in Loop: Header=BB4_53 Depth=1
	s_and_not1_saveexec_b32 s12, s12
	s_cbranch_execz .LBB4_128
; %bb.127:                              ;   in Loop: Header=BB4_53 Depth=1
	s_waitcnt lgkmcnt(0)
	s_waitcnt_vscnt null, 0x0
	buffer_gl1_inv
	buffer_gl0_inv
	s_barrier
.LBB4_128:                              ;   in Loop: Header=BB4_53 Depth=1
	s_or_b32 exec_lo, exec_lo, s12
.LBB4_129:                              ;   in Loop: Header=BB4_53 Depth=1
	s_delay_alu instid0(SALU_CYCLE_1)
	s_or_b32 exec_lo, exec_lo, s11
	s_cbranch_execz .LBB4_130
; %bb.7881:
	s_getpc_b64 s[34:35]
.Lpost_getpc76:
	s_add_u32 s34, s34, (.LBB4_7629-.Lpost_getpc76)&4294967295
	s_addc_u32 s35, s35, (.LBB4_7629-.Lpost_getpc76)>>32
	s_setpc_b64 s[34:35]
.LBB4_130:                              ;   in Loop: Header=BB4_53 Depth=1
	ds_load_b64 v[11:12], v0
	s_waitcnt lgkmcnt(0)
	v_cmp_eq_u64_e32 vcc_lo, 0, v[11:12]
	s_or_b32 s11, vcc_lo, vcc_lo
	s_delay_alu instid0(SALU_CYCLE_1)
	s_and_b32 vcc_lo, exec_lo, s11
	s_mov_b32 s11, 0
	s_cbranch_vccnz .LBB4_2801
; %bb.131:                              ;   in Loop: Header=BB4_53 Depth=1
	s_mov_b32 s11, -1
	s_and_saveexec_b32 s12, s6
	s_cbranch_execz .LBB4_133
; %bb.132:                              ;   in Loop: Header=BB4_53 Depth=1
	ds_load_b32 v11, v0 offset:720
	s_waitcnt lgkmcnt(0)
	v_and_b32_e32 v11, 15, v11
	s_delay_alu instid0(VALU_DEP_1)
	v_cmp_eq_u32_e32 vcc_lo, 0, v11
	s_or_not1_b32 s11, vcc_lo, exec_lo
.LBB4_133:                              ;   in Loop: Header=BB4_53 Depth=1
	s_or_b32 exec_lo, exec_lo, s12
	s_and_saveexec_b32 s12, s7
	s_cbranch_execz .LBB4_135
; %bb.134:                              ;   in Loop: Header=BB4_53 Depth=1
	ds_load_b32 v11, v0 offset:784
	s_waitcnt lgkmcnt(0)
	v_and_b32_e32 v11, 15, v11
	s_delay_alu instid0(VALU_DEP_1) | instskip(SKIP_3) | instid1(SALU_CYCLE_1)
	v_cmp_eq_u32_e32 vcc_lo, 0, v11
	s_and_b32 s23, s11, vcc_lo
	s_and_not1_b32 s11, s11, exec_lo
	s_and_b32 s23, s23, exec_lo
	s_or_b32 s11, s11, s23
.LBB4_135:                              ;   in Loop: Header=BB4_53 Depth=1
	s_or_b32 exec_lo, exec_lo, s12
	v_cmp_eq_u32_e32 vcc_lo, 0, v10
	s_xor_b32 s11, s11, -1
	v_mov_b32_e32 v52, v0
	v_cndmask_b32_e64 v11, 0, 1, s11
	;;#ASMSTART
	;;#ASMEND
	v_cndmask_b32_e32 v36, 0, v49, vcc_lo
	s_delay_alu instid0(VALU_DEP_2)
	v_cmp_ne_u32_e32 vcc_lo, 0, v11
	v_mov_b32_e32 v50, 0
	v_mov_b32_e32 v10, v68
	s_mov_b32 s11, -1
	v_mov_b32_e32 v51, v36
	s_cbranch_vccnz .LBB4_2089
; %bb.136:                              ;   in Loop: Header=BB4_53 Depth=1
	v_lshrrev_b32_e32 v10, 10, v36
	s_mov_b32 s12, exec_lo
	s_delay_alu instid0(VALU_DEP_1) | instskip(NEXT) | instid1(VALU_DEP_1)
	v_sub_nc_u32_e32 v96, v10, v68
	v_cmpx_lt_i32_e32 0, v96
	s_cbranch_execz .LBB4_1430
; %bb.137:                              ;   in Loop: Header=BB4_53 Depth=1
	s_cbranch_execz .LBB4_138
; %bb.7883:
	s_getpc_b64 s[34:35]
.Lpost_getpc77:
	s_add_u32 s34, s34, (.LBB4_7725-.Lpost_getpc77)&4294967295
	s_addc_u32 s35, s35, (.LBB4_7725-.Lpost_getpc77)>>32
	s_setpc_b64 s[34:35]
.LBB4_138:                              ;   in Loop: Header=BB4_53 Depth=1
	ds_load_b64 v[14:15], v0
	ds_load_b128 v[10:13], v0
	s_waitcnt lgkmcnt(1)
	v_readfirstlane_b32 s11, v14
	s_waitcnt lgkmcnt(0)
	v_add_co_u32 v50, vcc_lo, v10, v71
	v_add_co_ci_u32_e32 v51, vcc_lo, v11, v82, vcc_lo
	s_delay_alu instid0(VALU_DEP_3)
	s_and_b32 s23, s11, 7
	s_bfe_u32 s26, s11, 0x40003
	s_clz_i32_u32 s24, s23
	v_add_co_u32 v52, vcc_lo, v12, v71
	s_min_u32 s24, s24, 32
	v_add_co_ci_u32_e32 v53, vcc_lo, v13, v82, vcc_lo
	s_sub_i32 s25, s24, 28
	s_sub_i32 s24, 29, s24
	s_lshl_b32 s25, s11, s25
	v_add_co_u32 v54, vcc_lo, v14, v71
	s_and_b32 s25, s25, 7
	s_cmp_eq_u32 s26, 0
	v_add_co_ci_u32_e32 v55, vcc_lo, v15, v82, vcc_lo
	s_cselect_b32 s24, s24, s26
	s_cselect_b32 s23, s25, s23
	s_lshl_b32 s11, s11, 24
	s_lshl_b32 s25, s23, 20
	;; [unrolled: 1-line block ×3, first 2 shown]
	s_and_b32 s11, s11, 0x80000000
	s_add_i32 s23, s23, 0x3b800000
	v_and_b32_e32 v97, 0xff, v14
	s_or_b32 s11, s11, s23
	s_mov_b32 s23, 0
	s_or_b32 s24, s11, s25
	s_branch .LBB4_142
.LBB4_139:                              ;   in Loop: Header=BB4_142 Depth=2
	s_or_b32 exec_lo, exec_lo, s11
	s_delay_alu instid0(VALU_DEP_1) | instskip(NEXT) | instid1(VALU_DEP_2)
	v_lshrrev_b32_e32 v114, 20, v114
	v_cmp_gt_i32_e32 vcc_lo, 16, v103
	v_lshrrev_b32_e32 v13, 24, v13
	v_min_i32_e32 v128, 15, v103
	s_delay_alu instid0(VALU_DEP_2) | instskip(NEXT) | instid1(VALU_DEP_1)
	v_dual_cndmask_b32 v114, 7, v114 :: v_dual_and_b32 v13, 0x80, v13
	v_or_b32_e32 v103, v103, v114
	v_and_b32_e32 v132, 7, v114
	s_delay_alu instid0(VALU_DEP_2) | instskip(SKIP_1) | instid1(VALU_DEP_1)
	v_cmp_ne_u32_e32 vcc_lo, 0, v103
	v_lshlrev_b32_e32 v128, 3, v128
	v_and_b32_e32 v128, 0xf8, v128
	s_delay_alu instid0(VALU_DEP_1) | instskip(NEXT) | instid1(VALU_DEP_1)
	v_or3_b32 v13, v13, v128, v132
	v_lshlrev_b32_e32 v13, 8, v13
	s_delay_alu instid0(VALU_DEP_1)
	v_cndmask_b32_e32 v103, 0, v13, vcc_lo
.LBB4_140:                              ;   in Loop: Header=BB4_142 Depth=2
	s_or_b32 exec_lo, exec_lo, s26
.LBB4_141:                              ;   in Loop: Header=BB4_142 Depth=2
	s_delay_alu instid0(SALU_CYCLE_1)
	s_or_b32 exec_lo, exec_lo, s25
	v_or_b32_e32 v13, v15, v147
	v_and_b32_e32 v114, 0xff, v116
	v_lshlrev_b32_e32 v116, 24, v14
	v_lshlrev_b32_e32 v14, 8, v102
	v_and_b32_e32 v102, 0xff, v148
	v_lshlrev_b32_e32 v128, 8, v149
	v_and_b32_e32 v15, 0xff, v131
	v_lshlrev_b32_e32 v13, 16, v13
	v_lshlrev_b32_e32 v114, 16, v114
	v_perm_b32 v98, v14, v98, 0xc0c0500
	v_lshlrev_b32_e32 v16, 24, v16
	v_lshlrev_b32_e32 v102, 16, v102
	v_perm_b32 v128, v128, v151, 0xc0c0500
	v_or_b32_e32 v17, v17, v135
	v_or3_b32 v14, v134, v15, v13
	v_or3_b32 v13, v116, v114, v98
	v_or_b32_e32 v11, v11, v117
	v_and_b32_e32 v98, 0xff, v129
	v_lshlrev_b32_e32 v114, 8, v130
	v_and_b32_e32 v112, 0xff, v112
	v_lshlrev_b32_e32 v113, 8, v113
	v_or_b32_e32 v99, v103, v99
	v_or3_b32 v15, v16, v102, v128
	v_and_b32_e32 v16, 0xff, v144
	v_lshlrev_b32_e32 v17, 16, v17
	v_and_b32_e32 v102, 0xff, v118
	v_lshlrev_b32_e32 v11, 16, v11
	v_lshlrev_b32_e32 v10, 24, v10
	;; [unrolled: 1-line block ×3, first 2 shown]
	v_perm_b32 v114, v114, v133, 0xc0c0500
	v_lshlrev_b32_e32 v12, 24, v12
	v_lshlrev_b32_e32 v103, 16, v112
	v_perm_b32 v112, v113, v115, 0xc0c0500
	v_and_b32_e32 v113, 0xff, v100
	v_lshlrev_b32_e32 v115, 16, v99
	v_add_co_u32 v50, vcc_lo, v50, v80
	v_or3_b32 v16, v145, v16, v17
	v_sub_nc_u32_e32 v96, v96, v67
	v_or3_b32 v99, v119, v102, v11
	v_or3_b32 v98, v10, v98, v114
	;; [unrolled: 1-line block ×4, first 2 shown]
	v_add_co_ci_u32_e32 v51, vcc_lo, v51, v81, vcc_lo
	v_add_co_u32 v52, vcc_lo, v52, v80
	v_add_co_ci_u32_e32 v53, vcc_lo, v53, v81, vcc_lo
	s_clause 0x1
	global_store_b128 v[54:55], v[13:16], off glc slc dlc
	global_store_b128 v[54:55], v[98:101], off offset:512 glc slc dlc
	v_cmp_gt_i32_e32 vcc_lo, 1, v96
	v_add_co_u32 v54, s11, v54, v80
	s_delay_alu instid0(VALU_DEP_1) | instskip(SKIP_1) | instid1(SALU_CYCLE_1)
	v_add_co_ci_u32_e64 v55, s11, v55, v81, s11
	s_or_b32 s23, vcc_lo, s23
	s_and_not1_b32 exec_lo, exec_lo, s23
	s_cbranch_execz .LBB4_1429
.LBB4_142:                              ;   Parent Loop BB4_53 Depth=1
                                        ; =>  This Inner Loop Header: Depth=2
	v_cmp_gt_i16_e32 vcc_lo, 0x80, v97
	s_cbranch_vccnz .LBB4_146
; %bb.143:                              ;   in Loop: Header=BB4_142 Depth=2
	v_cmp_eq_u16_e32 vcc_lo, 0x80, v97
	s_mov_b32 s11, -1
                                        ; implicit-def: $sgpr25
	s_cbranch_vccz .LBB4_145
; %bb.144:                              ;   in Loop: Header=BB4_142 Depth=2
	s_mov_b32 s11, 0
	s_mov_b32 s25, 0x7f800001
.LBB4_145:                              ;   in Loop: Header=BB4_142 Depth=2
	s_mov_b32 s26, 0
	s_branch .LBB4_147
.LBB4_146:                              ;   in Loop: Header=BB4_142 Depth=2
	s_mov_b32 s26, -1
	s_mov_b32 s11, 0
                                        ; implicit-def: $sgpr25
.LBB4_147:                              ;   in Loop: Header=BB4_142 Depth=2
	s_and_b32 vcc_lo, exec_lo, s26
	s_cbranch_vccz .LBB4_149
; %bb.148:                              ;   in Loop: Header=BB4_142 Depth=2
	v_cmp_ne_u16_e64 s11, 0, v97
	s_mov_b32 s25, 0
.LBB4_149:                              ;   in Loop: Header=BB4_142 Depth=2
	s_delay_alu instid0(VALU_DEP_1)
	s_and_not1_b32 vcc_lo, exec_lo, s11
	s_cbranch_vccnz .LBB4_151
; %bb.150:                              ;   in Loop: Header=BB4_142 Depth=2
	s_mov_b32 s25, s24
.LBB4_151:                              ;   in Loop: Header=BB4_142 Depth=2
	global_load_b128 v[10:13], v[50:51], off slc dlc
	s_mov_b32 s11, 0
	s_mov_b32 s27, exec_lo
                                        ; implicit-def: $sgpr26
	s_waitcnt vmcnt(0)
	v_and_b32_e32 v15, 0xff, v10
	s_delay_alu instid0(VALU_DEP_1)
	v_cmpx_lt_i16_e32 0x7f, v15
	s_xor_b32 s27, exec_lo, s27
	s_cbranch_execnz .LBB4_1045
; %bb.152:                              ;   in Loop: Header=BB4_142 Depth=2
	s_or_saveexec_b32 s27, s27
	v_mov_b32_e32 v14, s26
	s_xor_b32 exec_lo, exec_lo, s27
	s_cbranch_execnz .LBB4_1048
.LBB4_153:                              ;   in Loop: Header=BB4_142 Depth=2
	s_or_b32 exec_lo, exec_lo, s27
	s_and_saveexec_b32 s26, s11
	s_cbranch_execz .LBB4_155
.LBB4_154:                              ;   in Loop: Header=BB4_142 Depth=2
	v_bfe_u32 v17, v10, 3, 4
	v_lshlrev_b32_e32 v98, 24, v10
	s_delay_alu instid0(VALU_DEP_2) | instskip(SKIP_1) | instid1(VALU_DEP_1)
	v_cmp_eq_u32_e32 vcc_lo, 0, v17
	v_and_b32_e32 v14, 7, v10
	v_clz_i32_u32_e32 v15, v14
	s_delay_alu instid0(VALU_DEP_1) | instskip(NEXT) | instid1(VALU_DEP_1)
	v_min_u32_e32 v15, 32, v15
	v_subrev_nc_u32_e32 v16, 28, v15
	v_sub_nc_u32_e32 v15, 29, v15
	s_delay_alu instid0(VALU_DEP_1) | instskip(NEXT) | instid1(VALU_DEP_1)
	v_dual_cndmask_b32 v15, v17, v15 :: v_dual_lshlrev_b32 v16, v16, v10
	v_and_b32_e32 v16, 7, v16
	s_delay_alu instid0(VALU_DEP_2) | instskip(NEXT) | instid1(VALU_DEP_2)
	v_lshl_add_u32 v15, v15, 23, 0x3b800000
	v_cndmask_b32_e32 v14, v14, v16, vcc_lo
	v_and_b32_e32 v16, 0x80000000, v98
	s_delay_alu instid0(VALU_DEP_2) | instskip(NEXT) | instid1(VALU_DEP_1)
	v_lshlrev_b32_e32 v14, 20, v14
	v_or3_b32 v14, v16, v15, v14
.LBB4_155:                              ;   in Loop: Header=BB4_142 Depth=2
	s_or_b32 exec_lo, exec_lo, s26
	s_delay_alu instid0(VALU_DEP_1) | instskip(SKIP_2) | instid1(VALU_DEP_2)
	v_mul_f32_e32 v14, s25, v14
	v_mov_b32_e32 v98, 0x80
	s_mov_b32 s26, exec_lo
	v_and_b32_e32 v15, 0x7f800000, v14
	s_delay_alu instid0(VALU_DEP_1)
	v_cmpx_ne_u32_e32 0x7f800000, v15
	s_cbranch_execz .LBB4_163
; %bb.156:                              ;   in Loop: Header=BB4_142 Depth=2
	v_mov_b32_e32 v98, 0
	s_mov_b32 s27, exec_lo
	v_cmpx_ne_u32_e32 0, v14
	s_cbranch_execz .LBB4_162
; %bb.157:                              ;   in Loop: Header=BB4_142 Depth=2
	v_bfe_u32 v15, v14, 23, 8
	s_delay_alu instid0(VALU_DEP_1) | instskip(SKIP_1) | instid1(VALU_DEP_2)
	v_sub_nc_u32_e32 v17, 0x78, v15
	v_cmp_gt_u32_e32 vcc_lo, 0x79, v15
	v_dual_cndmask_b32 v17, 0, v17 :: v_dual_and_b32 v16, 0x7fffff, v14
	s_delay_alu instid0(VALU_DEP_1) | instskip(SKIP_2) | instid1(VALU_DEP_4)
	v_or_b32_e32 v98, 0x800000, v16
	v_cmp_eq_u32_e32 vcc_lo, 0, v15
	v_add_nc_u32_e32 v15, 0xffffff89, v15
	v_cndmask_b32_e64 v17, v17, 0x77, vcc_lo
	s_delay_alu instid0(VALU_DEP_4) | instskip(NEXT) | instid1(VALU_DEP_3)
	v_cndmask_b32_e32 v16, v98, v16, vcc_lo
	v_cndmask_b32_e64 v15, v15, 0xffffff8a, vcc_lo
	s_delay_alu instid0(VALU_DEP_3) | instskip(NEXT) | instid1(VALU_DEP_3)
	v_lshl_add_u32 v98, 0x100000, v17, -1
	v_lshrrev_b32_e32 v99, v17, v16
	v_lshlrev_b32_e64 v101, v17, 0x80000
	s_delay_alu instid0(VALU_DEP_4) | instskip(NEXT) | instid1(VALU_DEP_4)
	v_add_nc_u32_e32 v17, v17, v15
	v_and_b32_e32 v16, v98, v16
	s_delay_alu instid0(VALU_DEP_4) | instskip(NEXT) | instid1(VALU_DEP_2)
	v_bfe_u32 v100, v99, 20, 1
	v_cmp_eq_u32_e64 s11, v16, v101
	s_delay_alu instid0(VALU_DEP_2) | instskip(NEXT) | instid1(VALU_DEP_1)
	v_add_nc_u32_e32 v98, -1, v100
	v_cndmask_b32_e64 v16, 0, v98, s11
	v_lshrrev_b32_e32 v98, 23, v99
	s_mov_b32 s11, exec_lo
	s_delay_alu instid0(VALU_DEP_2) | instskip(NEXT) | instid1(VALU_DEP_2)
	v_add_nc_u32_e32 v16, v16, v99
	v_xor_b32_e32 v98, 1, v98
	s_delay_alu instid0(VALU_DEP_2) | instskip(NEXT) | instid1(VALU_DEP_1)
	v_and_b32_e32 v15, 0xfffff, v16
	v_add_nc_u32_e32 v16, v15, v99
                                        ; implicit-def: $vgpr15
	s_delay_alu instid0(VALU_DEP_3)
	v_cmpx_ne_u32_e64 v17, v98
	s_xor_b32 s11, exec_lo, s11
; %bb.158:                              ;   in Loop: Header=BB4_142 Depth=2
	s_delay_alu instid0(VALU_DEP_2) | instskip(SKIP_2) | instid1(VALU_DEP_2)
	v_cmp_lt_u32_e32 vcc_lo, 0xffffff, v16
	v_sub_nc_u32_e32 v15, v17, v98
	v_cndmask_b32_e64 v17, 0, 1, vcc_lo
	v_add_co_ci_u32_e32 v15, vcc_lo, 0, v15, vcc_lo
	s_delay_alu instid0(VALU_DEP_2)
	v_lshrrev_b32_e32 v16, v17, v16
; %bb.159:                              ;   in Loop: Header=BB4_142 Depth=2
	s_and_not1_saveexec_b32 s11, s11
; %bb.160:                              ;   in Loop: Header=BB4_142 Depth=2
	s_delay_alu instid0(VALU_DEP_1)
	v_bfe_u32 v15, v16, 23, 1
; %bb.161:                              ;   in Loop: Header=BB4_142 Depth=2
	s_or_b32 exec_lo, exec_lo, s11
	v_lshrrev_b32_e32 v16, 20, v16
	s_delay_alu instid0(VALU_DEP_2) | instskip(SKIP_2) | instid1(VALU_DEP_4)
	v_cmp_gt_i32_e32 vcc_lo, 16, v15
	v_lshrrev_b32_e32 v14, 24, v14
	v_min_i32_e32 v17, 15, v15
	v_cndmask_b32_e32 v16, 7, v16, vcc_lo
	s_delay_alu instid0(VALU_DEP_3) | instskip(NEXT) | instid1(VALU_DEP_3)
	v_and_b32_e32 v14, 0x80, v14
	v_lshlrev_b32_e32 v17, 3, v17
	s_delay_alu instid0(VALU_DEP_3) | instskip(SKIP_1) | instid1(VALU_DEP_2)
	v_and_b32_e32 v98, 7, v16
	v_or_b32_e32 v15, v15, v16
	v_or3_b32 v14, v17, v14, v98
	s_delay_alu instid0(VALU_DEP_2) | instskip(NEXT) | instid1(VALU_DEP_2)
	v_cmp_ne_u32_e32 vcc_lo, 0, v15
	v_cndmask_b32_e32 v98, 0, v14, vcc_lo
.LBB4_162:                              ;   in Loop: Header=BB4_142 Depth=2
	s_or_b32 exec_lo, exec_lo, s27
.LBB4_163:                              ;   in Loop: Header=BB4_142 Depth=2
	s_delay_alu instid0(SALU_CYCLE_1) | instskip(SKIP_3) | instid1(VALU_DEP_1)
	s_or_b32 exec_lo, exec_lo, s26
	v_lshrrev_b16 v14, 8, v10
	s_mov_b32 s11, 0
	s_mov_b32 s27, exec_lo
                                        ; implicit-def: $sgpr26
	v_cmpx_lt_i16_e32 0x7f, v14
	s_xor_b32 s27, exec_lo, s27
	s_cbranch_execnz .LBB4_1049
; %bb.164:                              ;   in Loop: Header=BB4_142 Depth=2
	s_or_saveexec_b32 s27, s27
	v_mov_b32_e32 v15, s26
	s_xor_b32 exec_lo, exec_lo, s27
	s_cbranch_execnz .LBB4_1052
.LBB4_165:                              ;   in Loop: Header=BB4_142 Depth=2
	s_or_b32 exec_lo, exec_lo, s27
	s_and_saveexec_b32 s26, s11
	s_cbranch_execz .LBB4_167
.LBB4_166:                              ;   in Loop: Header=BB4_142 Depth=2
	v_and_b32_e32 v15, 0xffff, v14
	v_lshlrev_b32_e32 v14, 24, v14
	s_delay_alu instid0(VALU_DEP_2) | instskip(NEXT) | instid1(VALU_DEP_2)
	v_and_b32_e32 v16, 7, v15
	v_and_b32_e32 v14, 0x80000000, v14
	s_delay_alu instid0(VALU_DEP_2) | instskip(NEXT) | instid1(VALU_DEP_1)
	v_clz_i32_u32_e32 v17, v16
	v_min_u32_e32 v17, 32, v17
	s_delay_alu instid0(VALU_DEP_1) | instskip(SKIP_1) | instid1(VALU_DEP_2)
	v_subrev_nc_u32_e32 v99, 28, v17
	v_sub_nc_u32_e32 v17, 29, v17
	v_lshlrev_b32_e32 v99, v99, v15
	v_bfe_u32 v15, v15, 3, 4
	s_delay_alu instid0(VALU_DEP_2) | instskip(NEXT) | instid1(VALU_DEP_2)
	v_and_b32_e32 v99, 7, v99
	v_cmp_eq_u32_e32 vcc_lo, 0, v15
	s_delay_alu instid0(VALU_DEP_2) | instskip(NEXT) | instid1(VALU_DEP_1)
	v_dual_cndmask_b32 v15, v15, v17 :: v_dual_cndmask_b32 v16, v16, v99
	v_lshl_add_u32 v15, v15, 23, 0x3b800000
	s_delay_alu instid0(VALU_DEP_2) | instskip(NEXT) | instid1(VALU_DEP_1)
	v_lshlrev_b32_e32 v16, 20, v16
	v_or3_b32 v15, v14, v15, v16
.LBB4_167:                              ;   in Loop: Header=BB4_142 Depth=2
	s_or_b32 exec_lo, exec_lo, s26
	s_delay_alu instid0(VALU_DEP_1) | instskip(SKIP_2) | instid1(VALU_DEP_2)
	v_mul_f32_e32 v14, s25, v15
	v_mov_b32_e32 v102, 0x80
	s_mov_b32 s26, exec_lo
	v_and_b32_e32 v15, 0x7f800000, v14
	s_delay_alu instid0(VALU_DEP_1)
	v_cmpx_ne_u32_e32 0x7f800000, v15
	s_cbranch_execz .LBB4_175
; %bb.168:                              ;   in Loop: Header=BB4_142 Depth=2
	v_mov_b32_e32 v102, 0
	s_mov_b32 s27, exec_lo
	v_cmpx_ne_u32_e32 0, v14
	s_cbranch_execz .LBB4_174
; %bb.169:                              ;   in Loop: Header=BB4_142 Depth=2
	v_bfe_u32 v15, v14, 23, 8
	s_delay_alu instid0(VALU_DEP_1) | instskip(SKIP_1) | instid1(VALU_DEP_2)
	v_sub_nc_u32_e32 v17, 0x78, v15
	v_cmp_gt_u32_e32 vcc_lo, 0x79, v15
	v_dual_cndmask_b32 v17, 0, v17 :: v_dual_and_b32 v16, 0x7fffff, v14
	s_delay_alu instid0(VALU_DEP_1) | instskip(SKIP_2) | instid1(VALU_DEP_4)
	v_or_b32_e32 v99, 0x800000, v16
	v_cmp_eq_u32_e32 vcc_lo, 0, v15
	v_add_nc_u32_e32 v15, 0xffffff89, v15
	v_cndmask_b32_e64 v17, v17, 0x77, vcc_lo
	s_delay_alu instid0(VALU_DEP_4) | instskip(NEXT) | instid1(VALU_DEP_3)
	v_cndmask_b32_e32 v16, v99, v16, vcc_lo
	v_cndmask_b32_e64 v15, v15, 0xffffff8a, vcc_lo
	s_delay_alu instid0(VALU_DEP_3) | instskip(NEXT) | instid1(VALU_DEP_3)
	v_lshl_add_u32 v99, 0x100000, v17, -1
	v_lshrrev_b32_e32 v100, v17, v16
	v_lshlrev_b32_e64 v102, v17, 0x80000
	s_delay_alu instid0(VALU_DEP_4) | instskip(NEXT) | instid1(VALU_DEP_4)
	v_add_nc_u32_e32 v17, v17, v15
	v_and_b32_e32 v16, v99, v16
	s_delay_alu instid0(VALU_DEP_4) | instskip(NEXT) | instid1(VALU_DEP_2)
	v_bfe_u32 v101, v100, 20, 1
	v_cmp_eq_u32_e64 s11, v16, v102
	s_delay_alu instid0(VALU_DEP_2) | instskip(NEXT) | instid1(VALU_DEP_1)
	v_add_nc_u32_e32 v99, -1, v101
	v_cndmask_b32_e64 v16, 0, v99, s11
	v_lshrrev_b32_e32 v99, 23, v100
	s_mov_b32 s11, exec_lo
	s_delay_alu instid0(VALU_DEP_2) | instskip(NEXT) | instid1(VALU_DEP_2)
	v_add_nc_u32_e32 v16, v16, v100
	v_xor_b32_e32 v99, 1, v99
	s_delay_alu instid0(VALU_DEP_2) | instskip(NEXT) | instid1(VALU_DEP_1)
	v_and_b32_e32 v15, 0xfffff, v16
	v_add_nc_u32_e32 v16, v15, v100
                                        ; implicit-def: $vgpr15
	s_delay_alu instid0(VALU_DEP_3)
	v_cmpx_ne_u32_e64 v17, v99
	s_xor_b32 s11, exec_lo, s11
; %bb.170:                              ;   in Loop: Header=BB4_142 Depth=2
	s_delay_alu instid0(VALU_DEP_2) | instskip(SKIP_2) | instid1(VALU_DEP_2)
	v_cmp_lt_u32_e32 vcc_lo, 0xffffff, v16
	v_sub_nc_u32_e32 v15, v17, v99
	v_cndmask_b32_e64 v17, 0, 1, vcc_lo
	v_add_co_ci_u32_e32 v15, vcc_lo, 0, v15, vcc_lo
	s_delay_alu instid0(VALU_DEP_2)
	v_lshrrev_b32_e32 v16, v17, v16
; %bb.171:                              ;   in Loop: Header=BB4_142 Depth=2
	s_and_not1_saveexec_b32 s11, s11
; %bb.172:                              ;   in Loop: Header=BB4_142 Depth=2
	s_delay_alu instid0(VALU_DEP_1)
	v_bfe_u32 v15, v16, 23, 1
; %bb.173:                              ;   in Loop: Header=BB4_142 Depth=2
	s_or_b32 exec_lo, exec_lo, s11
	v_lshrrev_b32_e32 v16, 20, v16
	s_delay_alu instid0(VALU_DEP_2) | instskip(SKIP_2) | instid1(VALU_DEP_2)
	v_cmp_gt_i32_e32 vcc_lo, 16, v15
	v_min_i32_e32 v17, 15, v15
	v_lshrrev_b32_e32 v14, 24, v14
	v_dual_cndmask_b32 v16, 7, v16 :: v_dual_lshlrev_b32 v17, 3, v17
	s_delay_alu instid0(VALU_DEP_2) | instskip(NEXT) | instid1(VALU_DEP_2)
	v_and_b32_e32 v14, 0x80, v14
	v_or_b32_e32 v15, v15, v16
	s_delay_alu instid0(VALU_DEP_1) | instskip(SKIP_1) | instid1(VALU_DEP_1)
	v_cmp_ne_u32_e32 vcc_lo, 0, v15
	v_and_b32_e32 v99, 7, v16
	v_or3_b32 v14, v17, v14, v99
	s_delay_alu instid0(VALU_DEP_1)
	v_cndmask_b32_e32 v102, 0, v14, vcc_lo
.LBB4_174:                              ;   in Loop: Header=BB4_142 Depth=2
	s_or_b32 exec_lo, exec_lo, s27
.LBB4_175:                              ;   in Loop: Header=BB4_142 Depth=2
	s_delay_alu instid0(SALU_CYCLE_1) | instskip(SKIP_3) | instid1(VALU_DEP_1)
	s_or_b32 exec_lo, exec_lo, s26
	v_lshrrev_b32_e32 v14, 16, v10
	s_mov_b32 s11, 0
	s_mov_b32 s27, exec_lo
                                        ; implicit-def: $sgpr26
	v_and_b32_e32 v16, 0xff, v14
	s_delay_alu instid0(VALU_DEP_1)
	v_cmpx_lt_i16_e32 0x7f, v16
	s_xor_b32 s27, exec_lo, s27
	s_cbranch_execnz .LBB4_1053
; %bb.176:                              ;   in Loop: Header=BB4_142 Depth=2
	s_or_saveexec_b32 s27, s27
	v_mov_b32_e32 v15, s26
	s_xor_b32 exec_lo, exec_lo, s27
	s_cbranch_execnz .LBB4_1056
.LBB4_177:                              ;   in Loop: Header=BB4_142 Depth=2
	s_or_b32 exec_lo, exec_lo, s27
	s_and_saveexec_b32 s26, s11
	s_cbranch_execz .LBB4_179
.LBB4_178:                              ;   in Loop: Header=BB4_142 Depth=2
	v_bfe_u32 v15, v10, 16, 3
	s_delay_alu instid0(VALU_DEP_1) | instskip(NEXT) | instid1(VALU_DEP_1)
	v_clz_i32_u32_e32 v16, v15
	v_min_u32_e32 v16, 32, v16
	s_delay_alu instid0(VALU_DEP_1) | instskip(SKIP_1) | instid1(VALU_DEP_2)
	v_subrev_nc_u32_e32 v17, 28, v16
	v_sub_nc_u32_e32 v16, 29, v16
	v_lshlrev_b32_e32 v14, v17, v14
	v_bfe_u32 v17, v10, 19, 4
	s_delay_alu instid0(VALU_DEP_2) | instskip(NEXT) | instid1(VALU_DEP_2)
	v_and_b32_e32 v14, 7, v14
	v_cmp_eq_u32_e32 vcc_lo, 0, v17
	v_dual_cndmask_b32 v16, v17, v16 :: v_dual_lshlrev_b32 v99, 8, v10
	s_delay_alu instid0(VALU_DEP_1) | instskip(NEXT) | instid1(VALU_DEP_2)
	v_dual_cndmask_b32 v14, v15, v14 :: v_dual_and_b32 v15, 0x80000000, v99
	v_lshl_add_u32 v16, v16, 23, 0x3b800000
	s_delay_alu instid0(VALU_DEP_2) | instskip(NEXT) | instid1(VALU_DEP_1)
	v_lshlrev_b32_e32 v14, 20, v14
	v_or3_b32 v15, v15, v16, v14
.LBB4_179:                              ;   in Loop: Header=BB4_142 Depth=2
	s_or_b32 exec_lo, exec_lo, s26
	s_delay_alu instid0(VALU_DEP_1) | instskip(SKIP_2) | instid1(VALU_DEP_2)
	v_mul_f32_e32 v14, s25, v15
	v_mov_b32_e32 v116, 0x80
	s_mov_b32 s26, exec_lo
	v_and_b32_e32 v15, 0x7f800000, v14
	s_delay_alu instid0(VALU_DEP_1)
	v_cmpx_ne_u32_e32 0x7f800000, v15
	s_cbranch_execz .LBB4_187
; %bb.180:                              ;   in Loop: Header=BB4_142 Depth=2
	v_mov_b32_e32 v116, 0
	s_mov_b32 s27, exec_lo
	v_cmpx_ne_u32_e32 0, v14
	s_cbranch_execz .LBB4_186
; %bb.181:                              ;   in Loop: Header=BB4_142 Depth=2
	v_bfe_u32 v15, v14, 23, 8
	s_delay_alu instid0(VALU_DEP_1) | instskip(SKIP_1) | instid1(VALU_DEP_2)
	v_sub_nc_u32_e32 v17, 0x78, v15
	v_cmp_gt_u32_e32 vcc_lo, 0x79, v15
	v_dual_cndmask_b32 v17, 0, v17 :: v_dual_and_b32 v16, 0x7fffff, v14
	s_delay_alu instid0(VALU_DEP_1) | instskip(SKIP_2) | instid1(VALU_DEP_4)
	v_or_b32_e32 v99, 0x800000, v16
	v_cmp_eq_u32_e32 vcc_lo, 0, v15
	v_add_nc_u32_e32 v15, 0xffffff89, v15
	v_cndmask_b32_e64 v17, v17, 0x77, vcc_lo
	s_delay_alu instid0(VALU_DEP_4) | instskip(NEXT) | instid1(VALU_DEP_3)
	v_cndmask_b32_e32 v16, v99, v16, vcc_lo
	v_cndmask_b32_e64 v15, v15, 0xffffff8a, vcc_lo
	s_delay_alu instid0(VALU_DEP_3) | instskip(NEXT) | instid1(VALU_DEP_3)
	v_lshl_add_u32 v99, 0x100000, v17, -1
	v_lshrrev_b32_e32 v100, v17, v16
	v_lshlrev_b32_e64 v103, v17, 0x80000
	s_delay_alu instid0(VALU_DEP_4) | instskip(NEXT) | instid1(VALU_DEP_4)
	v_add_nc_u32_e32 v17, v17, v15
	v_and_b32_e32 v16, v99, v16
	s_delay_alu instid0(VALU_DEP_4) | instskip(NEXT) | instid1(VALU_DEP_2)
	v_bfe_u32 v101, v100, 20, 1
	v_cmp_eq_u32_e64 s11, v16, v103
	s_delay_alu instid0(VALU_DEP_2) | instskip(NEXT) | instid1(VALU_DEP_1)
	v_add_nc_u32_e32 v99, -1, v101
	v_cndmask_b32_e64 v16, 0, v99, s11
	v_lshrrev_b32_e32 v99, 23, v100
	s_mov_b32 s11, exec_lo
	s_delay_alu instid0(VALU_DEP_2) | instskip(NEXT) | instid1(VALU_DEP_2)
	v_add_nc_u32_e32 v16, v16, v100
	v_xor_b32_e32 v99, 1, v99
	s_delay_alu instid0(VALU_DEP_2) | instskip(NEXT) | instid1(VALU_DEP_1)
	v_and_b32_e32 v15, 0xfffff, v16
	v_add_nc_u32_e32 v16, v15, v100
                                        ; implicit-def: $vgpr15
	s_delay_alu instid0(VALU_DEP_3)
	v_cmpx_ne_u32_e64 v17, v99
	s_xor_b32 s11, exec_lo, s11
; %bb.182:                              ;   in Loop: Header=BB4_142 Depth=2
	s_delay_alu instid0(VALU_DEP_2) | instskip(SKIP_2) | instid1(VALU_DEP_2)
	v_cmp_lt_u32_e32 vcc_lo, 0xffffff, v16
	v_sub_nc_u32_e32 v15, v17, v99
	v_cndmask_b32_e64 v17, 0, 1, vcc_lo
	v_add_co_ci_u32_e32 v15, vcc_lo, 0, v15, vcc_lo
	s_delay_alu instid0(VALU_DEP_2)
	v_lshrrev_b32_e32 v16, v17, v16
; %bb.183:                              ;   in Loop: Header=BB4_142 Depth=2
	s_and_not1_saveexec_b32 s11, s11
; %bb.184:                              ;   in Loop: Header=BB4_142 Depth=2
	s_delay_alu instid0(VALU_DEP_1)
	v_bfe_u32 v15, v16, 23, 1
; %bb.185:                              ;   in Loop: Header=BB4_142 Depth=2
	s_or_b32 exec_lo, exec_lo, s11
	v_lshrrev_b32_e32 v16, 20, v16
	s_delay_alu instid0(VALU_DEP_2) | instskip(SKIP_2) | instid1(VALU_DEP_2)
	v_cmp_gt_i32_e32 vcc_lo, 16, v15
	v_min_i32_e32 v17, 15, v15
	v_lshrrev_b32_e32 v14, 24, v14
	v_dual_cndmask_b32 v16, 7, v16 :: v_dual_lshlrev_b32 v17, 3, v17
	s_delay_alu instid0(VALU_DEP_2) | instskip(NEXT) | instid1(VALU_DEP_2)
	v_and_b32_e32 v14, 0x80, v14
	v_or_b32_e32 v15, v15, v16
	s_delay_alu instid0(VALU_DEP_1) | instskip(SKIP_1) | instid1(VALU_DEP_1)
	v_cmp_ne_u32_e32 vcc_lo, 0, v15
	v_and_b32_e32 v99, 7, v16
	v_or3_b32 v14, v17, v14, v99
	s_delay_alu instid0(VALU_DEP_1)
	v_cndmask_b32_e32 v116, 0, v14, vcc_lo
.LBB4_186:                              ;   in Loop: Header=BB4_142 Depth=2
	s_or_b32 exec_lo, exec_lo, s27
.LBB4_187:                              ;   in Loop: Header=BB4_142 Depth=2
	s_delay_alu instid0(SALU_CYCLE_1) | instskip(SKIP_3) | instid1(VALU_DEP_1)
	s_or_b32 exec_lo, exec_lo, s26
	v_lshrrev_b32_e32 v14, 24, v10
	s_mov_b32 s11, 0
	s_mov_b32 s27, exec_lo
                                        ; implicit-def: $sgpr26
	v_cmpx_lt_i16_e32 0x7f, v14
	s_xor_b32 s27, exec_lo, s27
	s_cbranch_execnz .LBB4_1057
; %bb.188:                              ;   in Loop: Header=BB4_142 Depth=2
	s_or_saveexec_b32 s27, s27
	v_mov_b32_e32 v15, s26
	s_xor_b32 exec_lo, exec_lo, s27
	s_cbranch_execnz .LBB4_1060
.LBB4_189:                              ;   in Loop: Header=BB4_142 Depth=2
	s_or_b32 exec_lo, exec_lo, s27
	s_and_saveexec_b32 s26, s11
	s_cbranch_execz .LBB4_191
.LBB4_190:                              ;   in Loop: Header=BB4_142 Depth=2
	v_bfe_u32 v15, v10, 24, 3
	s_delay_alu instid0(VALU_DEP_1) | instskip(NEXT) | instid1(VALU_DEP_1)
	v_clz_i32_u32_e32 v16, v15
	v_min_u32_e32 v16, 32, v16
	s_delay_alu instid0(VALU_DEP_1) | instskip(SKIP_1) | instid1(VALU_DEP_2)
	v_subrev_nc_u32_e32 v17, 28, v16
	v_sub_nc_u32_e32 v16, 29, v16
	v_lshlrev_b32_e32 v14, v17, v14
	v_bfe_u32 v17, v10, 27, 4
	v_and_b32_e32 v10, 0x80000000, v10
	s_delay_alu instid0(VALU_DEP_3) | instskip(NEXT) | instid1(VALU_DEP_3)
	v_and_b32_e32 v14, 7, v14
	v_cmp_eq_u32_e32 vcc_lo, 0, v17
	v_cndmask_b32_e32 v16, v17, v16, vcc_lo
	s_delay_alu instid0(VALU_DEP_3) | instskip(NEXT) | instid1(VALU_DEP_2)
	v_cndmask_b32_e32 v14, v15, v14, vcc_lo
	v_lshl_add_u32 v15, v16, 23, 0x3b800000
	s_delay_alu instid0(VALU_DEP_2) | instskip(NEXT) | instid1(VALU_DEP_1)
	v_lshlrev_b32_e32 v14, 20, v14
	v_or3_b32 v15, v10, v15, v14
.LBB4_191:                              ;   in Loop: Header=BB4_142 Depth=2
	s_or_b32 exec_lo, exec_lo, s26
	s_delay_alu instid0(VALU_DEP_1) | instskip(SKIP_2) | instid1(VALU_DEP_2)
	v_mul_f32_e32 v10, s25, v15
	v_mov_b32_e32 v134, 0x80
	s_mov_b32 s26, exec_lo
	v_and_b32_e32 v14, 0x7f800000, v10
	s_delay_alu instid0(VALU_DEP_1)
	v_cmpx_ne_u32_e32 0x7f800000, v14
	s_cbranch_execz .LBB4_199
; %bb.192:                              ;   in Loop: Header=BB4_142 Depth=2
	v_mov_b32_e32 v134, 0
	s_mov_b32 s27, exec_lo
	v_cmpx_ne_u32_e32 0, v10
	s_cbranch_execz .LBB4_198
; %bb.193:                              ;   in Loop: Header=BB4_142 Depth=2
	v_bfe_u32 v14, v10, 23, 8
	s_delay_alu instid0(VALU_DEP_1) | instskip(SKIP_1) | instid1(VALU_DEP_2)
	v_sub_nc_u32_e32 v16, 0x78, v14
	v_cmp_gt_u32_e32 vcc_lo, 0x79, v14
	v_dual_cndmask_b32 v16, 0, v16 :: v_dual_and_b32 v15, 0x7fffff, v10
	s_delay_alu instid0(VALU_DEP_1) | instskip(SKIP_2) | instid1(VALU_DEP_4)
	v_or_b32_e32 v17, 0x800000, v15
	v_cmp_eq_u32_e32 vcc_lo, 0, v14
	v_add_nc_u32_e32 v14, 0xffffff89, v14
	v_cndmask_b32_e64 v16, v16, 0x77, vcc_lo
	s_delay_alu instid0(VALU_DEP_4) | instskip(NEXT) | instid1(VALU_DEP_3)
	v_cndmask_b32_e32 v15, v17, v15, vcc_lo
	v_cndmask_b32_e64 v14, v14, 0xffffff8a, vcc_lo
	s_delay_alu instid0(VALU_DEP_3) | instskip(NEXT) | instid1(VALU_DEP_3)
	v_lshl_add_u32 v17, 0x100000, v16, -1
	v_lshrrev_b32_e32 v99, v16, v15
	v_lshlrev_b32_e64 v101, v16, 0x80000
	s_delay_alu instid0(VALU_DEP_4) | instskip(NEXT) | instid1(VALU_DEP_4)
	v_add_nc_u32_e32 v16, v16, v14
	v_and_b32_e32 v15, v17, v15
	s_delay_alu instid0(VALU_DEP_4) | instskip(NEXT) | instid1(VALU_DEP_2)
	v_bfe_u32 v100, v99, 20, 1
	v_cmp_eq_u32_e64 s11, v15, v101
	s_delay_alu instid0(VALU_DEP_2) | instskip(NEXT) | instid1(VALU_DEP_1)
	v_add_nc_u32_e32 v17, -1, v100
	v_cndmask_b32_e64 v15, 0, v17, s11
	v_lshrrev_b32_e32 v17, 23, v99
	s_mov_b32 s11, exec_lo
	s_delay_alu instid0(VALU_DEP_2) | instskip(NEXT) | instid1(VALU_DEP_2)
	v_add_nc_u32_e32 v15, v15, v99
	v_xor_b32_e32 v17, 1, v17
	s_delay_alu instid0(VALU_DEP_2) | instskip(NEXT) | instid1(VALU_DEP_1)
	v_and_b32_e32 v14, 0xfffff, v15
	v_add_nc_u32_e32 v15, v14, v99
                                        ; implicit-def: $vgpr14
	s_delay_alu instid0(VALU_DEP_3)
	v_cmpx_ne_u32_e64 v16, v17
	s_xor_b32 s11, exec_lo, s11
; %bb.194:                              ;   in Loop: Header=BB4_142 Depth=2
	s_delay_alu instid0(VALU_DEP_2) | instskip(SKIP_2) | instid1(VALU_DEP_2)
	v_cmp_lt_u32_e32 vcc_lo, 0xffffff, v15
	v_sub_nc_u32_e32 v14, v16, v17
	v_cndmask_b32_e64 v16, 0, 1, vcc_lo
	v_add_co_ci_u32_e32 v14, vcc_lo, 0, v14, vcc_lo
	s_delay_alu instid0(VALU_DEP_2)
	v_lshrrev_b32_e32 v15, v16, v15
; %bb.195:                              ;   in Loop: Header=BB4_142 Depth=2
	s_and_not1_saveexec_b32 s11, s11
; %bb.196:                              ;   in Loop: Header=BB4_142 Depth=2
	s_delay_alu instid0(VALU_DEP_1)
	v_bfe_u32 v14, v15, 23, 1
; %bb.197:                              ;   in Loop: Header=BB4_142 Depth=2
	s_or_b32 exec_lo, exec_lo, s11
	v_lshrrev_b32_e32 v15, 20, v15
	s_delay_alu instid0(VALU_DEP_2) | instskip(SKIP_2) | instid1(VALU_DEP_2)
	v_cmp_gt_i32_e32 vcc_lo, 16, v14
	v_lshrrev_b32_e32 v10, 24, v10
	v_min_i32_e32 v16, 15, v14
	v_dual_cndmask_b32 v15, 7, v15 :: v_dual_and_b32 v10, 0x80, v10
	s_delay_alu instid0(VALU_DEP_2) | instskip(NEXT) | instid1(VALU_DEP_2)
	v_lshlrev_b32_e32 v16, 3, v16
	v_or_b32_e32 v14, v14, v15
	s_delay_alu instid0(VALU_DEP_1) | instskip(SKIP_1) | instid1(VALU_DEP_1)
	v_cmp_ne_u32_e32 vcc_lo, 0, v14
	v_and_b32_e32 v17, 7, v15
	v_or3_b32 v10, v16, v10, v17
	s_delay_alu instid0(VALU_DEP_1)
	v_cndmask_b32_e32 v134, 0, v10, vcc_lo
.LBB4_198:                              ;   in Loop: Header=BB4_142 Depth=2
	s_or_b32 exec_lo, exec_lo, s27
.LBB4_199:                              ;   in Loop: Header=BB4_142 Depth=2
	s_delay_alu instid0(SALU_CYCLE_1) | instskip(SKIP_3) | instid1(VALU_DEP_1)
	s_or_b32 exec_lo, exec_lo, s26
	v_and_b32_e32 v14, 0xff, v11
	s_mov_b32 s11, 0
	s_mov_b32 s27, exec_lo
                                        ; implicit-def: $sgpr26
	v_cmpx_lt_i16_e32 0x7f, v14
	s_xor_b32 s27, exec_lo, s27
	s_cbranch_execnz .LBB4_1061
; %bb.200:                              ;   in Loop: Header=BB4_142 Depth=2
	s_or_saveexec_b32 s27, s27
	v_mov_b32_e32 v10, s26
	s_xor_b32 exec_lo, exec_lo, s27
	s_cbranch_execnz .LBB4_1064
.LBB4_201:                              ;   in Loop: Header=BB4_142 Depth=2
	s_or_b32 exec_lo, exec_lo, s27
	s_and_saveexec_b32 s26, s11
	s_cbranch_execz .LBB4_203
.LBB4_202:                              ;   in Loop: Header=BB4_142 Depth=2
	v_and_b32_e32 v10, 7, v11
	v_bfe_u32 v16, v11, 3, 4
	v_lshlrev_b32_e32 v17, 24, v11
	s_delay_alu instid0(VALU_DEP_3) | instskip(NEXT) | instid1(VALU_DEP_3)
	v_clz_i32_u32_e32 v14, v10
	v_cmp_eq_u32_e32 vcc_lo, 0, v16
	s_delay_alu instid0(VALU_DEP_2) | instskip(NEXT) | instid1(VALU_DEP_1)
	v_min_u32_e32 v14, 32, v14
	v_subrev_nc_u32_e32 v15, 28, v14
	v_sub_nc_u32_e32 v14, 29, v14
	s_delay_alu instid0(VALU_DEP_1) | instskip(NEXT) | instid1(VALU_DEP_1)
	v_dual_cndmask_b32 v14, v16, v14 :: v_dual_lshlrev_b32 v15, v15, v11
	v_and_b32_e32 v15, 7, v15
	s_delay_alu instid0(VALU_DEP_2) | instskip(NEXT) | instid1(VALU_DEP_2)
	v_lshl_add_u32 v14, v14, 23, 0x3b800000
	v_dual_cndmask_b32 v10, v10, v15 :: v_dual_and_b32 v15, 0x80000000, v17
	s_delay_alu instid0(VALU_DEP_1) | instskip(NEXT) | instid1(VALU_DEP_1)
	v_lshlrev_b32_e32 v10, 20, v10
	v_or3_b32 v10, v15, v14, v10
.LBB4_203:                              ;   in Loop: Header=BB4_142 Depth=2
	s_or_b32 exec_lo, exec_lo, s26
	s_delay_alu instid0(VALU_DEP_1) | instskip(SKIP_1) | instid1(VALU_DEP_1)
	v_dual_mul_f32 v10, s25, v10 :: v_dual_mov_b32 v131, 0x80
	s_mov_b32 s26, exec_lo
	v_and_b32_e32 v14, 0x7f800000, v10
	s_delay_alu instid0(VALU_DEP_1)
	v_cmpx_ne_u32_e32 0x7f800000, v14
	s_cbranch_execz .LBB4_211
; %bb.204:                              ;   in Loop: Header=BB4_142 Depth=2
	v_mov_b32_e32 v131, 0
	s_mov_b32 s27, exec_lo
	v_cmpx_ne_u32_e32 0, v10
	s_cbranch_execz .LBB4_210
; %bb.205:                              ;   in Loop: Header=BB4_142 Depth=2
	v_bfe_u32 v14, v10, 23, 8
	s_delay_alu instid0(VALU_DEP_1) | instskip(SKIP_1) | instid1(VALU_DEP_2)
	v_sub_nc_u32_e32 v16, 0x78, v14
	v_cmp_gt_u32_e32 vcc_lo, 0x79, v14
	v_dual_cndmask_b32 v16, 0, v16 :: v_dual_and_b32 v15, 0x7fffff, v10
	s_delay_alu instid0(VALU_DEP_1) | instskip(SKIP_2) | instid1(VALU_DEP_4)
	v_or_b32_e32 v17, 0x800000, v15
	v_cmp_eq_u32_e32 vcc_lo, 0, v14
	v_add_nc_u32_e32 v14, 0xffffff89, v14
	v_cndmask_b32_e64 v16, v16, 0x77, vcc_lo
	s_delay_alu instid0(VALU_DEP_4) | instskip(NEXT) | instid1(VALU_DEP_3)
	v_cndmask_b32_e32 v15, v17, v15, vcc_lo
	v_cndmask_b32_e64 v14, v14, 0xffffff8a, vcc_lo
	s_delay_alu instid0(VALU_DEP_3) | instskip(NEXT) | instid1(VALU_DEP_3)
	v_lshl_add_u32 v17, 0x100000, v16, -1
	v_lshrrev_b32_e32 v99, v16, v15
	v_lshlrev_b32_e64 v101, v16, 0x80000
	s_delay_alu instid0(VALU_DEP_4) | instskip(NEXT) | instid1(VALU_DEP_4)
	v_add_nc_u32_e32 v16, v16, v14
	v_and_b32_e32 v15, v17, v15
	s_delay_alu instid0(VALU_DEP_4) | instskip(NEXT) | instid1(VALU_DEP_2)
	v_bfe_u32 v100, v99, 20, 1
	v_cmp_eq_u32_e64 s11, v15, v101
	s_delay_alu instid0(VALU_DEP_2) | instskip(NEXT) | instid1(VALU_DEP_1)
	v_add_nc_u32_e32 v17, -1, v100
	v_cndmask_b32_e64 v15, 0, v17, s11
	v_lshrrev_b32_e32 v17, 23, v99
	s_mov_b32 s11, exec_lo
	s_delay_alu instid0(VALU_DEP_2) | instskip(NEXT) | instid1(VALU_DEP_2)
	v_add_nc_u32_e32 v15, v15, v99
	v_xor_b32_e32 v17, 1, v17
	s_delay_alu instid0(VALU_DEP_2) | instskip(NEXT) | instid1(VALU_DEP_1)
	v_and_b32_e32 v14, 0xfffff, v15
	v_add_nc_u32_e32 v15, v14, v99
                                        ; implicit-def: $vgpr14
	s_delay_alu instid0(VALU_DEP_3)
	v_cmpx_ne_u32_e64 v16, v17
	s_xor_b32 s11, exec_lo, s11
; %bb.206:                              ;   in Loop: Header=BB4_142 Depth=2
	s_delay_alu instid0(VALU_DEP_2) | instskip(SKIP_2) | instid1(VALU_DEP_2)
	v_cmp_lt_u32_e32 vcc_lo, 0xffffff, v15
	v_sub_nc_u32_e32 v14, v16, v17
	v_cndmask_b32_e64 v16, 0, 1, vcc_lo
	v_add_co_ci_u32_e32 v14, vcc_lo, 0, v14, vcc_lo
	s_delay_alu instid0(VALU_DEP_2)
	v_lshrrev_b32_e32 v15, v16, v15
; %bb.207:                              ;   in Loop: Header=BB4_142 Depth=2
	s_and_not1_saveexec_b32 s11, s11
; %bb.208:                              ;   in Loop: Header=BB4_142 Depth=2
	s_delay_alu instid0(VALU_DEP_1)
	v_bfe_u32 v14, v15, 23, 1
; %bb.209:                              ;   in Loop: Header=BB4_142 Depth=2
	s_or_b32 exec_lo, exec_lo, s11
	v_lshrrev_b32_e32 v15, 20, v15
	s_delay_alu instid0(VALU_DEP_2) | instskip(SKIP_2) | instid1(VALU_DEP_2)
	v_cmp_gt_i32_e32 vcc_lo, 16, v14
	v_min_i32_e32 v16, 15, v14
	v_lshrrev_b32_e32 v10, 24, v10
	v_dual_cndmask_b32 v15, 7, v15 :: v_dual_lshlrev_b32 v16, 3, v16
	s_delay_alu instid0(VALU_DEP_2) | instskip(NEXT) | instid1(VALU_DEP_2)
	v_and_b32_e32 v10, 0x80, v10
	v_or_b32_e32 v14, v14, v15
	v_and_b32_e32 v17, 7, v15
	s_delay_alu instid0(VALU_DEP_2) | instskip(SKIP_1) | instid1(VALU_DEP_1)
	v_cmp_ne_u32_e32 vcc_lo, 0, v14
	v_and_b32_e32 v16, 0xf8, v16
	v_or3_b32 v10, v16, v10, v17
	s_delay_alu instid0(VALU_DEP_1)
	v_cndmask_b32_e32 v131, 0, v10, vcc_lo
.LBB4_210:                              ;   in Loop: Header=BB4_142 Depth=2
	s_or_b32 exec_lo, exec_lo, s27
.LBB4_211:                              ;   in Loop: Header=BB4_142 Depth=2
	s_delay_alu instid0(SALU_CYCLE_1) | instskip(SKIP_3) | instid1(VALU_DEP_1)
	s_or_b32 exec_lo, exec_lo, s26
	v_lshrrev_b16 v10, 8, v11
	s_mov_b32 s11, 0
	s_mov_b32 s27, exec_lo
                                        ; implicit-def: $sgpr26
	v_cmpx_lt_i16_e32 0x7f, v10
	s_xor_b32 s27, exec_lo, s27
	s_cbranch_execnz .LBB4_1065
; %bb.212:                              ;   in Loop: Header=BB4_142 Depth=2
	s_or_saveexec_b32 s27, s27
	v_mov_b32_e32 v14, s26
	s_xor_b32 exec_lo, exec_lo, s27
	s_cbranch_execnz .LBB4_1068
.LBB4_213:                              ;   in Loop: Header=BB4_142 Depth=2
	s_or_b32 exec_lo, exec_lo, s27
	s_and_saveexec_b32 s26, s11
	s_cbranch_execz .LBB4_215
.LBB4_214:                              ;   in Loop: Header=BB4_142 Depth=2
	v_and_b32_e32 v14, 0xffff, v10
	v_lshlrev_b32_e32 v10, 24, v10
	s_delay_alu instid0(VALU_DEP_2) | instskip(NEXT) | instid1(VALU_DEP_2)
	v_and_b32_e32 v15, 7, v14
	v_and_b32_e32 v10, 0x80000000, v10
	s_delay_alu instid0(VALU_DEP_2) | instskip(NEXT) | instid1(VALU_DEP_1)
	v_clz_i32_u32_e32 v16, v15
	v_min_u32_e32 v16, 32, v16
	s_delay_alu instid0(VALU_DEP_1) | instskip(SKIP_1) | instid1(VALU_DEP_2)
	v_subrev_nc_u32_e32 v17, 28, v16
	v_sub_nc_u32_e32 v16, 29, v16
	v_lshlrev_b32_e32 v17, v17, v14
	v_bfe_u32 v14, v14, 3, 4
	s_delay_alu instid0(VALU_DEP_2) | instskip(NEXT) | instid1(VALU_DEP_2)
	v_and_b32_e32 v17, 7, v17
	v_cmp_eq_u32_e32 vcc_lo, 0, v14
	s_delay_alu instid0(VALU_DEP_2) | instskip(NEXT) | instid1(VALU_DEP_1)
	v_dual_cndmask_b32 v14, v14, v16 :: v_dual_cndmask_b32 v15, v15, v17
	v_lshl_add_u32 v14, v14, 23, 0x3b800000
	s_delay_alu instid0(VALU_DEP_2) | instskip(NEXT) | instid1(VALU_DEP_1)
	v_lshlrev_b32_e32 v15, 20, v15
	v_or3_b32 v14, v10, v14, v15
.LBB4_215:                              ;   in Loop: Header=BB4_142 Depth=2
	s_or_b32 exec_lo, exec_lo, s26
	s_delay_alu instid0(VALU_DEP_1) | instskip(SKIP_1) | instid1(VALU_DEP_1)
	v_dual_mul_f32 v10, s25, v14 :: v_dual_mov_b32 v161, 0x8000
	s_mov_b32 s26, exec_lo
	v_and_b32_e32 v14, 0x7f800000, v10
	s_delay_alu instid0(VALU_DEP_1)
	v_cmpx_ne_u32_e32 0x7f800000, v14
	s_cbranch_execz .LBB4_223
; %bb.216:                              ;   in Loop: Header=BB4_142 Depth=2
	v_mov_b32_e32 v161, 0
	s_mov_b32 s27, exec_lo
	v_cmpx_ne_u32_e32 0, v10
	s_cbranch_execz .LBB4_222
; %bb.217:                              ;   in Loop: Header=BB4_142 Depth=2
	v_bfe_u32 v14, v10, 23, 8
	s_delay_alu instid0(VALU_DEP_1) | instskip(SKIP_1) | instid1(VALU_DEP_2)
	v_sub_nc_u32_e32 v16, 0x78, v14
	v_cmp_gt_u32_e32 vcc_lo, 0x79, v14
	v_dual_cndmask_b32 v16, 0, v16 :: v_dual_and_b32 v15, 0x7fffff, v10
	s_delay_alu instid0(VALU_DEP_1) | instskip(SKIP_2) | instid1(VALU_DEP_4)
	v_or_b32_e32 v17, 0x800000, v15
	v_cmp_eq_u32_e32 vcc_lo, 0, v14
	v_add_nc_u32_e32 v14, 0xffffff89, v14
	v_cndmask_b32_e64 v16, v16, 0x77, vcc_lo
	s_delay_alu instid0(VALU_DEP_4) | instskip(NEXT) | instid1(VALU_DEP_3)
	v_cndmask_b32_e32 v15, v17, v15, vcc_lo
	v_cndmask_b32_e64 v14, v14, 0xffffff8a, vcc_lo
	s_delay_alu instid0(VALU_DEP_3) | instskip(NEXT) | instid1(VALU_DEP_3)
	v_lshl_add_u32 v17, 0x100000, v16, -1
	v_lshrrev_b32_e32 v99, v16, v15
	v_lshlrev_b32_e64 v101, v16, 0x80000
	s_delay_alu instid0(VALU_DEP_4) | instskip(NEXT) | instid1(VALU_DEP_4)
	v_add_nc_u32_e32 v16, v16, v14
	v_and_b32_e32 v15, v17, v15
	s_delay_alu instid0(VALU_DEP_4) | instskip(NEXT) | instid1(VALU_DEP_2)
	v_bfe_u32 v100, v99, 20, 1
	v_cmp_eq_u32_e64 s11, v15, v101
	s_delay_alu instid0(VALU_DEP_2) | instskip(NEXT) | instid1(VALU_DEP_1)
	v_add_nc_u32_e32 v17, -1, v100
	v_cndmask_b32_e64 v15, 0, v17, s11
	v_lshrrev_b32_e32 v17, 23, v99
	s_mov_b32 s11, exec_lo
	s_delay_alu instid0(VALU_DEP_2) | instskip(NEXT) | instid1(VALU_DEP_2)
	v_add_nc_u32_e32 v15, v15, v99
	v_xor_b32_e32 v17, 1, v17
	s_delay_alu instid0(VALU_DEP_2) | instskip(NEXT) | instid1(VALU_DEP_1)
	v_and_b32_e32 v14, 0xfffff, v15
	v_add_nc_u32_e32 v15, v14, v99
                                        ; implicit-def: $vgpr14
	s_delay_alu instid0(VALU_DEP_3)
	v_cmpx_ne_u32_e64 v16, v17
	s_xor_b32 s11, exec_lo, s11
; %bb.218:                              ;   in Loop: Header=BB4_142 Depth=2
	s_delay_alu instid0(VALU_DEP_2) | instskip(SKIP_2) | instid1(VALU_DEP_2)
	v_cmp_lt_u32_e32 vcc_lo, 0xffffff, v15
	v_sub_nc_u32_e32 v14, v16, v17
	v_cndmask_b32_e64 v16, 0, 1, vcc_lo
	v_add_co_ci_u32_e32 v14, vcc_lo, 0, v14, vcc_lo
	s_delay_alu instid0(VALU_DEP_2)
	v_lshrrev_b32_e32 v15, v16, v15
; %bb.219:                              ;   in Loop: Header=BB4_142 Depth=2
	s_and_not1_saveexec_b32 s11, s11
; %bb.220:                              ;   in Loop: Header=BB4_142 Depth=2
	s_delay_alu instid0(VALU_DEP_1)
	v_bfe_u32 v14, v15, 23, 1
; %bb.221:                              ;   in Loop: Header=BB4_142 Depth=2
	s_or_b32 exec_lo, exec_lo, s11
	v_lshrrev_b32_e32 v15, 20, v15
	s_delay_alu instid0(VALU_DEP_2) | instskip(SKIP_2) | instid1(VALU_DEP_2)
	v_cmp_gt_i32_e32 vcc_lo, 16, v14
	v_min_i32_e32 v16, 15, v14
	v_lshrrev_b32_e32 v10, 24, v10
	v_dual_cndmask_b32 v15, 7, v15 :: v_dual_lshlrev_b32 v16, 3, v16
	s_delay_alu instid0(VALU_DEP_2) | instskip(NEXT) | instid1(VALU_DEP_2)
	v_and_b32_e32 v10, 0x80, v10
	v_or_b32_e32 v14, v14, v15
	v_and_b32_e32 v17, 7, v15
	s_delay_alu instid0(VALU_DEP_2) | instskip(SKIP_1) | instid1(VALU_DEP_1)
	v_cmp_ne_u32_e32 vcc_lo, 0, v14
	v_and_b32_e32 v16, 0xf8, v16
	v_or3_b32 v10, v10, v16, v17
	s_delay_alu instid0(VALU_DEP_1) | instskip(NEXT) | instid1(VALU_DEP_1)
	v_lshlrev_b32_e32 v10, 8, v10
	v_cndmask_b32_e32 v161, 0, v10, vcc_lo
.LBB4_222:                              ;   in Loop: Header=BB4_142 Depth=2
	s_or_b32 exec_lo, exec_lo, s27
.LBB4_223:                              ;   in Loop: Header=BB4_142 Depth=2
	s_delay_alu instid0(SALU_CYCLE_1) | instskip(SKIP_3) | instid1(VALU_DEP_1)
	s_or_b32 exec_lo, exec_lo, s26
	v_lshrrev_b32_e32 v10, 16, v11
	s_mov_b32 s11, 0
	s_mov_b32 s27, exec_lo
                                        ; implicit-def: $sgpr26
	v_and_b32_e32 v15, 0xff, v10
	s_delay_alu instid0(VALU_DEP_1)
	v_cmpx_lt_i16_e32 0x7f, v15
	s_xor_b32 s27, exec_lo, s27
	s_cbranch_execnz .LBB4_1069
; %bb.224:                              ;   in Loop: Header=BB4_142 Depth=2
	s_or_saveexec_b32 s27, s27
	v_mov_b32_e32 v14, s26
	s_xor_b32 exec_lo, exec_lo, s27
	s_cbranch_execnz .LBB4_1072
.LBB4_225:                              ;   in Loop: Header=BB4_142 Depth=2
	s_or_b32 exec_lo, exec_lo, s27
	s_and_saveexec_b32 s26, s11
	s_cbranch_execz .LBB4_227
.LBB4_226:                              ;   in Loop: Header=BB4_142 Depth=2
	v_bfe_u32 v14, v11, 16, 3
	s_delay_alu instid0(VALU_DEP_1) | instskip(NEXT) | instid1(VALU_DEP_1)
	v_clz_i32_u32_e32 v15, v14
	v_min_u32_e32 v15, 32, v15
	s_delay_alu instid0(VALU_DEP_1) | instskip(SKIP_1) | instid1(VALU_DEP_2)
	v_subrev_nc_u32_e32 v16, 28, v15
	v_sub_nc_u32_e32 v15, 29, v15
	v_lshlrev_b32_e32 v10, v16, v10
	v_bfe_u32 v16, v11, 19, 4
	s_delay_alu instid0(VALU_DEP_1) | instskip(NEXT) | instid1(VALU_DEP_3)
	v_cmp_eq_u32_e32 vcc_lo, 0, v16
	v_dual_cndmask_b32 v15, v16, v15 :: v_dual_and_b32 v10, 7, v10
	s_delay_alu instid0(VALU_DEP_1) | instskip(NEXT) | instid1(VALU_DEP_2)
	v_dual_cndmask_b32 v10, v14, v10 :: v_dual_lshlrev_b32 v17, 8, v11
	v_lshl_add_u32 v15, v15, 23, 0x3b800000
	s_delay_alu instid0(VALU_DEP_2) | instskip(NEXT) | instid1(VALU_DEP_3)
	v_and_b32_e32 v14, 0x80000000, v17
	v_lshlrev_b32_e32 v10, 20, v10
	s_delay_alu instid0(VALU_DEP_1)
	v_or3_b32 v14, v14, v15, v10
.LBB4_227:                              ;   in Loop: Header=BB4_142 Depth=2
	s_or_b32 exec_lo, exec_lo, s26
	s_delay_alu instid0(VALU_DEP_1) | instskip(SKIP_1) | instid1(VALU_DEP_1)
	v_dual_mul_f32 v10, s25, v14 :: v_dual_mov_b32 v147, 0x80
	s_mov_b32 s26, exec_lo
	v_and_b32_e32 v14, 0x7f800000, v10
	s_delay_alu instid0(VALU_DEP_1)
	v_cmpx_ne_u32_e32 0x7f800000, v14
	s_cbranch_execz .LBB4_235
; %bb.228:                              ;   in Loop: Header=BB4_142 Depth=2
	v_mov_b32_e32 v147, 0
	s_mov_b32 s27, exec_lo
	v_cmpx_ne_u32_e32 0, v10
	s_cbranch_execz .LBB4_234
; %bb.229:                              ;   in Loop: Header=BB4_142 Depth=2
	v_bfe_u32 v14, v10, 23, 8
	s_delay_alu instid0(VALU_DEP_1) | instskip(SKIP_1) | instid1(VALU_DEP_2)
	v_sub_nc_u32_e32 v16, 0x78, v14
	v_cmp_gt_u32_e32 vcc_lo, 0x79, v14
	v_dual_cndmask_b32 v16, 0, v16 :: v_dual_and_b32 v15, 0x7fffff, v10
	s_delay_alu instid0(VALU_DEP_1) | instskip(SKIP_2) | instid1(VALU_DEP_4)
	v_or_b32_e32 v17, 0x800000, v15
	v_cmp_eq_u32_e32 vcc_lo, 0, v14
	v_add_nc_u32_e32 v14, 0xffffff89, v14
	v_cndmask_b32_e64 v16, v16, 0x77, vcc_lo
	s_delay_alu instid0(VALU_DEP_4) | instskip(NEXT) | instid1(VALU_DEP_3)
	v_cndmask_b32_e32 v15, v17, v15, vcc_lo
	v_cndmask_b32_e64 v14, v14, 0xffffff8a, vcc_lo
	s_delay_alu instid0(VALU_DEP_3) | instskip(NEXT) | instid1(VALU_DEP_3)
	v_lshl_add_u32 v17, 0x100000, v16, -1
	v_lshrrev_b32_e32 v99, v16, v15
	v_lshlrev_b32_e64 v101, v16, 0x80000
	s_delay_alu instid0(VALU_DEP_4) | instskip(NEXT) | instid1(VALU_DEP_4)
	v_add_nc_u32_e32 v16, v16, v14
	v_and_b32_e32 v15, v17, v15
	s_delay_alu instid0(VALU_DEP_4) | instskip(NEXT) | instid1(VALU_DEP_2)
	v_bfe_u32 v100, v99, 20, 1
	v_cmp_eq_u32_e64 s11, v15, v101
	s_delay_alu instid0(VALU_DEP_2) | instskip(NEXT) | instid1(VALU_DEP_1)
	v_add_nc_u32_e32 v17, -1, v100
	v_cndmask_b32_e64 v15, 0, v17, s11
	v_lshrrev_b32_e32 v17, 23, v99
	s_mov_b32 s11, exec_lo
	s_delay_alu instid0(VALU_DEP_2) | instskip(NEXT) | instid1(VALU_DEP_2)
	v_add_nc_u32_e32 v15, v15, v99
	v_xor_b32_e32 v17, 1, v17
	s_delay_alu instid0(VALU_DEP_2) | instskip(NEXT) | instid1(VALU_DEP_1)
	v_and_b32_e32 v14, 0xfffff, v15
	v_add_nc_u32_e32 v15, v14, v99
                                        ; implicit-def: $vgpr14
	s_delay_alu instid0(VALU_DEP_3)
	v_cmpx_ne_u32_e64 v16, v17
	s_xor_b32 s11, exec_lo, s11
; %bb.230:                              ;   in Loop: Header=BB4_142 Depth=2
	s_delay_alu instid0(VALU_DEP_2) | instskip(SKIP_2) | instid1(VALU_DEP_2)
	v_cmp_lt_u32_e32 vcc_lo, 0xffffff, v15
	v_sub_nc_u32_e32 v14, v16, v17
	v_cndmask_b32_e64 v16, 0, 1, vcc_lo
	v_add_co_ci_u32_e32 v14, vcc_lo, 0, v14, vcc_lo
	s_delay_alu instid0(VALU_DEP_2)
	v_lshrrev_b32_e32 v15, v16, v15
; %bb.231:                              ;   in Loop: Header=BB4_142 Depth=2
	s_and_not1_saveexec_b32 s11, s11
; %bb.232:                              ;   in Loop: Header=BB4_142 Depth=2
	s_delay_alu instid0(VALU_DEP_1)
	v_bfe_u32 v14, v15, 23, 1
; %bb.233:                              ;   in Loop: Header=BB4_142 Depth=2
	s_or_b32 exec_lo, exec_lo, s11
	v_lshrrev_b32_e32 v15, 20, v15
	s_delay_alu instid0(VALU_DEP_2) | instskip(SKIP_2) | instid1(VALU_DEP_2)
	v_cmp_gt_i32_e32 vcc_lo, 16, v14
	v_min_i32_e32 v16, 15, v14
	v_lshrrev_b32_e32 v10, 24, v10
	v_dual_cndmask_b32 v15, 7, v15 :: v_dual_lshlrev_b32 v16, 3, v16
	s_delay_alu instid0(VALU_DEP_2) | instskip(NEXT) | instid1(VALU_DEP_2)
	v_and_b32_e32 v10, 0x80, v10
	v_or_b32_e32 v14, v14, v15
	v_and_b32_e32 v17, 7, v15
	s_delay_alu instid0(VALU_DEP_2) | instskip(SKIP_1) | instid1(VALU_DEP_1)
	v_cmp_ne_u32_e32 vcc_lo, 0, v14
	v_and_b32_e32 v16, 0xf8, v16
	v_or3_b32 v10, v16, v10, v17
	s_delay_alu instid0(VALU_DEP_1)
	v_cndmask_b32_e32 v147, 0, v10, vcc_lo
.LBB4_234:                              ;   in Loop: Header=BB4_142 Depth=2
	s_or_b32 exec_lo, exec_lo, s27
.LBB4_235:                              ;   in Loop: Header=BB4_142 Depth=2
	s_delay_alu instid0(SALU_CYCLE_1) | instskip(SKIP_3) | instid1(VALU_DEP_1)
	s_or_b32 exec_lo, exec_lo, s26
	v_lshrrev_b32_e32 v10, 24, v11
	s_mov_b32 s11, 0
	s_mov_b32 s27, exec_lo
                                        ; implicit-def: $sgpr26
	v_cmpx_lt_i16_e32 0x7f, v10
	s_xor_b32 s27, exec_lo, s27
	s_cbranch_execnz .LBB4_1073
; %bb.236:                              ;   in Loop: Header=BB4_142 Depth=2
	s_or_saveexec_b32 s27, s27
	v_mov_b32_e32 v14, s26
	s_xor_b32 exec_lo, exec_lo, s27
	s_cbranch_execnz .LBB4_1076
.LBB4_237:                              ;   in Loop: Header=BB4_142 Depth=2
	s_or_b32 exec_lo, exec_lo, s27
	s_and_saveexec_b32 s26, s11
	s_cbranch_execz .LBB4_239
.LBB4_238:                              ;   in Loop: Header=BB4_142 Depth=2
	v_bfe_u32 v14, v11, 24, 3
	s_delay_alu instid0(VALU_DEP_1) | instskip(NEXT) | instid1(VALU_DEP_1)
	v_clz_i32_u32_e32 v15, v14
	v_min_u32_e32 v15, 32, v15
	s_delay_alu instid0(VALU_DEP_1) | instskip(SKIP_1) | instid1(VALU_DEP_2)
	v_subrev_nc_u32_e32 v16, 28, v15
	v_sub_nc_u32_e32 v15, 29, v15
	v_lshlrev_b32_e32 v10, v16, v10
	v_bfe_u32 v16, v11, 27, 4
	v_and_b32_e32 v11, 0x80000000, v11
	s_delay_alu instid0(VALU_DEP_2) | instskip(NEXT) | instid1(VALU_DEP_4)
	v_cmp_eq_u32_e32 vcc_lo, 0, v16
	v_dual_cndmask_b32 v15, v16, v15 :: v_dual_and_b32 v10, 7, v10
	s_delay_alu instid0(VALU_DEP_1) | instskip(NEXT) | instid1(VALU_DEP_2)
	v_cndmask_b32_e32 v10, v14, v10, vcc_lo
	v_lshl_add_u32 v14, v15, 23, 0x3b800000
	s_delay_alu instid0(VALU_DEP_2) | instskip(NEXT) | instid1(VALU_DEP_1)
	v_lshlrev_b32_e32 v10, 20, v10
	v_or3_b32 v14, v11, v14, v10
.LBB4_239:                              ;   in Loop: Header=BB4_142 Depth=2
	s_or_b32 exec_lo, exec_lo, s26
	s_delay_alu instid0(VALU_DEP_1) | instskip(SKIP_2) | instid1(VALU_DEP_2)
	v_mul_f32_e32 v10, s25, v14
	v_mov_b32_e32 v160, 0x8000
	s_mov_b32 s26, exec_lo
	v_and_b32_e32 v11, 0x7f800000, v10
	s_delay_alu instid0(VALU_DEP_1)
	v_cmpx_ne_u32_e32 0x7f800000, v11
	s_cbranch_execz .LBB4_247
; %bb.240:                              ;   in Loop: Header=BB4_142 Depth=2
	v_mov_b32_e32 v160, 0
	s_mov_b32 s27, exec_lo
	v_cmpx_ne_u32_e32 0, v10
	s_cbranch_execz .LBB4_246
; %bb.241:                              ;   in Loop: Header=BB4_142 Depth=2
	v_bfe_u32 v11, v10, 23, 8
	s_delay_alu instid0(VALU_DEP_1) | instskip(SKIP_1) | instid1(VALU_DEP_2)
	v_sub_nc_u32_e32 v15, 0x78, v11
	v_cmp_gt_u32_e32 vcc_lo, 0x79, v11
	v_dual_cndmask_b32 v15, 0, v15 :: v_dual_and_b32 v14, 0x7fffff, v10
	s_delay_alu instid0(VALU_DEP_1) | instskip(SKIP_2) | instid1(VALU_DEP_4)
	v_or_b32_e32 v16, 0x800000, v14
	v_cmp_eq_u32_e32 vcc_lo, 0, v11
	v_add_nc_u32_e32 v11, 0xffffff89, v11
	v_cndmask_b32_e64 v15, v15, 0x77, vcc_lo
	s_delay_alu instid0(VALU_DEP_4) | instskip(NEXT) | instid1(VALU_DEP_3)
	v_cndmask_b32_e32 v14, v16, v14, vcc_lo
	v_cndmask_b32_e64 v11, v11, 0xffffff8a, vcc_lo
	s_delay_alu instid0(VALU_DEP_3) | instskip(NEXT) | instid1(VALU_DEP_3)
	v_lshl_add_u32 v16, 0x100000, v15, -1
	v_lshrrev_b32_e32 v17, v15, v14
	v_lshlrev_b32_e64 v100, v15, 0x80000
	s_delay_alu instid0(VALU_DEP_4) | instskip(NEXT) | instid1(VALU_DEP_4)
	v_add_nc_u32_e32 v15, v15, v11
	v_and_b32_e32 v14, v16, v14
	s_delay_alu instid0(VALU_DEP_4) | instskip(NEXT) | instid1(VALU_DEP_2)
	v_bfe_u32 v99, v17, 20, 1
	v_cmp_eq_u32_e64 s11, v14, v100
	s_delay_alu instid0(VALU_DEP_2) | instskip(NEXT) | instid1(VALU_DEP_1)
	v_add_nc_u32_e32 v16, -1, v99
	v_cndmask_b32_e64 v14, 0, v16, s11
	v_lshrrev_b32_e32 v16, 23, v17
	s_mov_b32 s11, exec_lo
	s_delay_alu instid0(VALU_DEP_2) | instskip(NEXT) | instid1(VALU_DEP_2)
	v_add_nc_u32_e32 v14, v14, v17
	v_xor_b32_e32 v16, 1, v16
	s_delay_alu instid0(VALU_DEP_2) | instskip(NEXT) | instid1(VALU_DEP_1)
	v_and_b32_e32 v11, 0xfffff, v14
	v_add_nc_u32_e32 v14, v11, v17
                                        ; implicit-def: $vgpr11
	s_delay_alu instid0(VALU_DEP_3)
	v_cmpx_ne_u32_e64 v15, v16
	s_xor_b32 s11, exec_lo, s11
; %bb.242:                              ;   in Loop: Header=BB4_142 Depth=2
	s_delay_alu instid0(VALU_DEP_2) | instskip(SKIP_2) | instid1(VALU_DEP_2)
	v_cmp_lt_u32_e32 vcc_lo, 0xffffff, v14
	v_sub_nc_u32_e32 v11, v15, v16
	v_cndmask_b32_e64 v15, 0, 1, vcc_lo
	v_add_co_ci_u32_e32 v11, vcc_lo, 0, v11, vcc_lo
	s_delay_alu instid0(VALU_DEP_2)
	v_lshrrev_b32_e32 v14, v15, v14
; %bb.243:                              ;   in Loop: Header=BB4_142 Depth=2
	s_and_not1_saveexec_b32 s11, s11
; %bb.244:                              ;   in Loop: Header=BB4_142 Depth=2
	s_delay_alu instid0(VALU_DEP_1)
	v_bfe_u32 v11, v14, 23, 1
; %bb.245:                              ;   in Loop: Header=BB4_142 Depth=2
	s_or_b32 exec_lo, exec_lo, s11
	v_lshrrev_b32_e32 v14, 20, v14
	s_delay_alu instid0(VALU_DEP_2) | instskip(SKIP_2) | instid1(VALU_DEP_2)
	v_cmp_gt_i32_e32 vcc_lo, 16, v11
	v_min_i32_e32 v15, 15, v11
	v_lshrrev_b32_e32 v10, 24, v10
	v_dual_cndmask_b32 v14, 7, v14 :: v_dual_lshlrev_b32 v15, 3, v15
	s_delay_alu instid0(VALU_DEP_2) | instskip(NEXT) | instid1(VALU_DEP_2)
	v_and_b32_e32 v10, 0x80, v10
	v_or_b32_e32 v11, v11, v14
	v_and_b32_e32 v16, 7, v14
	s_delay_alu instid0(VALU_DEP_2) | instskip(SKIP_1) | instid1(VALU_DEP_1)
	v_cmp_ne_u32_e32 vcc_lo, 0, v11
	v_and_b32_e32 v15, 0xf8, v15
	v_or3_b32 v10, v10, v15, v16
	s_delay_alu instid0(VALU_DEP_1) | instskip(NEXT) | instid1(VALU_DEP_1)
	v_lshlrev_b32_e32 v10, 8, v10
	v_cndmask_b32_e32 v160, 0, v10, vcc_lo
.LBB4_246:                              ;   in Loop: Header=BB4_142 Depth=2
	s_or_b32 exec_lo, exec_lo, s27
.LBB4_247:                              ;   in Loop: Header=BB4_142 Depth=2
	s_delay_alu instid0(SALU_CYCLE_1) | instskip(SKIP_3) | instid1(VALU_DEP_1)
	s_or_b32 exec_lo, exec_lo, s26
	v_and_b32_e32 v11, 0xff, v12
	s_mov_b32 s11, 0
	s_mov_b32 s27, exec_lo
                                        ; implicit-def: $sgpr26
	v_cmpx_lt_i16_e32 0x7f, v11
	s_xor_b32 s27, exec_lo, s27
	s_cbranch_execnz .LBB4_1077
; %bb.248:                              ;   in Loop: Header=BB4_142 Depth=2
	s_or_saveexec_b32 s27, s27
	v_mov_b32_e32 v10, s26
	s_xor_b32 exec_lo, exec_lo, s27
	s_cbranch_execnz .LBB4_1080
.LBB4_249:                              ;   in Loop: Header=BB4_142 Depth=2
	s_or_b32 exec_lo, exec_lo, s27
	s_and_saveexec_b32 s26, s11
	s_cbranch_execz .LBB4_251
.LBB4_250:                              ;   in Loop: Header=BB4_142 Depth=2
	v_bfe_u32 v15, v12, 3, 4
	v_lshlrev_b32_e32 v16, 24, v12
	s_delay_alu instid0(VALU_DEP_2) | instskip(SKIP_1) | instid1(VALU_DEP_1)
	v_cmp_eq_u32_e32 vcc_lo, 0, v15
	v_and_b32_e32 v10, 7, v12
	v_clz_i32_u32_e32 v11, v10
	s_delay_alu instid0(VALU_DEP_1) | instskip(NEXT) | instid1(VALU_DEP_1)
	v_min_u32_e32 v11, 32, v11
	v_subrev_nc_u32_e32 v14, 28, v11
	v_sub_nc_u32_e32 v11, 29, v11
	s_delay_alu instid0(VALU_DEP_1) | instskip(NEXT) | instid1(VALU_DEP_1)
	v_dual_cndmask_b32 v11, v15, v11 :: v_dual_lshlrev_b32 v14, v14, v12
	v_and_b32_e32 v14, 7, v14
	s_delay_alu instid0(VALU_DEP_2) | instskip(NEXT) | instid1(VALU_DEP_2)
	v_lshl_add_u32 v11, v11, 23, 0x3b800000
	v_cndmask_b32_e32 v10, v10, v14, vcc_lo
	v_and_b32_e32 v14, 0x80000000, v16
	s_delay_alu instid0(VALU_DEP_2) | instskip(NEXT) | instid1(VALU_DEP_1)
	v_lshlrev_b32_e32 v10, 20, v10
	v_or3_b32 v10, v14, v11, v10
.LBB4_251:                              ;   in Loop: Header=BB4_142 Depth=2
	s_or_b32 exec_lo, exec_lo, s26
	s_delay_alu instid0(VALU_DEP_1) | instskip(SKIP_1) | instid1(VALU_DEP_1)
	v_dual_mul_f32 v10, s25, v10 :: v_dual_mov_b32 v151, 0x80
	s_mov_b32 s26, exec_lo
	v_and_b32_e32 v11, 0x7f800000, v10
	s_delay_alu instid0(VALU_DEP_1)
	v_cmpx_ne_u32_e32 0x7f800000, v11
	s_cbranch_execz .LBB4_259
; %bb.252:                              ;   in Loop: Header=BB4_142 Depth=2
	v_mov_b32_e32 v151, 0
	s_mov_b32 s27, exec_lo
	v_cmpx_ne_u32_e32 0, v10
	s_cbranch_execz .LBB4_258
; %bb.253:                              ;   in Loop: Header=BB4_142 Depth=2
	v_bfe_u32 v11, v10, 23, 8
	s_delay_alu instid0(VALU_DEP_1) | instskip(SKIP_1) | instid1(VALU_DEP_2)
	v_sub_nc_u32_e32 v15, 0x78, v11
	v_cmp_gt_u32_e32 vcc_lo, 0x79, v11
	v_dual_cndmask_b32 v15, 0, v15 :: v_dual_and_b32 v14, 0x7fffff, v10
	s_delay_alu instid0(VALU_DEP_1) | instskip(SKIP_2) | instid1(VALU_DEP_4)
	v_or_b32_e32 v16, 0x800000, v14
	v_cmp_eq_u32_e32 vcc_lo, 0, v11
	v_add_nc_u32_e32 v11, 0xffffff89, v11
	v_cndmask_b32_e64 v15, v15, 0x77, vcc_lo
	s_delay_alu instid0(VALU_DEP_4) | instskip(NEXT) | instid1(VALU_DEP_3)
	v_cndmask_b32_e32 v14, v16, v14, vcc_lo
	v_cndmask_b32_e64 v11, v11, 0xffffff8a, vcc_lo
	s_delay_alu instid0(VALU_DEP_3) | instskip(NEXT) | instid1(VALU_DEP_3)
	v_lshl_add_u32 v16, 0x100000, v15, -1
	v_lshrrev_b32_e32 v17, v15, v14
	v_lshlrev_b32_e64 v100, v15, 0x80000
	s_delay_alu instid0(VALU_DEP_4) | instskip(NEXT) | instid1(VALU_DEP_4)
	v_add_nc_u32_e32 v15, v15, v11
	v_and_b32_e32 v14, v16, v14
	s_delay_alu instid0(VALU_DEP_4) | instskip(NEXT) | instid1(VALU_DEP_2)
	v_bfe_u32 v99, v17, 20, 1
	v_cmp_eq_u32_e64 s11, v14, v100
	s_delay_alu instid0(VALU_DEP_2) | instskip(NEXT) | instid1(VALU_DEP_1)
	v_add_nc_u32_e32 v16, -1, v99
	v_cndmask_b32_e64 v14, 0, v16, s11
	v_lshrrev_b32_e32 v16, 23, v17
	s_mov_b32 s11, exec_lo
	s_delay_alu instid0(VALU_DEP_2) | instskip(NEXT) | instid1(VALU_DEP_2)
	v_add_nc_u32_e32 v14, v14, v17
	v_xor_b32_e32 v16, 1, v16
	s_delay_alu instid0(VALU_DEP_2) | instskip(NEXT) | instid1(VALU_DEP_1)
	v_and_b32_e32 v11, 0xfffff, v14
	v_add_nc_u32_e32 v14, v11, v17
                                        ; implicit-def: $vgpr11
	s_delay_alu instid0(VALU_DEP_3)
	v_cmpx_ne_u32_e64 v15, v16
	s_xor_b32 s11, exec_lo, s11
; %bb.254:                              ;   in Loop: Header=BB4_142 Depth=2
	s_delay_alu instid0(VALU_DEP_2) | instskip(SKIP_2) | instid1(VALU_DEP_2)
	v_cmp_lt_u32_e32 vcc_lo, 0xffffff, v14
	v_sub_nc_u32_e32 v11, v15, v16
	v_cndmask_b32_e64 v15, 0, 1, vcc_lo
	v_add_co_ci_u32_e32 v11, vcc_lo, 0, v11, vcc_lo
	s_delay_alu instid0(VALU_DEP_2)
	v_lshrrev_b32_e32 v14, v15, v14
; %bb.255:                              ;   in Loop: Header=BB4_142 Depth=2
	s_and_not1_saveexec_b32 s11, s11
; %bb.256:                              ;   in Loop: Header=BB4_142 Depth=2
	s_delay_alu instid0(VALU_DEP_1)
	v_bfe_u32 v11, v14, 23, 1
; %bb.257:                              ;   in Loop: Header=BB4_142 Depth=2
	s_or_b32 exec_lo, exec_lo, s11
	v_lshrrev_b32_e32 v14, 20, v14
	s_delay_alu instid0(VALU_DEP_2) | instskip(SKIP_2) | instid1(VALU_DEP_4)
	v_cmp_gt_i32_e32 vcc_lo, 16, v11
	v_lshrrev_b32_e32 v10, 24, v10
	v_min_i32_e32 v15, 15, v11
	v_cndmask_b32_e32 v14, 7, v14, vcc_lo
	s_delay_alu instid0(VALU_DEP_3) | instskip(NEXT) | instid1(VALU_DEP_3)
	v_and_b32_e32 v10, 0x80, v10
	v_lshlrev_b32_e32 v15, 3, v15
	s_delay_alu instid0(VALU_DEP_3) | instskip(SKIP_1) | instid1(VALU_DEP_2)
	v_and_b32_e32 v16, 7, v14
	v_or_b32_e32 v11, v11, v14
	v_or3_b32 v10, v15, v10, v16
	s_delay_alu instid0(VALU_DEP_2) | instskip(NEXT) | instid1(VALU_DEP_2)
	v_cmp_ne_u32_e32 vcc_lo, 0, v11
	v_cndmask_b32_e32 v151, 0, v10, vcc_lo
.LBB4_258:                              ;   in Loop: Header=BB4_142 Depth=2
	s_or_b32 exec_lo, exec_lo, s27
.LBB4_259:                              ;   in Loop: Header=BB4_142 Depth=2
	s_delay_alu instid0(SALU_CYCLE_1) | instskip(SKIP_3) | instid1(VALU_DEP_1)
	s_or_b32 exec_lo, exec_lo, s26
	v_lshrrev_b16 v10, 8, v12
	s_mov_b32 s11, 0
	s_mov_b32 s27, exec_lo
                                        ; implicit-def: $sgpr26
	v_cmpx_lt_i16_e32 0x7f, v10
	s_xor_b32 s27, exec_lo, s27
	s_cbranch_execnz .LBB4_1081
; %bb.260:                              ;   in Loop: Header=BB4_142 Depth=2
	s_or_saveexec_b32 s27, s27
	v_mov_b32_e32 v11, s26
	s_xor_b32 exec_lo, exec_lo, s27
	s_cbranch_execnz .LBB4_1084
.LBB4_261:                              ;   in Loop: Header=BB4_142 Depth=2
	s_or_b32 exec_lo, exec_lo, s27
	s_and_saveexec_b32 s26, s11
	s_cbranch_execz .LBB4_263
.LBB4_262:                              ;   in Loop: Header=BB4_142 Depth=2
	v_and_b32_e32 v11, 0xffff, v10
	v_lshlrev_b32_e32 v10, 24, v10
	s_delay_alu instid0(VALU_DEP_2) | instskip(NEXT) | instid1(VALU_DEP_2)
	v_and_b32_e32 v14, 7, v11
	v_and_b32_e32 v10, 0x80000000, v10
	s_delay_alu instid0(VALU_DEP_2) | instskip(NEXT) | instid1(VALU_DEP_1)
	v_clz_i32_u32_e32 v15, v14
	v_min_u32_e32 v15, 32, v15
	s_delay_alu instid0(VALU_DEP_1) | instskip(SKIP_1) | instid1(VALU_DEP_2)
	v_subrev_nc_u32_e32 v16, 28, v15
	v_sub_nc_u32_e32 v15, 29, v15
	v_lshlrev_b32_e32 v16, v16, v11
	v_bfe_u32 v11, v11, 3, 4
	s_delay_alu instid0(VALU_DEP_1) | instskip(NEXT) | instid1(VALU_DEP_3)
	v_cmp_eq_u32_e32 vcc_lo, 0, v11
	v_dual_cndmask_b32 v11, v11, v15 :: v_dual_and_b32 v16, 7, v16
	s_delay_alu instid0(VALU_DEP_1) | instskip(NEXT) | instid1(VALU_DEP_2)
	v_cndmask_b32_e32 v14, v14, v16, vcc_lo
	v_lshl_add_u32 v11, v11, 23, 0x3b800000
	s_delay_alu instid0(VALU_DEP_2) | instskip(NEXT) | instid1(VALU_DEP_1)
	v_lshlrev_b32_e32 v14, 20, v14
	v_or3_b32 v11, v10, v11, v14
.LBB4_263:                              ;   in Loop: Header=BB4_142 Depth=2
	s_or_b32 exec_lo, exec_lo, s26
	s_delay_alu instid0(VALU_DEP_1) | instskip(SKIP_1) | instid1(VALU_DEP_1)
	v_dual_mul_f32 v10, s25, v11 :: v_dual_mov_b32 v149, 0x80
	s_mov_b32 s26, exec_lo
	v_and_b32_e32 v11, 0x7f800000, v10
	s_delay_alu instid0(VALU_DEP_1)
	v_cmpx_ne_u32_e32 0x7f800000, v11
	s_cbranch_execz .LBB4_271
; %bb.264:                              ;   in Loop: Header=BB4_142 Depth=2
	v_mov_b32_e32 v149, 0
	s_mov_b32 s27, exec_lo
	v_cmpx_ne_u32_e32 0, v10
	s_cbranch_execz .LBB4_270
; %bb.265:                              ;   in Loop: Header=BB4_142 Depth=2
	v_bfe_u32 v11, v10, 23, 8
	s_delay_alu instid0(VALU_DEP_1) | instskip(SKIP_1) | instid1(VALU_DEP_2)
	v_sub_nc_u32_e32 v15, 0x78, v11
	v_cmp_gt_u32_e32 vcc_lo, 0x79, v11
	v_dual_cndmask_b32 v15, 0, v15 :: v_dual_and_b32 v14, 0x7fffff, v10
	s_delay_alu instid0(VALU_DEP_1) | instskip(SKIP_2) | instid1(VALU_DEP_4)
	v_or_b32_e32 v16, 0x800000, v14
	v_cmp_eq_u32_e32 vcc_lo, 0, v11
	v_add_nc_u32_e32 v11, 0xffffff89, v11
	v_cndmask_b32_e64 v15, v15, 0x77, vcc_lo
	s_delay_alu instid0(VALU_DEP_4) | instskip(NEXT) | instid1(VALU_DEP_3)
	v_cndmask_b32_e32 v14, v16, v14, vcc_lo
	v_cndmask_b32_e64 v11, v11, 0xffffff8a, vcc_lo
	s_delay_alu instid0(VALU_DEP_3) | instskip(NEXT) | instid1(VALU_DEP_3)
	v_lshl_add_u32 v16, 0x100000, v15, -1
	v_lshrrev_b32_e32 v17, v15, v14
	v_lshlrev_b32_e64 v100, v15, 0x80000
	s_delay_alu instid0(VALU_DEP_4) | instskip(NEXT) | instid1(VALU_DEP_4)
	v_add_nc_u32_e32 v15, v15, v11
	v_and_b32_e32 v14, v16, v14
	s_delay_alu instid0(VALU_DEP_4) | instskip(NEXT) | instid1(VALU_DEP_2)
	v_bfe_u32 v99, v17, 20, 1
	v_cmp_eq_u32_e64 s11, v14, v100
	s_delay_alu instid0(VALU_DEP_2) | instskip(NEXT) | instid1(VALU_DEP_1)
	v_add_nc_u32_e32 v16, -1, v99
	v_cndmask_b32_e64 v14, 0, v16, s11
	v_lshrrev_b32_e32 v16, 23, v17
	s_mov_b32 s11, exec_lo
	s_delay_alu instid0(VALU_DEP_2) | instskip(NEXT) | instid1(VALU_DEP_2)
	v_add_nc_u32_e32 v14, v14, v17
	v_xor_b32_e32 v16, 1, v16
	s_delay_alu instid0(VALU_DEP_2) | instskip(NEXT) | instid1(VALU_DEP_1)
	v_and_b32_e32 v11, 0xfffff, v14
	v_add_nc_u32_e32 v14, v11, v17
                                        ; implicit-def: $vgpr11
	s_delay_alu instid0(VALU_DEP_3)
	v_cmpx_ne_u32_e64 v15, v16
	s_xor_b32 s11, exec_lo, s11
; %bb.266:                              ;   in Loop: Header=BB4_142 Depth=2
	s_delay_alu instid0(VALU_DEP_2) | instskip(SKIP_2) | instid1(VALU_DEP_2)
	v_cmp_lt_u32_e32 vcc_lo, 0xffffff, v14
	v_sub_nc_u32_e32 v11, v15, v16
	v_cndmask_b32_e64 v15, 0, 1, vcc_lo
	v_add_co_ci_u32_e32 v11, vcc_lo, 0, v11, vcc_lo
	s_delay_alu instid0(VALU_DEP_2)
	v_lshrrev_b32_e32 v14, v15, v14
; %bb.267:                              ;   in Loop: Header=BB4_142 Depth=2
	s_and_not1_saveexec_b32 s11, s11
; %bb.268:                              ;   in Loop: Header=BB4_142 Depth=2
	s_delay_alu instid0(VALU_DEP_1)
	v_bfe_u32 v11, v14, 23, 1
; %bb.269:                              ;   in Loop: Header=BB4_142 Depth=2
	s_or_b32 exec_lo, exec_lo, s11
	v_lshrrev_b32_e32 v14, 20, v14
	s_delay_alu instid0(VALU_DEP_2) | instskip(SKIP_2) | instid1(VALU_DEP_4)
	v_cmp_gt_i32_e32 vcc_lo, 16, v11
	v_lshrrev_b32_e32 v10, 24, v10
	v_min_i32_e32 v15, 15, v11
	v_cndmask_b32_e32 v14, 7, v14, vcc_lo
	s_delay_alu instid0(VALU_DEP_3) | instskip(NEXT) | instid1(VALU_DEP_3)
	v_and_b32_e32 v10, 0x80, v10
	v_lshlrev_b32_e32 v15, 3, v15
	s_delay_alu instid0(VALU_DEP_3) | instskip(SKIP_1) | instid1(VALU_DEP_2)
	v_and_b32_e32 v16, 7, v14
	v_or_b32_e32 v11, v11, v14
	v_or3_b32 v10, v15, v10, v16
	s_delay_alu instid0(VALU_DEP_2) | instskip(NEXT) | instid1(VALU_DEP_2)
	v_cmp_ne_u32_e32 vcc_lo, 0, v11
	v_cndmask_b32_e32 v149, 0, v10, vcc_lo
.LBB4_270:                              ;   in Loop: Header=BB4_142 Depth=2
	s_or_b32 exec_lo, exec_lo, s27
.LBB4_271:                              ;   in Loop: Header=BB4_142 Depth=2
	s_delay_alu instid0(SALU_CYCLE_1) | instskip(SKIP_3) | instid1(VALU_DEP_1)
	s_or_b32 exec_lo, exec_lo, s26
	v_lshrrev_b32_e32 v10, 16, v12
	s_mov_b32 s11, 0
	s_mov_b32 s27, exec_lo
                                        ; implicit-def: $sgpr26
	v_and_b32_e32 v14, 0xff, v10
	s_delay_alu instid0(VALU_DEP_1)
	v_cmpx_lt_i16_e32 0x7f, v14
	s_xor_b32 s27, exec_lo, s27
	s_cbranch_execnz .LBB4_1085
; %bb.272:                              ;   in Loop: Header=BB4_142 Depth=2
	s_or_saveexec_b32 s27, s27
	v_mov_b32_e32 v11, s26
	s_xor_b32 exec_lo, exec_lo, s27
	s_cbranch_execnz .LBB4_1088
.LBB4_273:                              ;   in Loop: Header=BB4_142 Depth=2
	s_or_b32 exec_lo, exec_lo, s27
	s_and_saveexec_b32 s26, s11
	s_cbranch_execz .LBB4_275
.LBB4_274:                              ;   in Loop: Header=BB4_142 Depth=2
	v_bfe_u32 v11, v12, 16, 3
	v_lshlrev_b32_e32 v16, 8, v12
	s_delay_alu instid0(VALU_DEP_2) | instskip(NEXT) | instid1(VALU_DEP_1)
	v_clz_i32_u32_e32 v14, v11
	v_min_u32_e32 v14, 32, v14
	s_delay_alu instid0(VALU_DEP_1) | instskip(SKIP_1) | instid1(VALU_DEP_2)
	v_subrev_nc_u32_e32 v15, 28, v14
	v_sub_nc_u32_e32 v14, 29, v14
	v_lshlrev_b32_e32 v10, v15, v10
	v_bfe_u32 v15, v12, 19, 4
	s_delay_alu instid0(VALU_DEP_2) | instskip(NEXT) | instid1(VALU_DEP_2)
	v_and_b32_e32 v10, 7, v10
	v_cmp_eq_u32_e32 vcc_lo, 0, v15
	v_cndmask_b32_e32 v14, v15, v14, vcc_lo
	s_delay_alu instid0(VALU_DEP_3) | instskip(NEXT) | instid1(VALU_DEP_2)
	v_dual_cndmask_b32 v10, v11, v10 :: v_dual_and_b32 v11, 0x80000000, v16
	v_lshl_add_u32 v14, v14, 23, 0x3b800000
	s_delay_alu instid0(VALU_DEP_2) | instskip(NEXT) | instid1(VALU_DEP_1)
	v_lshlrev_b32_e32 v10, 20, v10
	v_or3_b32 v11, v11, v14, v10
.LBB4_275:                              ;   in Loop: Header=BB4_142 Depth=2
	s_or_b32 exec_lo, exec_lo, s26
	s_delay_alu instid0(VALU_DEP_1) | instskip(SKIP_2) | instid1(VALU_DEP_2)
	v_mul_f32_e32 v10, s25, v11
	v_mov_b32_e32 v148, 0x80
	s_mov_b32 s26, exec_lo
	v_and_b32_e32 v11, 0x7f800000, v10
	s_delay_alu instid0(VALU_DEP_1)
	v_cmpx_ne_u32_e32 0x7f800000, v11
	s_cbranch_execz .LBB4_283
; %bb.276:                              ;   in Loop: Header=BB4_142 Depth=2
	v_mov_b32_e32 v148, 0
	s_mov_b32 s27, exec_lo
	v_cmpx_ne_u32_e32 0, v10
	s_cbranch_execz .LBB4_282
; %bb.277:                              ;   in Loop: Header=BB4_142 Depth=2
	v_bfe_u32 v11, v10, 23, 8
	s_delay_alu instid0(VALU_DEP_1) | instskip(SKIP_1) | instid1(VALU_DEP_2)
	v_sub_nc_u32_e32 v15, 0x78, v11
	v_cmp_gt_u32_e32 vcc_lo, 0x79, v11
	v_dual_cndmask_b32 v15, 0, v15 :: v_dual_and_b32 v14, 0x7fffff, v10
	s_delay_alu instid0(VALU_DEP_1) | instskip(SKIP_2) | instid1(VALU_DEP_4)
	v_or_b32_e32 v16, 0x800000, v14
	v_cmp_eq_u32_e32 vcc_lo, 0, v11
	v_add_nc_u32_e32 v11, 0xffffff89, v11
	v_cndmask_b32_e64 v15, v15, 0x77, vcc_lo
	s_delay_alu instid0(VALU_DEP_4) | instskip(NEXT) | instid1(VALU_DEP_3)
	v_cndmask_b32_e32 v14, v16, v14, vcc_lo
	v_cndmask_b32_e64 v11, v11, 0xffffff8a, vcc_lo
	s_delay_alu instid0(VALU_DEP_3) | instskip(NEXT) | instid1(VALU_DEP_3)
	v_lshl_add_u32 v16, 0x100000, v15, -1
	v_lshrrev_b32_e32 v17, v15, v14
	v_lshlrev_b32_e64 v100, v15, 0x80000
	s_delay_alu instid0(VALU_DEP_4) | instskip(NEXT) | instid1(VALU_DEP_4)
	v_add_nc_u32_e32 v15, v15, v11
	v_and_b32_e32 v14, v16, v14
	s_delay_alu instid0(VALU_DEP_4) | instskip(NEXT) | instid1(VALU_DEP_2)
	v_bfe_u32 v99, v17, 20, 1
	v_cmp_eq_u32_e64 s11, v14, v100
	s_delay_alu instid0(VALU_DEP_2) | instskip(NEXT) | instid1(VALU_DEP_1)
	v_add_nc_u32_e32 v16, -1, v99
	v_cndmask_b32_e64 v14, 0, v16, s11
	v_lshrrev_b32_e32 v16, 23, v17
	s_mov_b32 s11, exec_lo
	s_delay_alu instid0(VALU_DEP_2) | instskip(NEXT) | instid1(VALU_DEP_2)
	v_add_nc_u32_e32 v14, v14, v17
	v_xor_b32_e32 v16, 1, v16
	s_delay_alu instid0(VALU_DEP_2) | instskip(NEXT) | instid1(VALU_DEP_1)
	v_and_b32_e32 v11, 0xfffff, v14
	v_add_nc_u32_e32 v14, v11, v17
                                        ; implicit-def: $vgpr11
	s_delay_alu instid0(VALU_DEP_3)
	v_cmpx_ne_u32_e64 v15, v16
	s_xor_b32 s11, exec_lo, s11
; %bb.278:                              ;   in Loop: Header=BB4_142 Depth=2
	s_delay_alu instid0(VALU_DEP_2) | instskip(SKIP_2) | instid1(VALU_DEP_2)
	v_cmp_lt_u32_e32 vcc_lo, 0xffffff, v14
	v_sub_nc_u32_e32 v11, v15, v16
	v_cndmask_b32_e64 v15, 0, 1, vcc_lo
	v_add_co_ci_u32_e32 v11, vcc_lo, 0, v11, vcc_lo
	s_delay_alu instid0(VALU_DEP_2)
	v_lshrrev_b32_e32 v14, v15, v14
; %bb.279:                              ;   in Loop: Header=BB4_142 Depth=2
	s_and_not1_saveexec_b32 s11, s11
; %bb.280:                              ;   in Loop: Header=BB4_142 Depth=2
	s_delay_alu instid0(VALU_DEP_1)
	v_bfe_u32 v11, v14, 23, 1
; %bb.281:                              ;   in Loop: Header=BB4_142 Depth=2
	s_or_b32 exec_lo, exec_lo, s11
	v_lshrrev_b32_e32 v14, 20, v14
	s_delay_alu instid0(VALU_DEP_2) | instskip(SKIP_2) | instid1(VALU_DEP_4)
	v_cmp_gt_i32_e32 vcc_lo, 16, v11
	v_lshrrev_b32_e32 v10, 24, v10
	v_min_i32_e32 v15, 15, v11
	v_cndmask_b32_e32 v14, 7, v14, vcc_lo
	s_delay_alu instid0(VALU_DEP_3) | instskip(NEXT) | instid1(VALU_DEP_3)
	v_and_b32_e32 v10, 0x80, v10
	v_lshlrev_b32_e32 v15, 3, v15
	s_delay_alu instid0(VALU_DEP_3) | instskip(SKIP_1) | instid1(VALU_DEP_2)
	v_and_b32_e32 v16, 7, v14
	v_or_b32_e32 v11, v11, v14
	v_or3_b32 v10, v15, v10, v16
	s_delay_alu instid0(VALU_DEP_2) | instskip(NEXT) | instid1(VALU_DEP_2)
	v_cmp_ne_u32_e32 vcc_lo, 0, v11
	v_cndmask_b32_e32 v148, 0, v10, vcc_lo
.LBB4_282:                              ;   in Loop: Header=BB4_142 Depth=2
	s_or_b32 exec_lo, exec_lo, s27
.LBB4_283:                              ;   in Loop: Header=BB4_142 Depth=2
	s_delay_alu instid0(SALU_CYCLE_1) | instskip(SKIP_3) | instid1(VALU_DEP_1)
	s_or_b32 exec_lo, exec_lo, s26
	v_lshrrev_b32_e32 v10, 24, v12
	s_mov_b32 s11, 0
	s_mov_b32 s27, exec_lo
                                        ; implicit-def: $sgpr26
	v_cmpx_lt_i16_e32 0x7f, v10
	s_xor_b32 s27, exec_lo, s27
	s_cbranch_execnz .LBB4_1089
; %bb.284:                              ;   in Loop: Header=BB4_142 Depth=2
	s_or_saveexec_b32 s27, s27
	v_mov_b32_e32 v11, s26
	s_xor_b32 exec_lo, exec_lo, s27
	s_cbranch_execnz .LBB4_1092
.LBB4_285:                              ;   in Loop: Header=BB4_142 Depth=2
	s_or_b32 exec_lo, exec_lo, s27
	s_and_saveexec_b32 s26, s11
	s_cbranch_execz .LBB4_287
.LBB4_286:                              ;   in Loop: Header=BB4_142 Depth=2
	v_bfe_u32 v11, v12, 24, 3
	s_delay_alu instid0(VALU_DEP_1) | instskip(NEXT) | instid1(VALU_DEP_1)
	v_clz_i32_u32_e32 v14, v11
	v_min_u32_e32 v14, 32, v14
	s_delay_alu instid0(VALU_DEP_1) | instskip(SKIP_1) | instid1(VALU_DEP_2)
	v_subrev_nc_u32_e32 v15, 28, v14
	v_sub_nc_u32_e32 v14, 29, v14
	v_lshlrev_b32_e32 v10, v15, v10
	v_bfe_u32 v15, v12, 27, 4
	s_delay_alu instid0(VALU_DEP_2) | instskip(NEXT) | instid1(VALU_DEP_2)
	v_and_b32_e32 v10, 7, v10
	v_cmp_eq_u32_e32 vcc_lo, 0, v15
	v_cndmask_b32_e32 v14, v15, v14, vcc_lo
	s_delay_alu instid0(VALU_DEP_3) | instskip(NEXT) | instid1(VALU_DEP_2)
	v_dual_cndmask_b32 v10, v11, v10 :: v_dual_and_b32 v11, 0x80000000, v12
	v_lshl_add_u32 v12, v14, 23, 0x3b800000
	s_delay_alu instid0(VALU_DEP_2) | instskip(NEXT) | instid1(VALU_DEP_1)
	v_lshlrev_b32_e32 v10, 20, v10
	v_or3_b32 v11, v11, v12, v10
.LBB4_287:                              ;   in Loop: Header=BB4_142 Depth=2
	s_or_b32 exec_lo, exec_lo, s26
	s_delay_alu instid0(VALU_DEP_1) | instskip(SKIP_1) | instid1(VALU_DEP_1)
	v_dual_mul_f32 v10, s25, v11 :: v_dual_mov_b32 v145, 0x80
	s_mov_b32 s26, exec_lo
	v_and_b32_e32 v11, 0x7f800000, v10
	s_delay_alu instid0(VALU_DEP_1)
	v_cmpx_ne_u32_e32 0x7f800000, v11
	s_cbranch_execz .LBB4_295
; %bb.288:                              ;   in Loop: Header=BB4_142 Depth=2
	v_mov_b32_e32 v145, 0
	s_mov_b32 s27, exec_lo
	v_cmpx_ne_u32_e32 0, v10
	s_cbranch_execz .LBB4_294
; %bb.289:                              ;   in Loop: Header=BB4_142 Depth=2
	v_bfe_u32 v11, v10, 23, 8
	v_and_b32_e32 v12, 0x7fffff, v10
	s_delay_alu instid0(VALU_DEP_2) | instskip(SKIP_1) | instid1(VALU_DEP_3)
	v_sub_nc_u32_e32 v14, 0x78, v11
	v_cmp_gt_u32_e32 vcc_lo, 0x79, v11
	v_or_b32_e32 v15, 0x800000, v12
	s_delay_alu instid0(VALU_DEP_3) | instskip(SKIP_2) | instid1(VALU_DEP_3)
	v_cndmask_b32_e32 v14, 0, v14, vcc_lo
	v_cmp_eq_u32_e32 vcc_lo, 0, v11
	v_add_nc_u32_e32 v11, 0xffffff89, v11
	v_cndmask_b32_e64 v14, v14, 0x77, vcc_lo
	v_cndmask_b32_e32 v12, v15, v12, vcc_lo
	s_delay_alu instid0(VALU_DEP_3) | instskip(NEXT) | instid1(VALU_DEP_3)
	v_cndmask_b32_e64 v11, v11, 0xffffff8a, vcc_lo
	v_lshl_add_u32 v15, 0x100000, v14, -1
	s_delay_alu instid0(VALU_DEP_3) | instskip(SKIP_1) | instid1(VALU_DEP_4)
	v_lshrrev_b32_e32 v16, v14, v12
	v_lshlrev_b32_e64 v99, v14, 0x80000
	v_add_nc_u32_e32 v14, v14, v11
	s_delay_alu instid0(VALU_DEP_4) | instskip(NEXT) | instid1(VALU_DEP_4)
	v_and_b32_e32 v12, v15, v12
	v_bfe_u32 v17, v16, 20, 1
	s_delay_alu instid0(VALU_DEP_2) | instskip(NEXT) | instid1(VALU_DEP_2)
	v_cmp_eq_u32_e64 s11, v12, v99
	v_add_nc_u32_e32 v15, -1, v17
	s_delay_alu instid0(VALU_DEP_1) | instskip(SKIP_2) | instid1(VALU_DEP_2)
	v_cndmask_b32_e64 v12, 0, v15, s11
	v_lshrrev_b32_e32 v15, 23, v16
	s_mov_b32 s11, exec_lo
	v_add_nc_u32_e32 v12, v12, v16
	s_delay_alu instid0(VALU_DEP_2) | instskip(NEXT) | instid1(VALU_DEP_2)
	v_xor_b32_e32 v15, 1, v15
	v_and_b32_e32 v11, 0xfffff, v12
	s_delay_alu instid0(VALU_DEP_1) | instskip(NEXT) | instid1(VALU_DEP_3)
	v_add_nc_u32_e32 v12, v11, v16
                                        ; implicit-def: $vgpr11
	v_cmpx_ne_u32_e64 v14, v15
	s_xor_b32 s11, exec_lo, s11
; %bb.290:                              ;   in Loop: Header=BB4_142 Depth=2
	s_delay_alu instid0(VALU_DEP_2) | instskip(SKIP_2) | instid1(VALU_DEP_2)
	v_cmp_lt_u32_e32 vcc_lo, 0xffffff, v12
	v_sub_nc_u32_e32 v11, v14, v15
	v_cndmask_b32_e64 v14, 0, 1, vcc_lo
	v_add_co_ci_u32_e32 v11, vcc_lo, 0, v11, vcc_lo
	s_delay_alu instid0(VALU_DEP_2)
	v_lshrrev_b32_e32 v12, v14, v12
; %bb.291:                              ;   in Loop: Header=BB4_142 Depth=2
	s_and_not1_saveexec_b32 s11, s11
; %bb.292:                              ;   in Loop: Header=BB4_142 Depth=2
	s_delay_alu instid0(VALU_DEP_1)
	v_bfe_u32 v11, v12, 23, 1
; %bb.293:                              ;   in Loop: Header=BB4_142 Depth=2
	s_or_b32 exec_lo, exec_lo, s11
	v_lshrrev_b32_e32 v12, 20, v12
	s_delay_alu instid0(VALU_DEP_2) | instskip(SKIP_2) | instid1(VALU_DEP_4)
	v_cmp_gt_i32_e32 vcc_lo, 16, v11
	v_lshrrev_b32_e32 v10, 24, v10
	v_min_i32_e32 v14, 15, v11
	v_cndmask_b32_e32 v12, 7, v12, vcc_lo
	s_delay_alu instid0(VALU_DEP_3) | instskip(NEXT) | instid1(VALU_DEP_3)
	v_and_b32_e32 v10, 0x80, v10
	v_lshlrev_b32_e32 v14, 3, v14
	s_delay_alu instid0(VALU_DEP_3) | instskip(SKIP_1) | instid1(VALU_DEP_2)
	v_and_b32_e32 v15, 7, v12
	v_or_b32_e32 v11, v11, v12
	v_or3_b32 v10, v14, v10, v15
	s_delay_alu instid0(VALU_DEP_2) | instskip(NEXT) | instid1(VALU_DEP_2)
	v_cmp_ne_u32_e32 vcc_lo, 0, v11
	v_cndmask_b32_e32 v145, 0, v10, vcc_lo
.LBB4_294:                              ;   in Loop: Header=BB4_142 Depth=2
	s_or_b32 exec_lo, exec_lo, s27
.LBB4_295:                              ;   in Loop: Header=BB4_142 Depth=2
	s_delay_alu instid0(SALU_CYCLE_1) | instskip(SKIP_3) | instid1(VALU_DEP_1)
	s_or_b32 exec_lo, exec_lo, s26
	v_and_b32_e32 v11, 0xff, v13
	s_mov_b32 s11, 0
	s_mov_b32 s27, exec_lo
                                        ; implicit-def: $sgpr26
	v_cmpx_lt_i16_e32 0x7f, v11
	s_xor_b32 s27, exec_lo, s27
	s_cbranch_execnz .LBB4_1093
; %bb.296:                              ;   in Loop: Header=BB4_142 Depth=2
	s_or_saveexec_b32 s27, s27
	v_mov_b32_e32 v10, s26
	s_xor_b32 exec_lo, exec_lo, s27
	s_cbranch_execnz .LBB4_1096
.LBB4_297:                              ;   in Loop: Header=BB4_142 Depth=2
	s_or_b32 exec_lo, exec_lo, s27
	s_and_saveexec_b32 s26, s11
	s_cbranch_execz .LBB4_299
.LBB4_298:                              ;   in Loop: Header=BB4_142 Depth=2
	v_bfe_u32 v14, v13, 3, 4
	s_delay_alu instid0(VALU_DEP_1) | instskip(SKIP_1) | instid1(VALU_DEP_1)
	v_cmp_eq_u32_e32 vcc_lo, 0, v14
	v_and_b32_e32 v10, 7, v13
	v_clz_i32_u32_e32 v11, v10
	s_delay_alu instid0(VALU_DEP_1) | instskip(NEXT) | instid1(VALU_DEP_1)
	v_min_u32_e32 v11, 32, v11
	v_subrev_nc_u32_e32 v12, 28, v11
	v_sub_nc_u32_e32 v11, 29, v11
	s_delay_alu instid0(VALU_DEP_1) | instskip(NEXT) | instid1(VALU_DEP_1)
	v_dual_cndmask_b32 v11, v14, v11 :: v_dual_lshlrev_b32 v12, v12, v13
	v_and_b32_e32 v12, 7, v12
	v_lshlrev_b32_e32 v15, 24, v13
	s_delay_alu instid0(VALU_DEP_3) | instskip(NEXT) | instid1(VALU_DEP_3)
	v_lshl_add_u32 v11, v11, 23, 0x3b800000
	v_cndmask_b32_e32 v10, v10, v12, vcc_lo
	s_delay_alu instid0(VALU_DEP_3) | instskip(NEXT) | instid1(VALU_DEP_2)
	v_and_b32_e32 v12, 0x80000000, v15
	v_lshlrev_b32_e32 v10, 20, v10
	s_delay_alu instid0(VALU_DEP_1)
	v_or3_b32 v10, v12, v11, v10
.LBB4_299:                              ;   in Loop: Header=BB4_142 Depth=2
	s_or_b32 exec_lo, exec_lo, s26
	s_delay_alu instid0(VALU_DEP_1) | instskip(SKIP_2) | instid1(VALU_DEP_2)
	v_mul_f32_e32 v10, s25, v10
	v_mov_b32_e32 v144, 0x80
	s_mov_b32 s26, exec_lo
	v_and_b32_e32 v11, 0x7f800000, v10
	s_delay_alu instid0(VALU_DEP_1)
	v_cmpx_ne_u32_e32 0x7f800000, v11
	s_cbranch_execz .LBB4_307
; %bb.300:                              ;   in Loop: Header=BB4_142 Depth=2
	v_mov_b32_e32 v144, 0
	s_mov_b32 s27, exec_lo
	v_cmpx_ne_u32_e32 0, v10
	s_cbranch_execz .LBB4_306
; %bb.301:                              ;   in Loop: Header=BB4_142 Depth=2
	v_bfe_u32 v11, v10, 23, 8
	v_and_b32_e32 v12, 0x7fffff, v10
	s_delay_alu instid0(VALU_DEP_2) | instskip(SKIP_1) | instid1(VALU_DEP_3)
	v_sub_nc_u32_e32 v14, 0x78, v11
	v_cmp_gt_u32_e32 vcc_lo, 0x79, v11
	v_or_b32_e32 v15, 0x800000, v12
	s_delay_alu instid0(VALU_DEP_3) | instskip(SKIP_2) | instid1(VALU_DEP_3)
	v_cndmask_b32_e32 v14, 0, v14, vcc_lo
	v_cmp_eq_u32_e32 vcc_lo, 0, v11
	v_add_nc_u32_e32 v11, 0xffffff89, v11
	v_cndmask_b32_e64 v14, v14, 0x77, vcc_lo
	v_cndmask_b32_e32 v12, v15, v12, vcc_lo
	s_delay_alu instid0(VALU_DEP_3) | instskip(NEXT) | instid1(VALU_DEP_3)
	v_cndmask_b32_e64 v11, v11, 0xffffff8a, vcc_lo
	v_lshl_add_u32 v15, 0x100000, v14, -1
	s_delay_alu instid0(VALU_DEP_3) | instskip(SKIP_1) | instid1(VALU_DEP_4)
	v_lshrrev_b32_e32 v16, v14, v12
	v_lshlrev_b32_e64 v99, v14, 0x80000
	v_add_nc_u32_e32 v14, v14, v11
	s_delay_alu instid0(VALU_DEP_4) | instskip(NEXT) | instid1(VALU_DEP_4)
	v_and_b32_e32 v12, v15, v12
	v_bfe_u32 v17, v16, 20, 1
	s_delay_alu instid0(VALU_DEP_2) | instskip(NEXT) | instid1(VALU_DEP_2)
	v_cmp_eq_u32_e64 s11, v12, v99
	v_add_nc_u32_e32 v15, -1, v17
	s_delay_alu instid0(VALU_DEP_1) | instskip(SKIP_2) | instid1(VALU_DEP_2)
	v_cndmask_b32_e64 v12, 0, v15, s11
	v_lshrrev_b32_e32 v15, 23, v16
	s_mov_b32 s11, exec_lo
	v_add_nc_u32_e32 v12, v12, v16
	s_delay_alu instid0(VALU_DEP_2) | instskip(NEXT) | instid1(VALU_DEP_2)
	v_xor_b32_e32 v15, 1, v15
	v_and_b32_e32 v11, 0xfffff, v12
	s_delay_alu instid0(VALU_DEP_1) | instskip(NEXT) | instid1(VALU_DEP_3)
	v_add_nc_u32_e32 v12, v11, v16
                                        ; implicit-def: $vgpr11
	v_cmpx_ne_u32_e64 v14, v15
	s_xor_b32 s11, exec_lo, s11
; %bb.302:                              ;   in Loop: Header=BB4_142 Depth=2
	s_delay_alu instid0(VALU_DEP_2) | instskip(SKIP_2) | instid1(VALU_DEP_2)
	v_cmp_lt_u32_e32 vcc_lo, 0xffffff, v12
	v_sub_nc_u32_e32 v11, v14, v15
	v_cndmask_b32_e64 v14, 0, 1, vcc_lo
	v_add_co_ci_u32_e32 v11, vcc_lo, 0, v11, vcc_lo
	s_delay_alu instid0(VALU_DEP_2)
	v_lshrrev_b32_e32 v12, v14, v12
; %bb.303:                              ;   in Loop: Header=BB4_142 Depth=2
	s_and_not1_saveexec_b32 s11, s11
; %bb.304:                              ;   in Loop: Header=BB4_142 Depth=2
	s_delay_alu instid0(VALU_DEP_1)
	v_bfe_u32 v11, v12, 23, 1
; %bb.305:                              ;   in Loop: Header=BB4_142 Depth=2
	s_or_b32 exec_lo, exec_lo, s11
	v_lshrrev_b32_e32 v12, 20, v12
	s_delay_alu instid0(VALU_DEP_2) | instskip(SKIP_2) | instid1(VALU_DEP_4)
	v_cmp_gt_i32_e32 vcc_lo, 16, v11
	v_min_i32_e32 v14, 15, v11
	v_lshrrev_b32_e32 v10, 24, v10
	v_cndmask_b32_e32 v12, 7, v12, vcc_lo
	s_delay_alu instid0(VALU_DEP_3) | instskip(NEXT) | instid1(VALU_DEP_3)
	v_lshlrev_b32_e32 v14, 3, v14
	v_and_b32_e32 v10, 0x80, v10
	s_delay_alu instid0(VALU_DEP_3) | instskip(NEXT) | instid1(VALU_DEP_3)
	v_or_b32_e32 v11, v11, v12
	v_and_b32_e32 v14, 0xf8, v14
	s_delay_alu instid0(VALU_DEP_2) | instskip(SKIP_1) | instid1(VALU_DEP_1)
	v_cmp_ne_u32_e32 vcc_lo, 0, v11
	v_and_b32_e32 v15, 7, v12
	v_or3_b32 v10, v14, v10, v15
	s_delay_alu instid0(VALU_DEP_1)
	v_cndmask_b32_e32 v144, 0, v10, vcc_lo
.LBB4_306:                              ;   in Loop: Header=BB4_142 Depth=2
	s_or_b32 exec_lo, exec_lo, s27
.LBB4_307:                              ;   in Loop: Header=BB4_142 Depth=2
	s_delay_alu instid0(SALU_CYCLE_1) | instskip(SKIP_3) | instid1(VALU_DEP_1)
	s_or_b32 exec_lo, exec_lo, s26
	v_lshrrev_b16 v10, 8, v13
	s_mov_b32 s11, 0
	s_mov_b32 s27, exec_lo
                                        ; implicit-def: $sgpr26
	v_cmpx_lt_i16_e32 0x7f, v10
	s_xor_b32 s27, exec_lo, s27
	s_cbranch_execnz .LBB4_1097
; %bb.308:                              ;   in Loop: Header=BB4_142 Depth=2
	s_or_saveexec_b32 s27, s27
	v_mov_b32_e32 v11, s26
	s_xor_b32 exec_lo, exec_lo, s27
	s_cbranch_execnz .LBB4_1100
.LBB4_309:                              ;   in Loop: Header=BB4_142 Depth=2
	s_or_b32 exec_lo, exec_lo, s27
	s_and_saveexec_b32 s26, s11
	s_cbranch_execz .LBB4_311
.LBB4_310:                              ;   in Loop: Header=BB4_142 Depth=2
	v_and_b32_e32 v11, 0xffff, v10
	v_lshlrev_b32_e32 v10, 24, v10
	s_delay_alu instid0(VALU_DEP_2) | instskip(NEXT) | instid1(VALU_DEP_2)
	v_and_b32_e32 v12, 7, v11
	v_and_b32_e32 v10, 0x80000000, v10
	s_delay_alu instid0(VALU_DEP_2) | instskip(NEXT) | instid1(VALU_DEP_1)
	v_clz_i32_u32_e32 v14, v12
	v_min_u32_e32 v14, 32, v14
	s_delay_alu instid0(VALU_DEP_1) | instskip(SKIP_1) | instid1(VALU_DEP_2)
	v_subrev_nc_u32_e32 v15, 28, v14
	v_sub_nc_u32_e32 v14, 29, v14
	v_lshlrev_b32_e32 v15, v15, v11
	v_bfe_u32 v11, v11, 3, 4
	s_delay_alu instid0(VALU_DEP_2) | instskip(NEXT) | instid1(VALU_DEP_2)
	v_and_b32_e32 v15, 7, v15
	v_cmp_eq_u32_e32 vcc_lo, 0, v11
	s_delay_alu instid0(VALU_DEP_2) | instskip(NEXT) | instid1(VALU_DEP_1)
	v_dual_cndmask_b32 v11, v11, v14 :: v_dual_cndmask_b32 v12, v12, v15
	v_lshl_add_u32 v11, v11, 23, 0x3b800000
	s_delay_alu instid0(VALU_DEP_2) | instskip(NEXT) | instid1(VALU_DEP_1)
	v_lshlrev_b32_e32 v12, 20, v12
	v_or3_b32 v11, v10, v11, v12
.LBB4_311:                              ;   in Loop: Header=BB4_142 Depth=2
	s_or_b32 exec_lo, exec_lo, s26
	s_delay_alu instid0(VALU_DEP_1) | instskip(SKIP_2) | instid1(VALU_DEP_2)
	v_mul_f32_e32 v10, s25, v11
	v_mov_b32_e32 v150, 0x8000
	s_mov_b32 s26, exec_lo
	v_and_b32_e32 v11, 0x7f800000, v10
	s_delay_alu instid0(VALU_DEP_1)
	v_cmpx_ne_u32_e32 0x7f800000, v11
	s_cbranch_execz .LBB4_319
; %bb.312:                              ;   in Loop: Header=BB4_142 Depth=2
	v_mov_b32_e32 v150, 0
	s_mov_b32 s27, exec_lo
	v_cmpx_ne_u32_e32 0, v10
	s_cbranch_execz .LBB4_318
; %bb.313:                              ;   in Loop: Header=BB4_142 Depth=2
	v_bfe_u32 v11, v10, 23, 8
	v_and_b32_e32 v12, 0x7fffff, v10
	s_delay_alu instid0(VALU_DEP_2) | instskip(SKIP_1) | instid1(VALU_DEP_3)
	v_sub_nc_u32_e32 v14, 0x78, v11
	v_cmp_gt_u32_e32 vcc_lo, 0x79, v11
	v_or_b32_e32 v15, 0x800000, v12
	s_delay_alu instid0(VALU_DEP_3) | instskip(SKIP_2) | instid1(VALU_DEP_3)
	v_cndmask_b32_e32 v14, 0, v14, vcc_lo
	v_cmp_eq_u32_e32 vcc_lo, 0, v11
	v_add_nc_u32_e32 v11, 0xffffff89, v11
	v_cndmask_b32_e64 v14, v14, 0x77, vcc_lo
	v_cndmask_b32_e32 v12, v15, v12, vcc_lo
	s_delay_alu instid0(VALU_DEP_3) | instskip(NEXT) | instid1(VALU_DEP_3)
	v_cndmask_b32_e64 v11, v11, 0xffffff8a, vcc_lo
	v_lshl_add_u32 v15, 0x100000, v14, -1
	s_delay_alu instid0(VALU_DEP_3) | instskip(SKIP_1) | instid1(VALU_DEP_4)
	v_lshrrev_b32_e32 v16, v14, v12
	v_lshlrev_b32_e64 v99, v14, 0x80000
	v_add_nc_u32_e32 v14, v14, v11
	s_delay_alu instid0(VALU_DEP_4) | instskip(NEXT) | instid1(VALU_DEP_4)
	v_and_b32_e32 v12, v15, v12
	v_bfe_u32 v17, v16, 20, 1
	s_delay_alu instid0(VALU_DEP_2) | instskip(NEXT) | instid1(VALU_DEP_2)
	v_cmp_eq_u32_e64 s11, v12, v99
	v_add_nc_u32_e32 v15, -1, v17
	s_delay_alu instid0(VALU_DEP_1) | instskip(SKIP_2) | instid1(VALU_DEP_2)
	v_cndmask_b32_e64 v12, 0, v15, s11
	v_lshrrev_b32_e32 v15, 23, v16
	s_mov_b32 s11, exec_lo
	v_add_nc_u32_e32 v12, v12, v16
	s_delay_alu instid0(VALU_DEP_2) | instskip(NEXT) | instid1(VALU_DEP_2)
	v_xor_b32_e32 v15, 1, v15
	v_and_b32_e32 v11, 0xfffff, v12
	s_delay_alu instid0(VALU_DEP_1) | instskip(NEXT) | instid1(VALU_DEP_3)
	v_add_nc_u32_e32 v12, v11, v16
                                        ; implicit-def: $vgpr11
	v_cmpx_ne_u32_e64 v14, v15
	s_xor_b32 s11, exec_lo, s11
; %bb.314:                              ;   in Loop: Header=BB4_142 Depth=2
	s_delay_alu instid0(VALU_DEP_2) | instskip(SKIP_2) | instid1(VALU_DEP_2)
	v_cmp_lt_u32_e32 vcc_lo, 0xffffff, v12
	v_sub_nc_u32_e32 v11, v14, v15
	v_cndmask_b32_e64 v14, 0, 1, vcc_lo
	v_add_co_ci_u32_e32 v11, vcc_lo, 0, v11, vcc_lo
	s_delay_alu instid0(VALU_DEP_2)
	v_lshrrev_b32_e32 v12, v14, v12
; %bb.315:                              ;   in Loop: Header=BB4_142 Depth=2
	s_and_not1_saveexec_b32 s11, s11
; %bb.316:                              ;   in Loop: Header=BB4_142 Depth=2
	s_delay_alu instid0(VALU_DEP_1)
	v_bfe_u32 v11, v12, 23, 1
; %bb.317:                              ;   in Loop: Header=BB4_142 Depth=2
	s_or_b32 exec_lo, exec_lo, s11
	v_lshrrev_b32_e32 v12, 20, v12
	s_delay_alu instid0(VALU_DEP_2) | instskip(SKIP_2) | instid1(VALU_DEP_4)
	v_cmp_gt_i32_e32 vcc_lo, 16, v11
	v_min_i32_e32 v14, 15, v11
	v_lshrrev_b32_e32 v10, 24, v10
	v_cndmask_b32_e32 v12, 7, v12, vcc_lo
	s_delay_alu instid0(VALU_DEP_3) | instskip(NEXT) | instid1(VALU_DEP_3)
	v_lshlrev_b32_e32 v14, 3, v14
	v_and_b32_e32 v10, 0x80, v10
	s_delay_alu instid0(VALU_DEP_3) | instskip(NEXT) | instid1(VALU_DEP_3)
	v_or_b32_e32 v11, v11, v12
	v_and_b32_e32 v14, 0xf8, v14
	s_delay_alu instid0(VALU_DEP_2) | instskip(SKIP_1) | instid1(VALU_DEP_1)
	v_cmp_ne_u32_e32 vcc_lo, 0, v11
	v_and_b32_e32 v15, 7, v12
	v_or3_b32 v10, v10, v14, v15
	s_delay_alu instid0(VALU_DEP_1) | instskip(NEXT) | instid1(VALU_DEP_1)
	v_lshlrev_b32_e32 v10, 8, v10
	v_cndmask_b32_e32 v150, 0, v10, vcc_lo
.LBB4_318:                              ;   in Loop: Header=BB4_142 Depth=2
	s_or_b32 exec_lo, exec_lo, s27
.LBB4_319:                              ;   in Loop: Header=BB4_142 Depth=2
	s_delay_alu instid0(SALU_CYCLE_1) | instskip(SKIP_3) | instid1(VALU_DEP_1)
	s_or_b32 exec_lo, exec_lo, s26
	v_lshrrev_b32_e32 v10, 16, v13
	s_mov_b32 s11, 0
	s_mov_b32 s27, exec_lo
                                        ; implicit-def: $sgpr26
	v_and_b32_e32 v12, 0xff, v10
	s_delay_alu instid0(VALU_DEP_1)
	v_cmpx_lt_i16_e32 0x7f, v12
	s_xor_b32 s27, exec_lo, s27
	s_cbranch_execnz .LBB4_1101
; %bb.320:                              ;   in Loop: Header=BB4_142 Depth=2
	s_or_saveexec_b32 s27, s27
	v_mov_b32_e32 v11, s26
	s_xor_b32 exec_lo, exec_lo, s27
	s_cbranch_execnz .LBB4_1104
.LBB4_321:                              ;   in Loop: Header=BB4_142 Depth=2
	s_or_b32 exec_lo, exec_lo, s27
	s_and_saveexec_b32 s26, s11
	s_cbranch_execz .LBB4_323
.LBB4_322:                              ;   in Loop: Header=BB4_142 Depth=2
	v_bfe_u32 v11, v13, 16, 3
	s_delay_alu instid0(VALU_DEP_1) | instskip(NEXT) | instid1(VALU_DEP_1)
	v_clz_i32_u32_e32 v12, v11
	v_min_u32_e32 v12, 32, v12
	s_delay_alu instid0(VALU_DEP_1) | instskip(SKIP_1) | instid1(VALU_DEP_2)
	v_subrev_nc_u32_e32 v14, 28, v12
	v_sub_nc_u32_e32 v12, 29, v12
	v_lshlrev_b32_e32 v10, v14, v10
	v_bfe_u32 v14, v13, 19, 4
	s_delay_alu instid0(VALU_DEP_2) | instskip(NEXT) | instid1(VALU_DEP_2)
	v_and_b32_e32 v10, 7, v10
	v_cmp_eq_u32_e32 vcc_lo, 0, v14
	v_dual_cndmask_b32 v12, v14, v12 :: v_dual_lshlrev_b32 v15, 8, v13
	s_delay_alu instid0(VALU_DEP_1) | instskip(NEXT) | instid1(VALU_DEP_2)
	v_dual_cndmask_b32 v10, v11, v10 :: v_dual_and_b32 v11, 0x80000000, v15
	v_lshl_add_u32 v12, v12, 23, 0x3b800000
	s_delay_alu instid0(VALU_DEP_2) | instskip(NEXT) | instid1(VALU_DEP_1)
	v_lshlrev_b32_e32 v10, 20, v10
	v_or3_b32 v11, v11, v12, v10
.LBB4_323:                              ;   in Loop: Header=BB4_142 Depth=2
	s_or_b32 exec_lo, exec_lo, s26
	s_delay_alu instid0(VALU_DEP_1) | instskip(SKIP_1) | instid1(VALU_DEP_1)
	v_dual_mul_f32 v10, s25, v11 :: v_dual_mov_b32 v135, 0x80
	s_mov_b32 s26, exec_lo
	v_and_b32_e32 v11, 0x7f800000, v10
	s_delay_alu instid0(VALU_DEP_1)
	v_cmpx_ne_u32_e32 0x7f800000, v11
	s_cbranch_execz .LBB4_331
; %bb.324:                              ;   in Loop: Header=BB4_142 Depth=2
	v_mov_b32_e32 v135, 0
	s_mov_b32 s27, exec_lo
	v_cmpx_ne_u32_e32 0, v10
	s_cbranch_execz .LBB4_330
; %bb.325:                              ;   in Loop: Header=BB4_142 Depth=2
	v_bfe_u32 v11, v10, 23, 8
	v_and_b32_e32 v12, 0x7fffff, v10
	s_delay_alu instid0(VALU_DEP_2) | instskip(SKIP_1) | instid1(VALU_DEP_3)
	v_sub_nc_u32_e32 v14, 0x78, v11
	v_cmp_gt_u32_e32 vcc_lo, 0x79, v11
	v_or_b32_e32 v15, 0x800000, v12
	s_delay_alu instid0(VALU_DEP_3) | instskip(SKIP_2) | instid1(VALU_DEP_3)
	v_cndmask_b32_e32 v14, 0, v14, vcc_lo
	v_cmp_eq_u32_e32 vcc_lo, 0, v11
	v_add_nc_u32_e32 v11, 0xffffff89, v11
	v_cndmask_b32_e64 v14, v14, 0x77, vcc_lo
	v_cndmask_b32_e32 v12, v15, v12, vcc_lo
	s_delay_alu instid0(VALU_DEP_3) | instskip(NEXT) | instid1(VALU_DEP_3)
	v_cndmask_b32_e64 v11, v11, 0xffffff8a, vcc_lo
	v_lshl_add_u32 v15, 0x100000, v14, -1
	s_delay_alu instid0(VALU_DEP_3) | instskip(SKIP_1) | instid1(VALU_DEP_4)
	v_lshrrev_b32_e32 v16, v14, v12
	v_lshlrev_b32_e64 v99, v14, 0x80000
	v_add_nc_u32_e32 v14, v14, v11
	s_delay_alu instid0(VALU_DEP_4) | instskip(NEXT) | instid1(VALU_DEP_4)
	v_and_b32_e32 v12, v15, v12
	v_bfe_u32 v17, v16, 20, 1
	s_delay_alu instid0(VALU_DEP_2) | instskip(NEXT) | instid1(VALU_DEP_2)
	v_cmp_eq_u32_e64 s11, v12, v99
	v_add_nc_u32_e32 v15, -1, v17
	s_delay_alu instid0(VALU_DEP_1) | instskip(SKIP_2) | instid1(VALU_DEP_2)
	v_cndmask_b32_e64 v12, 0, v15, s11
	v_lshrrev_b32_e32 v15, 23, v16
	s_mov_b32 s11, exec_lo
	v_add_nc_u32_e32 v12, v12, v16
	s_delay_alu instid0(VALU_DEP_2) | instskip(NEXT) | instid1(VALU_DEP_2)
	v_xor_b32_e32 v15, 1, v15
	v_and_b32_e32 v11, 0xfffff, v12
	s_delay_alu instid0(VALU_DEP_1) | instskip(NEXT) | instid1(VALU_DEP_3)
	v_add_nc_u32_e32 v12, v11, v16
                                        ; implicit-def: $vgpr11
	v_cmpx_ne_u32_e64 v14, v15
	s_xor_b32 s11, exec_lo, s11
; %bb.326:                              ;   in Loop: Header=BB4_142 Depth=2
	s_delay_alu instid0(VALU_DEP_2) | instskip(SKIP_2) | instid1(VALU_DEP_2)
	v_cmp_lt_u32_e32 vcc_lo, 0xffffff, v12
	v_sub_nc_u32_e32 v11, v14, v15
	v_cndmask_b32_e64 v14, 0, 1, vcc_lo
	v_add_co_ci_u32_e32 v11, vcc_lo, 0, v11, vcc_lo
	s_delay_alu instid0(VALU_DEP_2)
	v_lshrrev_b32_e32 v12, v14, v12
; %bb.327:                              ;   in Loop: Header=BB4_142 Depth=2
	s_and_not1_saveexec_b32 s11, s11
; %bb.328:                              ;   in Loop: Header=BB4_142 Depth=2
	s_delay_alu instid0(VALU_DEP_1)
	v_bfe_u32 v11, v12, 23, 1
; %bb.329:                              ;   in Loop: Header=BB4_142 Depth=2
	s_or_b32 exec_lo, exec_lo, s11
	v_lshrrev_b32_e32 v12, 20, v12
	s_delay_alu instid0(VALU_DEP_2) | instskip(SKIP_2) | instid1(VALU_DEP_3)
	v_min_i32_e32 v14, 15, v11
	v_cmp_gt_i32_e32 vcc_lo, 16, v11
	v_lshrrev_b32_e32 v10, 24, v10
	v_lshlrev_b32_e32 v14, 3, v14
	v_cndmask_b32_e32 v12, 7, v12, vcc_lo
	s_delay_alu instid0(VALU_DEP_3) | instskip(NEXT) | instid1(VALU_DEP_3)
	v_and_b32_e32 v10, 0x80, v10
	v_and_b32_e32 v14, 0xf8, v14
	s_delay_alu instid0(VALU_DEP_3) | instskip(SKIP_1) | instid1(VALU_DEP_2)
	v_and_b32_e32 v15, 7, v12
	v_or_b32_e32 v11, v11, v12
	v_or3_b32 v10, v14, v10, v15
	s_delay_alu instid0(VALU_DEP_2) | instskip(NEXT) | instid1(VALU_DEP_2)
	v_cmp_ne_u32_e32 vcc_lo, 0, v11
	v_cndmask_b32_e32 v135, 0, v10, vcc_lo
.LBB4_330:                              ;   in Loop: Header=BB4_142 Depth=2
	s_or_b32 exec_lo, exec_lo, s27
.LBB4_331:                              ;   in Loop: Header=BB4_142 Depth=2
	s_delay_alu instid0(SALU_CYCLE_1) | instskip(SKIP_3) | instid1(VALU_DEP_1)
	s_or_b32 exec_lo, exec_lo, s26
	v_lshrrev_b32_e32 v10, 24, v13
	s_mov_b32 s11, 0
	s_mov_b32 s27, exec_lo
                                        ; implicit-def: $sgpr26
	v_cmpx_lt_i16_e32 0x7f, v10
	s_xor_b32 s27, exec_lo, s27
	s_cbranch_execnz .LBB4_1105
; %bb.332:                              ;   in Loop: Header=BB4_142 Depth=2
	s_or_saveexec_b32 s27, s27
	v_mov_b32_e32 v11, s26
	s_xor_b32 exec_lo, exec_lo, s27
	s_cbranch_execnz .LBB4_1108
.LBB4_333:                              ;   in Loop: Header=BB4_142 Depth=2
	s_or_b32 exec_lo, exec_lo, s27
	s_and_saveexec_b32 s26, s11
	s_cbranch_execz .LBB4_335
.LBB4_334:                              ;   in Loop: Header=BB4_142 Depth=2
	v_bfe_u32 v11, v13, 24, 3
	s_delay_alu instid0(VALU_DEP_1) | instskip(NEXT) | instid1(VALU_DEP_1)
	v_clz_i32_u32_e32 v12, v11
	v_min_u32_e32 v12, 32, v12
	s_delay_alu instid0(VALU_DEP_1) | instskip(SKIP_1) | instid1(VALU_DEP_2)
	v_subrev_nc_u32_e32 v14, 28, v12
	v_sub_nc_u32_e32 v12, 29, v12
	v_lshlrev_b32_e32 v10, v14, v10
	v_bfe_u32 v14, v13, 27, 4
	s_delay_alu instid0(VALU_DEP_2) | instskip(NEXT) | instid1(VALU_DEP_2)
	v_and_b32_e32 v10, 7, v10
	v_cmp_eq_u32_e32 vcc_lo, 0, v14
	v_cndmask_b32_e32 v12, v14, v12, vcc_lo
	s_delay_alu instid0(VALU_DEP_3) | instskip(NEXT) | instid1(VALU_DEP_2)
	v_dual_cndmask_b32 v10, v11, v10 :: v_dual_and_b32 v11, 0x80000000, v13
	v_lshl_add_u32 v12, v12, 23, 0x3b800000
	s_delay_alu instid0(VALU_DEP_2) | instskip(NEXT) | instid1(VALU_DEP_1)
	v_lshlrev_b32_e32 v10, 20, v10
	v_or3_b32 v11, v11, v12, v10
.LBB4_335:                              ;   in Loop: Header=BB4_142 Depth=2
	s_or_b32 exec_lo, exec_lo, s26
	s_delay_alu instid0(VALU_DEP_1) | instskip(SKIP_2) | instid1(VALU_DEP_2)
	v_mul_f32_e32 v10, s25, v11
	v_mov_b32_e32 v146, 0x8000
	s_mov_b32 s26, exec_lo
	v_and_b32_e32 v11, 0x7f800000, v10
	s_delay_alu instid0(VALU_DEP_1)
	v_cmpx_ne_u32_e32 0x7f800000, v11
	s_cbranch_execz .LBB4_343
; %bb.336:                              ;   in Loop: Header=BB4_142 Depth=2
	v_mov_b32_e32 v146, 0
	s_mov_b32 s27, exec_lo
	v_cmpx_ne_u32_e32 0, v10
	s_cbranch_execz .LBB4_342
; %bb.337:                              ;   in Loop: Header=BB4_142 Depth=2
	v_bfe_u32 v11, v10, 23, 8
	s_delay_alu instid0(VALU_DEP_1) | instskip(SKIP_1) | instid1(VALU_DEP_2)
	v_sub_nc_u32_e32 v13, 0x78, v11
	v_cmp_gt_u32_e32 vcc_lo, 0x79, v11
	v_dual_cndmask_b32 v13, 0, v13 :: v_dual_and_b32 v12, 0x7fffff, v10
	s_delay_alu instid0(VALU_DEP_1) | instskip(SKIP_2) | instid1(VALU_DEP_4)
	v_or_b32_e32 v14, 0x800000, v12
	v_cmp_eq_u32_e32 vcc_lo, 0, v11
	v_add_nc_u32_e32 v11, 0xffffff89, v11
	v_cndmask_b32_e64 v13, v13, 0x77, vcc_lo
	s_delay_alu instid0(VALU_DEP_4) | instskip(NEXT) | instid1(VALU_DEP_3)
	v_cndmask_b32_e32 v12, v14, v12, vcc_lo
	v_cndmask_b32_e64 v11, v11, 0xffffff8a, vcc_lo
	s_delay_alu instid0(VALU_DEP_3) | instskip(NEXT) | instid1(VALU_DEP_3)
	v_lshl_add_u32 v14, 0x100000, v13, -1
	v_lshrrev_b32_e32 v15, v13, v12
	v_lshlrev_b32_e64 v17, v13, 0x80000
	s_delay_alu instid0(VALU_DEP_4) | instskip(NEXT) | instid1(VALU_DEP_4)
	v_add_nc_u32_e32 v13, v13, v11
	v_and_b32_e32 v12, v14, v12
	s_delay_alu instid0(VALU_DEP_4) | instskip(NEXT) | instid1(VALU_DEP_2)
	v_bfe_u32 v16, v15, 20, 1
	v_cmp_eq_u32_e64 s11, v12, v17
	s_delay_alu instid0(VALU_DEP_2) | instskip(NEXT) | instid1(VALU_DEP_1)
	v_add_nc_u32_e32 v14, -1, v16
	v_cndmask_b32_e64 v12, 0, v14, s11
	v_lshrrev_b32_e32 v14, 23, v15
	s_mov_b32 s11, exec_lo
	s_delay_alu instid0(VALU_DEP_2) | instskip(NEXT) | instid1(VALU_DEP_2)
	v_add_nc_u32_e32 v12, v12, v15
	v_xor_b32_e32 v14, 1, v14
	s_delay_alu instid0(VALU_DEP_2) | instskip(NEXT) | instid1(VALU_DEP_1)
	v_and_b32_e32 v11, 0xfffff, v12
	v_add_nc_u32_e32 v12, v11, v15
                                        ; implicit-def: $vgpr11
	s_delay_alu instid0(VALU_DEP_3)
	v_cmpx_ne_u32_e64 v13, v14
	s_xor_b32 s11, exec_lo, s11
; %bb.338:                              ;   in Loop: Header=BB4_142 Depth=2
	s_delay_alu instid0(VALU_DEP_2) | instskip(SKIP_2) | instid1(VALU_DEP_2)
	v_cmp_lt_u32_e32 vcc_lo, 0xffffff, v12
	v_sub_nc_u32_e32 v11, v13, v14
	v_cndmask_b32_e64 v13, 0, 1, vcc_lo
	v_add_co_ci_u32_e32 v11, vcc_lo, 0, v11, vcc_lo
	s_delay_alu instid0(VALU_DEP_2)
	v_lshrrev_b32_e32 v12, v13, v12
; %bb.339:                              ;   in Loop: Header=BB4_142 Depth=2
	s_and_not1_saveexec_b32 s11, s11
; %bb.340:                              ;   in Loop: Header=BB4_142 Depth=2
	s_delay_alu instid0(VALU_DEP_1)
	v_bfe_u32 v11, v12, 23, 1
; %bb.341:                              ;   in Loop: Header=BB4_142 Depth=2
	s_or_b32 exec_lo, exec_lo, s11
	v_lshrrev_b32_e32 v12, 20, v12
	s_delay_alu instid0(VALU_DEP_2) | instskip(SKIP_2) | instid1(VALU_DEP_2)
	v_cmp_gt_i32_e32 vcc_lo, 16, v11
	v_min_i32_e32 v13, 15, v11
	v_lshrrev_b32_e32 v10, 24, v10
	v_dual_cndmask_b32 v12, 7, v12 :: v_dual_lshlrev_b32 v13, 3, v13
	s_delay_alu instid0(VALU_DEP_2) | instskip(NEXT) | instid1(VALU_DEP_2)
	v_and_b32_e32 v10, 0x80, v10
	v_or_b32_e32 v11, v11, v12
	v_and_b32_e32 v14, 7, v12
	s_delay_alu instid0(VALU_DEP_2) | instskip(SKIP_1) | instid1(VALU_DEP_1)
	v_cmp_ne_u32_e32 vcc_lo, 0, v11
	v_and_b32_e32 v13, 0xf8, v13
	v_or3_b32 v10, v10, v13, v14
	s_delay_alu instid0(VALU_DEP_1) | instskip(NEXT) | instid1(VALU_DEP_1)
	v_lshlrev_b32_e32 v10, 8, v10
	v_cndmask_b32_e32 v146, 0, v10, vcc_lo
.LBB4_342:                              ;   in Loop: Header=BB4_142 Depth=2
	s_or_b32 exec_lo, exec_lo, s27
.LBB4_343:                              ;   in Loop: Header=BB4_142 Depth=2
	s_delay_alu instid0(SALU_CYCLE_1)
	s_or_b32 exec_lo, exec_lo, s26
	global_load_b128 v[10:13], v[50:51], off offset:512 slc dlc
	s_mov_b32 s11, 0
	s_mov_b32 s27, exec_lo
                                        ; implicit-def: $sgpr26
	s_waitcnt vmcnt(0)
	v_and_b32_e32 v15, 0xff, v10
	s_delay_alu instid0(VALU_DEP_1)
	v_cmpx_lt_i16_e32 0x7f, v15
	s_xor_b32 s27, exec_lo, s27
	s_cbranch_execnz .LBB4_1109
; %bb.344:                              ;   in Loop: Header=BB4_142 Depth=2
	s_or_saveexec_b32 s27, s27
	v_mov_b32_e32 v14, s26
	s_xor_b32 exec_lo, exec_lo, s27
	s_cbranch_execnz .LBB4_1112
.LBB4_345:                              ;   in Loop: Header=BB4_142 Depth=2
	s_or_b32 exec_lo, exec_lo, s27
	s_and_saveexec_b32 s26, s11
	s_cbranch_execz .LBB4_347
.LBB4_346:                              ;   in Loop: Header=BB4_142 Depth=2
	v_bfe_u32 v17, v10, 3, 4
	s_delay_alu instid0(VALU_DEP_1) | instskip(SKIP_1) | instid1(VALU_DEP_1)
	v_cmp_eq_u32_e32 vcc_lo, 0, v17
	v_and_b32_e32 v14, 7, v10
	v_clz_i32_u32_e32 v15, v14
	s_delay_alu instid0(VALU_DEP_1) | instskip(NEXT) | instid1(VALU_DEP_1)
	v_min_u32_e32 v15, 32, v15
	v_subrev_nc_u32_e32 v16, 28, v15
	v_sub_nc_u32_e32 v15, 29, v15
	s_delay_alu instid0(VALU_DEP_1) | instskip(NEXT) | instid1(VALU_DEP_1)
	v_dual_cndmask_b32 v15, v17, v15 :: v_dual_lshlrev_b32 v16, v16, v10
	v_and_b32_e32 v16, 7, v16
	v_lshlrev_b32_e32 v99, 24, v10
	s_delay_alu instid0(VALU_DEP_3) | instskip(NEXT) | instid1(VALU_DEP_3)
	v_lshl_add_u32 v15, v15, 23, 0x3b800000
	v_cndmask_b32_e32 v14, v14, v16, vcc_lo
	s_delay_alu instid0(VALU_DEP_3) | instskip(NEXT) | instid1(VALU_DEP_2)
	v_and_b32_e32 v16, 0x80000000, v99
	v_lshlrev_b32_e32 v14, 20, v14
	s_delay_alu instid0(VALU_DEP_1)
	v_or3_b32 v14, v16, v15, v14
.LBB4_347:                              ;   in Loop: Header=BB4_142 Depth=2
	s_or_b32 exec_lo, exec_lo, s26
	s_delay_alu instid0(VALU_DEP_1) | instskip(SKIP_1) | instid1(VALU_DEP_1)
	v_dual_mul_f32 v14, s25, v14 :: v_dual_mov_b32 v133, 0x80
	s_mov_b32 s26, exec_lo
	v_and_b32_e32 v15, 0x7f800000, v14
	s_delay_alu instid0(VALU_DEP_1)
	v_cmpx_ne_u32_e32 0x7f800000, v15
	s_cbranch_execz .LBB4_355
; %bb.348:                              ;   in Loop: Header=BB4_142 Depth=2
	v_mov_b32_e32 v133, 0
	s_mov_b32 s27, exec_lo
	v_cmpx_ne_u32_e32 0, v14
	s_cbranch_execz .LBB4_354
; %bb.349:                              ;   in Loop: Header=BB4_142 Depth=2
	v_bfe_u32 v15, v14, 23, 8
	s_delay_alu instid0(VALU_DEP_1) | instskip(SKIP_1) | instid1(VALU_DEP_2)
	v_sub_nc_u32_e32 v17, 0x78, v15
	v_cmp_gt_u32_e32 vcc_lo, 0x79, v15
	v_dual_cndmask_b32 v17, 0, v17 :: v_dual_and_b32 v16, 0x7fffff, v14
	s_delay_alu instid0(VALU_DEP_1) | instskip(SKIP_2) | instid1(VALU_DEP_4)
	v_or_b32_e32 v99, 0x800000, v16
	v_cmp_eq_u32_e32 vcc_lo, 0, v15
	v_add_nc_u32_e32 v15, 0xffffff89, v15
	v_cndmask_b32_e64 v17, v17, 0x77, vcc_lo
	s_delay_alu instid0(VALU_DEP_4) | instskip(NEXT) | instid1(VALU_DEP_3)
	v_cndmask_b32_e32 v16, v99, v16, vcc_lo
	v_cndmask_b32_e64 v15, v15, 0xffffff8a, vcc_lo
	s_delay_alu instid0(VALU_DEP_3) | instskip(NEXT) | instid1(VALU_DEP_3)
	v_lshl_add_u32 v99, 0x100000, v17, -1
	v_lshrrev_b32_e32 v100, v17, v16
	v_lshlrev_b32_e64 v103, v17, 0x80000
	s_delay_alu instid0(VALU_DEP_4) | instskip(NEXT) | instid1(VALU_DEP_4)
	v_add_nc_u32_e32 v17, v17, v15
	v_and_b32_e32 v16, v99, v16
	s_delay_alu instid0(VALU_DEP_4) | instskip(NEXT) | instid1(VALU_DEP_2)
	v_bfe_u32 v101, v100, 20, 1
	v_cmp_eq_u32_e64 s11, v16, v103
	s_delay_alu instid0(VALU_DEP_2) | instskip(NEXT) | instid1(VALU_DEP_1)
	v_add_nc_u32_e32 v99, -1, v101
	v_cndmask_b32_e64 v16, 0, v99, s11
	v_lshrrev_b32_e32 v99, 23, v100
	s_mov_b32 s11, exec_lo
	s_delay_alu instid0(VALU_DEP_2) | instskip(NEXT) | instid1(VALU_DEP_2)
	v_add_nc_u32_e32 v16, v16, v100
	v_xor_b32_e32 v99, 1, v99
	s_delay_alu instid0(VALU_DEP_2) | instskip(NEXT) | instid1(VALU_DEP_1)
	v_and_b32_e32 v15, 0xfffff, v16
	v_add_nc_u32_e32 v16, v15, v100
                                        ; implicit-def: $vgpr15
	s_delay_alu instid0(VALU_DEP_3)
	v_cmpx_ne_u32_e64 v17, v99
	s_xor_b32 s11, exec_lo, s11
; %bb.350:                              ;   in Loop: Header=BB4_142 Depth=2
	s_delay_alu instid0(VALU_DEP_2) | instskip(SKIP_2) | instid1(VALU_DEP_2)
	v_cmp_lt_u32_e32 vcc_lo, 0xffffff, v16
	v_sub_nc_u32_e32 v15, v17, v99
	v_cndmask_b32_e64 v17, 0, 1, vcc_lo
	v_add_co_ci_u32_e32 v15, vcc_lo, 0, v15, vcc_lo
	s_delay_alu instid0(VALU_DEP_2)
	v_lshrrev_b32_e32 v16, v17, v16
; %bb.351:                              ;   in Loop: Header=BB4_142 Depth=2
	s_and_not1_saveexec_b32 s11, s11
; %bb.352:                              ;   in Loop: Header=BB4_142 Depth=2
	s_delay_alu instid0(VALU_DEP_1)
	v_bfe_u32 v15, v16, 23, 1
; %bb.353:                              ;   in Loop: Header=BB4_142 Depth=2
	s_or_b32 exec_lo, exec_lo, s11
	v_lshrrev_b32_e32 v16, 20, v16
	s_delay_alu instid0(VALU_DEP_2) | instskip(SKIP_2) | instid1(VALU_DEP_4)
	v_cmp_gt_i32_e32 vcc_lo, 16, v15
	v_lshrrev_b32_e32 v14, 24, v14
	v_min_i32_e32 v17, 15, v15
	v_cndmask_b32_e32 v16, 7, v16, vcc_lo
	s_delay_alu instid0(VALU_DEP_3) | instskip(NEXT) | instid1(VALU_DEP_3)
	v_and_b32_e32 v14, 0x80, v14
	v_lshlrev_b32_e32 v17, 3, v17
	s_delay_alu instid0(VALU_DEP_3) | instskip(SKIP_1) | instid1(VALU_DEP_2)
	v_and_b32_e32 v99, 7, v16
	v_or_b32_e32 v15, v15, v16
	v_or3_b32 v14, v17, v14, v99
	s_delay_alu instid0(VALU_DEP_2) | instskip(NEXT) | instid1(VALU_DEP_2)
	v_cmp_ne_u32_e32 vcc_lo, 0, v15
	v_cndmask_b32_e32 v133, 0, v14, vcc_lo
.LBB4_354:                              ;   in Loop: Header=BB4_142 Depth=2
	s_or_b32 exec_lo, exec_lo, s27
.LBB4_355:                              ;   in Loop: Header=BB4_142 Depth=2
	s_delay_alu instid0(SALU_CYCLE_1) | instskip(SKIP_3) | instid1(VALU_DEP_1)
	s_or_b32 exec_lo, exec_lo, s26
	v_lshrrev_b16 v14, 8, v10
	s_mov_b32 s11, 0
	s_mov_b32 s27, exec_lo
                                        ; implicit-def: $sgpr26
	v_cmpx_lt_i16_e32 0x7f, v14
	s_xor_b32 s27, exec_lo, s27
	s_cbranch_execnz .LBB4_1113
; %bb.356:                              ;   in Loop: Header=BB4_142 Depth=2
	s_or_saveexec_b32 s27, s27
	v_mov_b32_e32 v15, s26
	s_xor_b32 exec_lo, exec_lo, s27
	s_cbranch_execnz .LBB4_1116
.LBB4_357:                              ;   in Loop: Header=BB4_142 Depth=2
	s_or_b32 exec_lo, exec_lo, s27
	s_and_saveexec_b32 s26, s11
	s_cbranch_execz .LBB4_359
.LBB4_358:                              ;   in Loop: Header=BB4_142 Depth=2
	v_and_b32_e32 v15, 0xffff, v14
	v_lshlrev_b32_e32 v14, 24, v14
	s_delay_alu instid0(VALU_DEP_2) | instskip(NEXT) | instid1(VALU_DEP_2)
	v_and_b32_e32 v16, 7, v15
	v_and_b32_e32 v14, 0x80000000, v14
	s_delay_alu instid0(VALU_DEP_2) | instskip(NEXT) | instid1(VALU_DEP_1)
	v_clz_i32_u32_e32 v17, v16
	v_min_u32_e32 v17, 32, v17
	s_delay_alu instid0(VALU_DEP_1) | instskip(SKIP_1) | instid1(VALU_DEP_2)
	v_subrev_nc_u32_e32 v99, 28, v17
	v_sub_nc_u32_e32 v17, 29, v17
	v_lshlrev_b32_e32 v99, v99, v15
	v_bfe_u32 v15, v15, 3, 4
	s_delay_alu instid0(VALU_DEP_2) | instskip(NEXT) | instid1(VALU_DEP_2)
	v_and_b32_e32 v99, 7, v99
	v_cmp_eq_u32_e32 vcc_lo, 0, v15
	s_delay_alu instid0(VALU_DEP_2) | instskip(NEXT) | instid1(VALU_DEP_1)
	v_dual_cndmask_b32 v15, v15, v17 :: v_dual_cndmask_b32 v16, v16, v99
	v_lshl_add_u32 v15, v15, 23, 0x3b800000
	s_delay_alu instid0(VALU_DEP_2) | instskip(NEXT) | instid1(VALU_DEP_1)
	v_lshlrev_b32_e32 v16, 20, v16
	v_or3_b32 v15, v14, v15, v16
.LBB4_359:                              ;   in Loop: Header=BB4_142 Depth=2
	s_or_b32 exec_lo, exec_lo, s26
	s_delay_alu instid0(VALU_DEP_1) | instskip(SKIP_2) | instid1(VALU_DEP_2)
	v_mul_f32_e32 v14, s25, v15
	v_mov_b32_e32 v130, 0x80
	s_mov_b32 s26, exec_lo
	v_and_b32_e32 v15, 0x7f800000, v14
	s_delay_alu instid0(VALU_DEP_1)
	v_cmpx_ne_u32_e32 0x7f800000, v15
	s_cbranch_execz .LBB4_367
; %bb.360:                              ;   in Loop: Header=BB4_142 Depth=2
	v_mov_b32_e32 v130, 0
	s_mov_b32 s27, exec_lo
	v_cmpx_ne_u32_e32 0, v14
	s_cbranch_execz .LBB4_366
; %bb.361:                              ;   in Loop: Header=BB4_142 Depth=2
	v_bfe_u32 v15, v14, 23, 8
	s_delay_alu instid0(VALU_DEP_1) | instskip(SKIP_1) | instid1(VALU_DEP_2)
	v_sub_nc_u32_e32 v17, 0x78, v15
	v_cmp_gt_u32_e32 vcc_lo, 0x79, v15
	v_dual_cndmask_b32 v17, 0, v17 :: v_dual_and_b32 v16, 0x7fffff, v14
	s_delay_alu instid0(VALU_DEP_1) | instskip(SKIP_2) | instid1(VALU_DEP_4)
	v_or_b32_e32 v99, 0x800000, v16
	v_cmp_eq_u32_e32 vcc_lo, 0, v15
	v_add_nc_u32_e32 v15, 0xffffff89, v15
	v_cndmask_b32_e64 v17, v17, 0x77, vcc_lo
	s_delay_alu instid0(VALU_DEP_4) | instskip(NEXT) | instid1(VALU_DEP_3)
	v_cndmask_b32_e32 v16, v99, v16, vcc_lo
	v_cndmask_b32_e64 v15, v15, 0xffffff8a, vcc_lo
	s_delay_alu instid0(VALU_DEP_3) | instskip(NEXT) | instid1(VALU_DEP_3)
	v_lshl_add_u32 v99, 0x100000, v17, -1
	v_lshrrev_b32_e32 v100, v17, v16
	v_lshlrev_b32_e64 v103, v17, 0x80000
	s_delay_alu instid0(VALU_DEP_4) | instskip(NEXT) | instid1(VALU_DEP_4)
	v_add_nc_u32_e32 v17, v17, v15
	v_and_b32_e32 v16, v99, v16
	s_delay_alu instid0(VALU_DEP_4) | instskip(NEXT) | instid1(VALU_DEP_2)
	v_bfe_u32 v101, v100, 20, 1
	v_cmp_eq_u32_e64 s11, v16, v103
	s_delay_alu instid0(VALU_DEP_2) | instskip(NEXT) | instid1(VALU_DEP_1)
	v_add_nc_u32_e32 v99, -1, v101
	v_cndmask_b32_e64 v16, 0, v99, s11
	v_lshrrev_b32_e32 v99, 23, v100
	s_mov_b32 s11, exec_lo
	s_delay_alu instid0(VALU_DEP_2) | instskip(NEXT) | instid1(VALU_DEP_2)
	v_add_nc_u32_e32 v16, v16, v100
	v_xor_b32_e32 v99, 1, v99
	s_delay_alu instid0(VALU_DEP_2) | instskip(NEXT) | instid1(VALU_DEP_1)
	v_and_b32_e32 v15, 0xfffff, v16
	v_add_nc_u32_e32 v16, v15, v100
                                        ; implicit-def: $vgpr15
	s_delay_alu instid0(VALU_DEP_3)
	v_cmpx_ne_u32_e64 v17, v99
	s_xor_b32 s11, exec_lo, s11
; %bb.362:                              ;   in Loop: Header=BB4_142 Depth=2
	s_delay_alu instid0(VALU_DEP_2) | instskip(SKIP_2) | instid1(VALU_DEP_2)
	v_cmp_lt_u32_e32 vcc_lo, 0xffffff, v16
	v_sub_nc_u32_e32 v15, v17, v99
	v_cndmask_b32_e64 v17, 0, 1, vcc_lo
	v_add_co_ci_u32_e32 v15, vcc_lo, 0, v15, vcc_lo
	s_delay_alu instid0(VALU_DEP_2)
	v_lshrrev_b32_e32 v16, v17, v16
; %bb.363:                              ;   in Loop: Header=BB4_142 Depth=2
	s_and_not1_saveexec_b32 s11, s11
; %bb.364:                              ;   in Loop: Header=BB4_142 Depth=2
	s_delay_alu instid0(VALU_DEP_1)
	v_bfe_u32 v15, v16, 23, 1
; %bb.365:                              ;   in Loop: Header=BB4_142 Depth=2
	s_or_b32 exec_lo, exec_lo, s11
	v_lshrrev_b32_e32 v16, 20, v16
	s_delay_alu instid0(VALU_DEP_2) | instskip(SKIP_2) | instid1(VALU_DEP_2)
	v_cmp_gt_i32_e32 vcc_lo, 16, v15
	v_min_i32_e32 v17, 15, v15
	v_lshrrev_b32_e32 v14, 24, v14
	v_dual_cndmask_b32 v16, 7, v16 :: v_dual_lshlrev_b32 v17, 3, v17
	s_delay_alu instid0(VALU_DEP_2) | instskip(NEXT) | instid1(VALU_DEP_2)
	v_and_b32_e32 v14, 0x80, v14
	v_or_b32_e32 v15, v15, v16
	s_delay_alu instid0(VALU_DEP_1) | instskip(SKIP_1) | instid1(VALU_DEP_1)
	v_cmp_ne_u32_e32 vcc_lo, 0, v15
	v_and_b32_e32 v99, 7, v16
	v_or3_b32 v14, v17, v14, v99
	s_delay_alu instid0(VALU_DEP_1)
	v_cndmask_b32_e32 v130, 0, v14, vcc_lo
.LBB4_366:                              ;   in Loop: Header=BB4_142 Depth=2
	s_or_b32 exec_lo, exec_lo, s27
.LBB4_367:                              ;   in Loop: Header=BB4_142 Depth=2
	s_delay_alu instid0(SALU_CYCLE_1) | instskip(SKIP_3) | instid1(VALU_DEP_1)
	s_or_b32 exec_lo, exec_lo, s26
	v_lshrrev_b32_e32 v14, 16, v10
	s_mov_b32 s11, 0
	s_mov_b32 s27, exec_lo
                                        ; implicit-def: $sgpr26
	v_and_b32_e32 v16, 0xff, v14
	s_delay_alu instid0(VALU_DEP_1)
	v_cmpx_lt_i16_e32 0x7f, v16
	s_xor_b32 s27, exec_lo, s27
	s_cbranch_execnz .LBB4_1117
; %bb.368:                              ;   in Loop: Header=BB4_142 Depth=2
	s_or_saveexec_b32 s27, s27
	v_mov_b32_e32 v15, s26
	s_xor_b32 exec_lo, exec_lo, s27
	s_cbranch_execnz .LBB4_1120
.LBB4_369:                              ;   in Loop: Header=BB4_142 Depth=2
	s_or_b32 exec_lo, exec_lo, s27
	s_and_saveexec_b32 s26, s11
	s_cbranch_execz .LBB4_371
.LBB4_370:                              ;   in Loop: Header=BB4_142 Depth=2
	v_bfe_u32 v15, v10, 16, 3
	s_delay_alu instid0(VALU_DEP_1) | instskip(NEXT) | instid1(VALU_DEP_1)
	v_clz_i32_u32_e32 v16, v15
	v_min_u32_e32 v16, 32, v16
	s_delay_alu instid0(VALU_DEP_1) | instskip(SKIP_1) | instid1(VALU_DEP_2)
	v_subrev_nc_u32_e32 v17, 28, v16
	v_sub_nc_u32_e32 v16, 29, v16
	v_lshlrev_b32_e32 v14, v17, v14
	v_bfe_u32 v17, v10, 19, 4
	s_delay_alu instid0(VALU_DEP_2) | instskip(NEXT) | instid1(VALU_DEP_2)
	v_and_b32_e32 v14, 7, v14
	v_cmp_eq_u32_e32 vcc_lo, 0, v17
	v_dual_cndmask_b32 v16, v17, v16 :: v_dual_lshlrev_b32 v99, 8, v10
	s_delay_alu instid0(VALU_DEP_1) | instskip(NEXT) | instid1(VALU_DEP_2)
	v_dual_cndmask_b32 v14, v15, v14 :: v_dual_and_b32 v15, 0x80000000, v99
	v_lshl_add_u32 v16, v16, 23, 0x3b800000
	s_delay_alu instid0(VALU_DEP_2) | instskip(NEXT) | instid1(VALU_DEP_1)
	v_lshlrev_b32_e32 v14, 20, v14
	v_or3_b32 v15, v15, v16, v14
.LBB4_371:                              ;   in Loop: Header=BB4_142 Depth=2
	s_or_b32 exec_lo, exec_lo, s26
	s_delay_alu instid0(VALU_DEP_1) | instskip(SKIP_1) | instid1(VALU_DEP_1)
	v_dual_mul_f32 v14, s25, v15 :: v_dual_mov_b32 v129, 0x80
	s_mov_b32 s26, exec_lo
	v_and_b32_e32 v15, 0x7f800000, v14
	s_delay_alu instid0(VALU_DEP_1)
	v_cmpx_ne_u32_e32 0x7f800000, v15
	s_cbranch_execz .LBB4_379
; %bb.372:                              ;   in Loop: Header=BB4_142 Depth=2
	v_mov_b32_e32 v129, 0
	s_mov_b32 s27, exec_lo
	v_cmpx_ne_u32_e32 0, v14
	s_cbranch_execz .LBB4_378
; %bb.373:                              ;   in Loop: Header=BB4_142 Depth=2
	v_bfe_u32 v15, v14, 23, 8
	s_delay_alu instid0(VALU_DEP_1) | instskip(SKIP_1) | instid1(VALU_DEP_2)
	v_sub_nc_u32_e32 v17, 0x78, v15
	v_cmp_gt_u32_e32 vcc_lo, 0x79, v15
	v_dual_cndmask_b32 v17, 0, v17 :: v_dual_and_b32 v16, 0x7fffff, v14
	s_delay_alu instid0(VALU_DEP_1) | instskip(SKIP_2) | instid1(VALU_DEP_4)
	v_or_b32_e32 v99, 0x800000, v16
	v_cmp_eq_u32_e32 vcc_lo, 0, v15
	v_add_nc_u32_e32 v15, 0xffffff89, v15
	v_cndmask_b32_e64 v17, v17, 0x77, vcc_lo
	s_delay_alu instid0(VALU_DEP_4) | instskip(NEXT) | instid1(VALU_DEP_3)
	v_cndmask_b32_e32 v16, v99, v16, vcc_lo
	v_cndmask_b32_e64 v15, v15, 0xffffff8a, vcc_lo
	s_delay_alu instid0(VALU_DEP_3) | instskip(NEXT) | instid1(VALU_DEP_3)
	v_lshl_add_u32 v99, 0x100000, v17, -1
	v_lshrrev_b32_e32 v100, v17, v16
	v_lshlrev_b32_e64 v103, v17, 0x80000
	s_delay_alu instid0(VALU_DEP_4) | instskip(NEXT) | instid1(VALU_DEP_4)
	v_add_nc_u32_e32 v17, v17, v15
	v_and_b32_e32 v16, v99, v16
	s_delay_alu instid0(VALU_DEP_4) | instskip(NEXT) | instid1(VALU_DEP_2)
	v_bfe_u32 v101, v100, 20, 1
	v_cmp_eq_u32_e64 s11, v16, v103
	s_delay_alu instid0(VALU_DEP_2) | instskip(NEXT) | instid1(VALU_DEP_1)
	v_add_nc_u32_e32 v99, -1, v101
	v_cndmask_b32_e64 v16, 0, v99, s11
	v_lshrrev_b32_e32 v99, 23, v100
	s_mov_b32 s11, exec_lo
	s_delay_alu instid0(VALU_DEP_2) | instskip(NEXT) | instid1(VALU_DEP_2)
	v_add_nc_u32_e32 v16, v16, v100
	v_xor_b32_e32 v99, 1, v99
	s_delay_alu instid0(VALU_DEP_2) | instskip(NEXT) | instid1(VALU_DEP_1)
	v_and_b32_e32 v15, 0xfffff, v16
	v_add_nc_u32_e32 v16, v15, v100
                                        ; implicit-def: $vgpr15
	s_delay_alu instid0(VALU_DEP_3)
	v_cmpx_ne_u32_e64 v17, v99
	s_xor_b32 s11, exec_lo, s11
; %bb.374:                              ;   in Loop: Header=BB4_142 Depth=2
	s_delay_alu instid0(VALU_DEP_2) | instskip(SKIP_2) | instid1(VALU_DEP_2)
	v_cmp_lt_u32_e32 vcc_lo, 0xffffff, v16
	v_sub_nc_u32_e32 v15, v17, v99
	v_cndmask_b32_e64 v17, 0, 1, vcc_lo
	v_add_co_ci_u32_e32 v15, vcc_lo, 0, v15, vcc_lo
	s_delay_alu instid0(VALU_DEP_2)
	v_lshrrev_b32_e32 v16, v17, v16
; %bb.375:                              ;   in Loop: Header=BB4_142 Depth=2
	s_and_not1_saveexec_b32 s11, s11
; %bb.376:                              ;   in Loop: Header=BB4_142 Depth=2
	s_delay_alu instid0(VALU_DEP_1)
	v_bfe_u32 v15, v16, 23, 1
; %bb.377:                              ;   in Loop: Header=BB4_142 Depth=2
	s_or_b32 exec_lo, exec_lo, s11
	v_lshrrev_b32_e32 v16, 20, v16
	s_delay_alu instid0(VALU_DEP_2) | instskip(SKIP_2) | instid1(VALU_DEP_4)
	v_cmp_gt_i32_e32 vcc_lo, 16, v15
	v_lshrrev_b32_e32 v14, 24, v14
	v_min_i32_e32 v17, 15, v15
	v_cndmask_b32_e32 v16, 7, v16, vcc_lo
	s_delay_alu instid0(VALU_DEP_3) | instskip(NEXT) | instid1(VALU_DEP_3)
	v_and_b32_e32 v14, 0x80, v14
	v_lshlrev_b32_e32 v17, 3, v17
	s_delay_alu instid0(VALU_DEP_3) | instskip(SKIP_1) | instid1(VALU_DEP_2)
	v_and_b32_e32 v99, 7, v16
	v_or_b32_e32 v15, v15, v16
	v_or3_b32 v14, v17, v14, v99
	s_delay_alu instid0(VALU_DEP_2) | instskip(NEXT) | instid1(VALU_DEP_2)
	v_cmp_ne_u32_e32 vcc_lo, 0, v15
	v_cndmask_b32_e32 v129, 0, v14, vcc_lo
.LBB4_378:                              ;   in Loop: Header=BB4_142 Depth=2
	s_or_b32 exec_lo, exec_lo, s27
.LBB4_379:                              ;   in Loop: Header=BB4_142 Depth=2
	s_delay_alu instid0(SALU_CYCLE_1) | instskip(SKIP_3) | instid1(VALU_DEP_1)
	s_or_b32 exec_lo, exec_lo, s26
	v_lshrrev_b32_e32 v14, 24, v10
	s_mov_b32 s11, 0
	s_mov_b32 s27, exec_lo
                                        ; implicit-def: $sgpr26
	v_cmpx_lt_i16_e32 0x7f, v14
	s_xor_b32 s27, exec_lo, s27
	s_cbranch_execnz .LBB4_1121
; %bb.380:                              ;   in Loop: Header=BB4_142 Depth=2
	s_or_saveexec_b32 s27, s27
	v_mov_b32_e32 v15, s26
	s_xor_b32 exec_lo, exec_lo, s27
	s_cbranch_execnz .LBB4_1124
.LBB4_381:                              ;   in Loop: Header=BB4_142 Depth=2
	s_or_b32 exec_lo, exec_lo, s27
	s_and_saveexec_b32 s26, s11
	s_cbranch_execz .LBB4_383
.LBB4_382:                              ;   in Loop: Header=BB4_142 Depth=2
	v_bfe_u32 v15, v10, 24, 3
	s_delay_alu instid0(VALU_DEP_1) | instskip(NEXT) | instid1(VALU_DEP_1)
	v_clz_i32_u32_e32 v16, v15
	v_min_u32_e32 v16, 32, v16
	s_delay_alu instid0(VALU_DEP_1) | instskip(SKIP_1) | instid1(VALU_DEP_2)
	v_subrev_nc_u32_e32 v17, 28, v16
	v_sub_nc_u32_e32 v16, 29, v16
	v_lshlrev_b32_e32 v14, v17, v14
	v_bfe_u32 v17, v10, 27, 4
	v_and_b32_e32 v10, 0x80000000, v10
	s_delay_alu instid0(VALU_DEP_3) | instskip(NEXT) | instid1(VALU_DEP_3)
	v_and_b32_e32 v14, 7, v14
	v_cmp_eq_u32_e32 vcc_lo, 0, v17
	v_cndmask_b32_e32 v16, v17, v16, vcc_lo
	s_delay_alu instid0(VALU_DEP_3) | instskip(NEXT) | instid1(VALU_DEP_2)
	v_cndmask_b32_e32 v14, v15, v14, vcc_lo
	v_lshl_add_u32 v15, v16, 23, 0x3b800000
	s_delay_alu instid0(VALU_DEP_2) | instskip(NEXT) | instid1(VALU_DEP_1)
	v_lshlrev_b32_e32 v14, 20, v14
	v_or3_b32 v15, v10, v15, v14
.LBB4_383:                              ;   in Loop: Header=BB4_142 Depth=2
	s_or_b32 exec_lo, exec_lo, s26
	s_delay_alu instid0(VALU_DEP_1) | instskip(SKIP_1) | instid1(VALU_DEP_1)
	v_dual_mul_f32 v10, s25, v15 :: v_dual_mov_b32 v119, 0x80
	s_mov_b32 s26, exec_lo
	v_and_b32_e32 v14, 0x7f800000, v10
	s_delay_alu instid0(VALU_DEP_1)
	v_cmpx_ne_u32_e32 0x7f800000, v14
	s_cbranch_execz .LBB4_391
; %bb.384:                              ;   in Loop: Header=BB4_142 Depth=2
	v_mov_b32_e32 v119, 0
	s_mov_b32 s27, exec_lo
	v_cmpx_ne_u32_e32 0, v10
	s_cbranch_execz .LBB4_390
; %bb.385:                              ;   in Loop: Header=BB4_142 Depth=2
	v_bfe_u32 v14, v10, 23, 8
	s_delay_alu instid0(VALU_DEP_1) | instskip(SKIP_1) | instid1(VALU_DEP_2)
	v_sub_nc_u32_e32 v16, 0x78, v14
	v_cmp_gt_u32_e32 vcc_lo, 0x79, v14
	v_dual_cndmask_b32 v16, 0, v16 :: v_dual_and_b32 v15, 0x7fffff, v10
	s_delay_alu instid0(VALU_DEP_1) | instskip(SKIP_2) | instid1(VALU_DEP_4)
	v_or_b32_e32 v17, 0x800000, v15
	v_cmp_eq_u32_e32 vcc_lo, 0, v14
	v_add_nc_u32_e32 v14, 0xffffff89, v14
	v_cndmask_b32_e64 v16, v16, 0x77, vcc_lo
	s_delay_alu instid0(VALU_DEP_4) | instskip(NEXT) | instid1(VALU_DEP_3)
	v_cndmask_b32_e32 v15, v17, v15, vcc_lo
	v_cndmask_b32_e64 v14, v14, 0xffffff8a, vcc_lo
	s_delay_alu instid0(VALU_DEP_3) | instskip(NEXT) | instid1(VALU_DEP_3)
	v_lshl_add_u32 v17, 0x100000, v16, -1
	v_lshrrev_b32_e32 v99, v16, v15
	v_lshlrev_b32_e64 v101, v16, 0x80000
	s_delay_alu instid0(VALU_DEP_4) | instskip(NEXT) | instid1(VALU_DEP_4)
	v_add_nc_u32_e32 v16, v16, v14
	v_and_b32_e32 v15, v17, v15
	s_delay_alu instid0(VALU_DEP_4) | instskip(NEXT) | instid1(VALU_DEP_2)
	v_bfe_u32 v100, v99, 20, 1
	v_cmp_eq_u32_e64 s11, v15, v101
	s_delay_alu instid0(VALU_DEP_2) | instskip(NEXT) | instid1(VALU_DEP_1)
	v_add_nc_u32_e32 v17, -1, v100
	v_cndmask_b32_e64 v15, 0, v17, s11
	v_lshrrev_b32_e32 v17, 23, v99
	s_mov_b32 s11, exec_lo
	s_delay_alu instid0(VALU_DEP_2) | instskip(NEXT) | instid1(VALU_DEP_2)
	v_add_nc_u32_e32 v15, v15, v99
	v_xor_b32_e32 v17, 1, v17
	s_delay_alu instid0(VALU_DEP_2) | instskip(NEXT) | instid1(VALU_DEP_1)
	v_and_b32_e32 v14, 0xfffff, v15
	v_add_nc_u32_e32 v15, v14, v99
                                        ; implicit-def: $vgpr14
	s_delay_alu instid0(VALU_DEP_3)
	v_cmpx_ne_u32_e64 v16, v17
	s_xor_b32 s11, exec_lo, s11
; %bb.386:                              ;   in Loop: Header=BB4_142 Depth=2
	s_delay_alu instid0(VALU_DEP_2) | instskip(SKIP_2) | instid1(VALU_DEP_2)
	v_cmp_lt_u32_e32 vcc_lo, 0xffffff, v15
	v_sub_nc_u32_e32 v14, v16, v17
	v_cndmask_b32_e64 v16, 0, 1, vcc_lo
	v_add_co_ci_u32_e32 v14, vcc_lo, 0, v14, vcc_lo
	s_delay_alu instid0(VALU_DEP_2)
	v_lshrrev_b32_e32 v15, v16, v15
; %bb.387:                              ;   in Loop: Header=BB4_142 Depth=2
	s_and_not1_saveexec_b32 s11, s11
; %bb.388:                              ;   in Loop: Header=BB4_142 Depth=2
	s_delay_alu instid0(VALU_DEP_1)
	v_bfe_u32 v14, v15, 23, 1
; %bb.389:                              ;   in Loop: Header=BB4_142 Depth=2
	s_or_b32 exec_lo, exec_lo, s11
	v_lshrrev_b32_e32 v15, 20, v15
	s_delay_alu instid0(VALU_DEP_2) | instskip(SKIP_2) | instid1(VALU_DEP_2)
	v_cmp_gt_i32_e32 vcc_lo, 16, v14
	v_lshrrev_b32_e32 v10, 24, v10
	v_min_i32_e32 v16, 15, v14
	v_dual_cndmask_b32 v15, 7, v15 :: v_dual_and_b32 v10, 0x80, v10
	s_delay_alu instid0(VALU_DEP_1) | instskip(SKIP_1) | instid1(VALU_DEP_2)
	v_or_b32_e32 v14, v14, v15
	v_and_b32_e32 v17, 7, v15
	v_cmp_ne_u32_e32 vcc_lo, 0, v14
	v_lshlrev_b32_e32 v16, 3, v16
	s_delay_alu instid0(VALU_DEP_1) | instskip(NEXT) | instid1(VALU_DEP_1)
	v_or3_b32 v10, v16, v10, v17
	v_cndmask_b32_e32 v119, 0, v10, vcc_lo
.LBB4_390:                              ;   in Loop: Header=BB4_142 Depth=2
	s_or_b32 exec_lo, exec_lo, s27
.LBB4_391:                              ;   in Loop: Header=BB4_142 Depth=2
	s_delay_alu instid0(SALU_CYCLE_1) | instskip(SKIP_3) | instid1(VALU_DEP_1)
	s_or_b32 exec_lo, exec_lo, s26
	v_and_b32_e32 v14, 0xff, v11
	s_mov_b32 s11, 0
	s_mov_b32 s27, exec_lo
                                        ; implicit-def: $sgpr26
	v_cmpx_lt_i16_e32 0x7f, v14
	s_xor_b32 s27, exec_lo, s27
	s_cbranch_execnz .LBB4_1125
; %bb.392:                              ;   in Loop: Header=BB4_142 Depth=2
	s_or_saveexec_b32 s27, s27
	v_mov_b32_e32 v10, s26
	s_xor_b32 exec_lo, exec_lo, s27
	s_cbranch_execnz .LBB4_1128
.LBB4_393:                              ;   in Loop: Header=BB4_142 Depth=2
	s_or_b32 exec_lo, exec_lo, s27
	s_and_saveexec_b32 s26, s11
	s_cbranch_execz .LBB4_395
.LBB4_394:                              ;   in Loop: Header=BB4_142 Depth=2
	v_and_b32_e32 v10, 7, v11
	v_bfe_u32 v16, v11, 3, 4
	v_lshlrev_b32_e32 v17, 24, v11
	s_delay_alu instid0(VALU_DEP_3) | instskip(NEXT) | instid1(VALU_DEP_3)
	v_clz_i32_u32_e32 v14, v10
	v_cmp_eq_u32_e32 vcc_lo, 0, v16
	s_delay_alu instid0(VALU_DEP_2) | instskip(NEXT) | instid1(VALU_DEP_1)
	v_min_u32_e32 v14, 32, v14
	v_subrev_nc_u32_e32 v15, 28, v14
	v_sub_nc_u32_e32 v14, 29, v14
	s_delay_alu instid0(VALU_DEP_1) | instskip(NEXT) | instid1(VALU_DEP_1)
	v_dual_cndmask_b32 v14, v16, v14 :: v_dual_lshlrev_b32 v15, v15, v11
	v_and_b32_e32 v15, 7, v15
	s_delay_alu instid0(VALU_DEP_2) | instskip(NEXT) | instid1(VALU_DEP_2)
	v_lshl_add_u32 v14, v14, 23, 0x3b800000
	v_dual_cndmask_b32 v10, v10, v15 :: v_dual_and_b32 v15, 0x80000000, v17
	s_delay_alu instid0(VALU_DEP_1) | instskip(NEXT) | instid1(VALU_DEP_1)
	v_lshlrev_b32_e32 v10, 20, v10
	v_or3_b32 v10, v15, v14, v10
.LBB4_395:                              ;   in Loop: Header=BB4_142 Depth=2
	s_or_b32 exec_lo, exec_lo, s26
	s_delay_alu instid0(VALU_DEP_1) | instskip(SKIP_2) | instid1(VALU_DEP_2)
	v_mul_f32_e32 v10, s25, v10
	v_mov_b32_e32 v118, 0x80
	s_mov_b32 s26, exec_lo
	v_and_b32_e32 v14, 0x7f800000, v10
	s_delay_alu instid0(VALU_DEP_1)
	v_cmpx_ne_u32_e32 0x7f800000, v14
	s_cbranch_execz .LBB4_403
; %bb.396:                              ;   in Loop: Header=BB4_142 Depth=2
	v_mov_b32_e32 v118, 0
	s_mov_b32 s27, exec_lo
	v_cmpx_ne_u32_e32 0, v10
	s_cbranch_execz .LBB4_402
; %bb.397:                              ;   in Loop: Header=BB4_142 Depth=2
	v_bfe_u32 v14, v10, 23, 8
	s_delay_alu instid0(VALU_DEP_1) | instskip(SKIP_1) | instid1(VALU_DEP_2)
	v_sub_nc_u32_e32 v16, 0x78, v14
	v_cmp_gt_u32_e32 vcc_lo, 0x79, v14
	v_dual_cndmask_b32 v16, 0, v16 :: v_dual_and_b32 v15, 0x7fffff, v10
	s_delay_alu instid0(VALU_DEP_1) | instskip(SKIP_2) | instid1(VALU_DEP_4)
	v_or_b32_e32 v17, 0x800000, v15
	v_cmp_eq_u32_e32 vcc_lo, 0, v14
	v_add_nc_u32_e32 v14, 0xffffff89, v14
	v_cndmask_b32_e64 v16, v16, 0x77, vcc_lo
	s_delay_alu instid0(VALU_DEP_4) | instskip(NEXT) | instid1(VALU_DEP_3)
	v_cndmask_b32_e32 v15, v17, v15, vcc_lo
	v_cndmask_b32_e64 v14, v14, 0xffffff8a, vcc_lo
	s_delay_alu instid0(VALU_DEP_3) | instskip(NEXT) | instid1(VALU_DEP_3)
	v_lshl_add_u32 v17, 0x100000, v16, -1
	v_lshrrev_b32_e32 v99, v16, v15
	v_lshlrev_b32_e64 v101, v16, 0x80000
	s_delay_alu instid0(VALU_DEP_4) | instskip(NEXT) | instid1(VALU_DEP_4)
	v_add_nc_u32_e32 v16, v16, v14
	v_and_b32_e32 v15, v17, v15
	s_delay_alu instid0(VALU_DEP_4) | instskip(NEXT) | instid1(VALU_DEP_2)
	v_bfe_u32 v100, v99, 20, 1
	v_cmp_eq_u32_e64 s11, v15, v101
	s_delay_alu instid0(VALU_DEP_2) | instskip(NEXT) | instid1(VALU_DEP_1)
	v_add_nc_u32_e32 v17, -1, v100
	v_cndmask_b32_e64 v15, 0, v17, s11
	v_lshrrev_b32_e32 v17, 23, v99
	s_mov_b32 s11, exec_lo
	s_delay_alu instid0(VALU_DEP_2) | instskip(NEXT) | instid1(VALU_DEP_2)
	v_add_nc_u32_e32 v15, v15, v99
	v_xor_b32_e32 v17, 1, v17
	s_delay_alu instid0(VALU_DEP_2) | instskip(NEXT) | instid1(VALU_DEP_1)
	v_and_b32_e32 v14, 0xfffff, v15
	v_add_nc_u32_e32 v15, v14, v99
                                        ; implicit-def: $vgpr14
	s_delay_alu instid0(VALU_DEP_3)
	v_cmpx_ne_u32_e64 v16, v17
	s_xor_b32 s11, exec_lo, s11
; %bb.398:                              ;   in Loop: Header=BB4_142 Depth=2
	s_delay_alu instid0(VALU_DEP_2) | instskip(SKIP_2) | instid1(VALU_DEP_2)
	v_cmp_lt_u32_e32 vcc_lo, 0xffffff, v15
	v_sub_nc_u32_e32 v14, v16, v17
	v_cndmask_b32_e64 v16, 0, 1, vcc_lo
	v_add_co_ci_u32_e32 v14, vcc_lo, 0, v14, vcc_lo
	s_delay_alu instid0(VALU_DEP_2)
	v_lshrrev_b32_e32 v15, v16, v15
; %bb.399:                              ;   in Loop: Header=BB4_142 Depth=2
	s_and_not1_saveexec_b32 s11, s11
; %bb.400:                              ;   in Loop: Header=BB4_142 Depth=2
	s_delay_alu instid0(VALU_DEP_1)
	v_bfe_u32 v14, v15, 23, 1
; %bb.401:                              ;   in Loop: Header=BB4_142 Depth=2
	s_or_b32 exec_lo, exec_lo, s11
	v_lshrrev_b32_e32 v15, 20, v15
	s_delay_alu instid0(VALU_DEP_2) | instskip(SKIP_2) | instid1(VALU_DEP_2)
	v_cmp_gt_i32_e32 vcc_lo, 16, v14
	v_min_i32_e32 v16, 15, v14
	v_lshrrev_b32_e32 v10, 24, v10
	v_dual_cndmask_b32 v15, 7, v15 :: v_dual_lshlrev_b32 v16, 3, v16
	s_delay_alu instid0(VALU_DEP_2) | instskip(NEXT) | instid1(VALU_DEP_2)
	v_and_b32_e32 v10, 0x80, v10
	v_or_b32_e32 v14, v14, v15
	s_delay_alu instid0(VALU_DEP_3) | instskip(NEXT) | instid1(VALU_DEP_2)
	v_and_b32_e32 v16, 0xf8, v16
	v_cmp_ne_u32_e32 vcc_lo, 0, v14
	v_and_b32_e32 v17, 7, v15
	s_delay_alu instid0(VALU_DEP_1) | instskip(NEXT) | instid1(VALU_DEP_1)
	v_or3_b32 v10, v16, v10, v17
	v_cndmask_b32_e32 v118, 0, v10, vcc_lo
.LBB4_402:                              ;   in Loop: Header=BB4_142 Depth=2
	s_or_b32 exec_lo, exec_lo, s27
.LBB4_403:                              ;   in Loop: Header=BB4_142 Depth=2
	s_delay_alu instid0(SALU_CYCLE_1) | instskip(SKIP_3) | instid1(VALU_DEP_1)
	s_or_b32 exec_lo, exec_lo, s26
	v_lshrrev_b16 v10, 8, v11
	s_mov_b32 s11, 0
	s_mov_b32 s27, exec_lo
                                        ; implicit-def: $sgpr26
	v_cmpx_lt_i16_e32 0x7f, v10
	s_xor_b32 s27, exec_lo, s27
	s_cbranch_execnz .LBB4_1129
; %bb.404:                              ;   in Loop: Header=BB4_142 Depth=2
	s_or_saveexec_b32 s27, s27
	v_mov_b32_e32 v14, s26
	s_xor_b32 exec_lo, exec_lo, s27
	s_cbranch_execnz .LBB4_1132
.LBB4_405:                              ;   in Loop: Header=BB4_142 Depth=2
	s_or_b32 exec_lo, exec_lo, s27
	s_and_saveexec_b32 s26, s11
	s_cbranch_execz .LBB4_407
.LBB4_406:                              ;   in Loop: Header=BB4_142 Depth=2
	v_and_b32_e32 v14, 0xffff, v10
	v_lshlrev_b32_e32 v10, 24, v10
	s_delay_alu instid0(VALU_DEP_2) | instskip(NEXT) | instid1(VALU_DEP_2)
	v_and_b32_e32 v15, 7, v14
	v_and_b32_e32 v10, 0x80000000, v10
	s_delay_alu instid0(VALU_DEP_2) | instskip(NEXT) | instid1(VALU_DEP_1)
	v_clz_i32_u32_e32 v16, v15
	v_min_u32_e32 v16, 32, v16
	s_delay_alu instid0(VALU_DEP_1) | instskip(SKIP_1) | instid1(VALU_DEP_2)
	v_subrev_nc_u32_e32 v17, 28, v16
	v_sub_nc_u32_e32 v16, 29, v16
	v_lshlrev_b32_e32 v17, v17, v14
	v_bfe_u32 v14, v14, 3, 4
	s_delay_alu instid0(VALU_DEP_2) | instskip(NEXT) | instid1(VALU_DEP_2)
	v_and_b32_e32 v17, 7, v17
	v_cmp_eq_u32_e32 vcc_lo, 0, v14
	s_delay_alu instid0(VALU_DEP_2) | instskip(NEXT) | instid1(VALU_DEP_1)
	v_dual_cndmask_b32 v14, v14, v16 :: v_dual_cndmask_b32 v15, v15, v17
	v_lshl_add_u32 v14, v14, 23, 0x3b800000
	s_delay_alu instid0(VALU_DEP_2) | instskip(NEXT) | instid1(VALU_DEP_1)
	v_lshlrev_b32_e32 v15, 20, v15
	v_or3_b32 v14, v10, v14, v15
.LBB4_407:                              ;   in Loop: Header=BB4_142 Depth=2
	s_or_b32 exec_lo, exec_lo, s26
	s_delay_alu instid0(VALU_DEP_1) | instskip(SKIP_2) | instid1(VALU_DEP_2)
	v_mul_f32_e32 v10, s25, v14
	v_mov_b32_e32 v132, 0x8000
	s_mov_b32 s26, exec_lo
	v_and_b32_e32 v14, 0x7f800000, v10
	s_delay_alu instid0(VALU_DEP_1)
	v_cmpx_ne_u32_e32 0x7f800000, v14
	s_cbranch_execz .LBB4_415
; %bb.408:                              ;   in Loop: Header=BB4_142 Depth=2
	v_mov_b32_e32 v132, 0
	s_mov_b32 s27, exec_lo
	v_cmpx_ne_u32_e32 0, v10
	s_cbranch_execz .LBB4_414
; %bb.409:                              ;   in Loop: Header=BB4_142 Depth=2
	v_bfe_u32 v14, v10, 23, 8
	s_delay_alu instid0(VALU_DEP_1) | instskip(SKIP_1) | instid1(VALU_DEP_2)
	v_sub_nc_u32_e32 v16, 0x78, v14
	v_cmp_gt_u32_e32 vcc_lo, 0x79, v14
	v_dual_cndmask_b32 v16, 0, v16 :: v_dual_and_b32 v15, 0x7fffff, v10
	s_delay_alu instid0(VALU_DEP_1) | instskip(SKIP_2) | instid1(VALU_DEP_4)
	v_or_b32_e32 v17, 0x800000, v15
	v_cmp_eq_u32_e32 vcc_lo, 0, v14
	v_add_nc_u32_e32 v14, 0xffffff89, v14
	v_cndmask_b32_e64 v16, v16, 0x77, vcc_lo
	s_delay_alu instid0(VALU_DEP_4) | instskip(NEXT) | instid1(VALU_DEP_3)
	v_cndmask_b32_e32 v15, v17, v15, vcc_lo
	v_cndmask_b32_e64 v14, v14, 0xffffff8a, vcc_lo
	s_delay_alu instid0(VALU_DEP_3) | instskip(NEXT) | instid1(VALU_DEP_3)
	v_lshl_add_u32 v17, 0x100000, v16, -1
	v_lshrrev_b32_e32 v99, v16, v15
	v_lshlrev_b32_e64 v101, v16, 0x80000
	s_delay_alu instid0(VALU_DEP_4) | instskip(NEXT) | instid1(VALU_DEP_4)
	v_add_nc_u32_e32 v16, v16, v14
	v_and_b32_e32 v15, v17, v15
	s_delay_alu instid0(VALU_DEP_4) | instskip(NEXT) | instid1(VALU_DEP_2)
	v_bfe_u32 v100, v99, 20, 1
	v_cmp_eq_u32_e64 s11, v15, v101
	s_delay_alu instid0(VALU_DEP_2) | instskip(NEXT) | instid1(VALU_DEP_1)
	v_add_nc_u32_e32 v17, -1, v100
	v_cndmask_b32_e64 v15, 0, v17, s11
	v_lshrrev_b32_e32 v17, 23, v99
	s_mov_b32 s11, exec_lo
	s_delay_alu instid0(VALU_DEP_2) | instskip(NEXT) | instid1(VALU_DEP_2)
	v_add_nc_u32_e32 v15, v15, v99
	v_xor_b32_e32 v17, 1, v17
	s_delay_alu instid0(VALU_DEP_2) | instskip(NEXT) | instid1(VALU_DEP_1)
	v_and_b32_e32 v14, 0xfffff, v15
	v_add_nc_u32_e32 v15, v14, v99
                                        ; implicit-def: $vgpr14
	s_delay_alu instid0(VALU_DEP_3)
	v_cmpx_ne_u32_e64 v16, v17
	s_xor_b32 s11, exec_lo, s11
; %bb.410:                              ;   in Loop: Header=BB4_142 Depth=2
	s_delay_alu instid0(VALU_DEP_2) | instskip(SKIP_2) | instid1(VALU_DEP_2)
	v_cmp_lt_u32_e32 vcc_lo, 0xffffff, v15
	v_sub_nc_u32_e32 v14, v16, v17
	v_cndmask_b32_e64 v16, 0, 1, vcc_lo
	v_add_co_ci_u32_e32 v14, vcc_lo, 0, v14, vcc_lo
	s_delay_alu instid0(VALU_DEP_2)
	v_lshrrev_b32_e32 v15, v16, v15
; %bb.411:                              ;   in Loop: Header=BB4_142 Depth=2
	s_and_not1_saveexec_b32 s11, s11
; %bb.412:                              ;   in Loop: Header=BB4_142 Depth=2
	s_delay_alu instid0(VALU_DEP_1)
	v_bfe_u32 v14, v15, 23, 1
; %bb.413:                              ;   in Loop: Header=BB4_142 Depth=2
	s_or_b32 exec_lo, exec_lo, s11
	v_lshrrev_b32_e32 v15, 20, v15
	s_delay_alu instid0(VALU_DEP_2) | instskip(SKIP_2) | instid1(VALU_DEP_2)
	v_cmp_gt_i32_e32 vcc_lo, 16, v14
	v_min_i32_e32 v16, 15, v14
	v_lshrrev_b32_e32 v10, 24, v10
	v_dual_cndmask_b32 v15, 7, v15 :: v_dual_lshlrev_b32 v16, 3, v16
	s_delay_alu instid0(VALU_DEP_2) | instskip(NEXT) | instid1(VALU_DEP_2)
	v_and_b32_e32 v10, 0x80, v10
	v_or_b32_e32 v14, v14, v15
	s_delay_alu instid0(VALU_DEP_3) | instskip(NEXT) | instid1(VALU_DEP_2)
	v_and_b32_e32 v16, 0xf8, v16
	v_cmp_ne_u32_e32 vcc_lo, 0, v14
	v_and_b32_e32 v17, 7, v15
	s_delay_alu instid0(VALU_DEP_1) | instskip(NEXT) | instid1(VALU_DEP_1)
	v_or3_b32 v10, v10, v16, v17
	v_lshlrev_b32_e32 v10, 8, v10
	s_delay_alu instid0(VALU_DEP_1)
	v_cndmask_b32_e32 v132, 0, v10, vcc_lo
.LBB4_414:                              ;   in Loop: Header=BB4_142 Depth=2
	s_or_b32 exec_lo, exec_lo, s27
.LBB4_415:                              ;   in Loop: Header=BB4_142 Depth=2
	s_delay_alu instid0(SALU_CYCLE_1) | instskip(SKIP_3) | instid1(VALU_DEP_1)
	s_or_b32 exec_lo, exec_lo, s26
	v_lshrrev_b32_e32 v10, 16, v11
	s_mov_b32 s11, 0
	s_mov_b32 s27, exec_lo
                                        ; implicit-def: $sgpr26
	v_and_b32_e32 v15, 0xff, v10
	s_delay_alu instid0(VALU_DEP_1)
	v_cmpx_lt_i16_e32 0x7f, v15
	s_xor_b32 s27, exec_lo, s27
	s_cbranch_execnz .LBB4_1133
; %bb.416:                              ;   in Loop: Header=BB4_142 Depth=2
	s_or_saveexec_b32 s27, s27
	v_mov_b32_e32 v14, s26
	s_xor_b32 exec_lo, exec_lo, s27
	s_cbranch_execnz .LBB4_1136
.LBB4_417:                              ;   in Loop: Header=BB4_142 Depth=2
	s_or_b32 exec_lo, exec_lo, s27
	s_and_saveexec_b32 s26, s11
	s_cbranch_execz .LBB4_419
.LBB4_418:                              ;   in Loop: Header=BB4_142 Depth=2
	v_bfe_u32 v14, v11, 16, 3
	s_delay_alu instid0(VALU_DEP_1) | instskip(NEXT) | instid1(VALU_DEP_1)
	v_clz_i32_u32_e32 v15, v14
	v_min_u32_e32 v15, 32, v15
	s_delay_alu instid0(VALU_DEP_1) | instskip(SKIP_1) | instid1(VALU_DEP_2)
	v_subrev_nc_u32_e32 v16, 28, v15
	v_sub_nc_u32_e32 v15, 29, v15
	v_lshlrev_b32_e32 v10, v16, v10
	v_bfe_u32 v16, v11, 19, 4
	s_delay_alu instid0(VALU_DEP_1) | instskip(NEXT) | instid1(VALU_DEP_3)
	v_cmp_eq_u32_e32 vcc_lo, 0, v16
	v_dual_cndmask_b32 v15, v16, v15 :: v_dual_and_b32 v10, 7, v10
	s_delay_alu instid0(VALU_DEP_1) | instskip(NEXT) | instid1(VALU_DEP_2)
	v_dual_cndmask_b32 v10, v14, v10 :: v_dual_lshlrev_b32 v17, 8, v11
	v_lshl_add_u32 v15, v15, 23, 0x3b800000
	s_delay_alu instid0(VALU_DEP_2) | instskip(NEXT) | instid1(VALU_DEP_3)
	v_and_b32_e32 v14, 0x80000000, v17
	v_lshlrev_b32_e32 v10, 20, v10
	s_delay_alu instid0(VALU_DEP_1)
	v_or3_b32 v14, v14, v15, v10
.LBB4_419:                              ;   in Loop: Header=BB4_142 Depth=2
	s_or_b32 exec_lo, exec_lo, s26
	s_delay_alu instid0(VALU_DEP_1) | instskip(SKIP_1) | instid1(VALU_DEP_1)
	v_dual_mul_f32 v10, s25, v14 :: v_dual_mov_b32 v117, 0x80
	s_mov_b32 s26, exec_lo
	v_and_b32_e32 v14, 0x7f800000, v10
	s_delay_alu instid0(VALU_DEP_1)
	v_cmpx_ne_u32_e32 0x7f800000, v14
	s_cbranch_execz .LBB4_427
; %bb.420:                              ;   in Loop: Header=BB4_142 Depth=2
	v_mov_b32_e32 v117, 0
	s_mov_b32 s27, exec_lo
	v_cmpx_ne_u32_e32 0, v10
	s_cbranch_execz .LBB4_426
; %bb.421:                              ;   in Loop: Header=BB4_142 Depth=2
	v_bfe_u32 v14, v10, 23, 8
	s_delay_alu instid0(VALU_DEP_1) | instskip(SKIP_1) | instid1(VALU_DEP_2)
	v_sub_nc_u32_e32 v16, 0x78, v14
	v_cmp_gt_u32_e32 vcc_lo, 0x79, v14
	v_dual_cndmask_b32 v16, 0, v16 :: v_dual_and_b32 v15, 0x7fffff, v10
	s_delay_alu instid0(VALU_DEP_1) | instskip(SKIP_2) | instid1(VALU_DEP_4)
	v_or_b32_e32 v17, 0x800000, v15
	v_cmp_eq_u32_e32 vcc_lo, 0, v14
	v_add_nc_u32_e32 v14, 0xffffff89, v14
	v_cndmask_b32_e64 v16, v16, 0x77, vcc_lo
	s_delay_alu instid0(VALU_DEP_4) | instskip(NEXT) | instid1(VALU_DEP_3)
	v_cndmask_b32_e32 v15, v17, v15, vcc_lo
	v_cndmask_b32_e64 v14, v14, 0xffffff8a, vcc_lo
	s_delay_alu instid0(VALU_DEP_3) | instskip(NEXT) | instid1(VALU_DEP_3)
	v_lshl_add_u32 v17, 0x100000, v16, -1
	v_lshrrev_b32_e32 v99, v16, v15
	v_lshlrev_b32_e64 v101, v16, 0x80000
	s_delay_alu instid0(VALU_DEP_4) | instskip(NEXT) | instid1(VALU_DEP_4)
	v_add_nc_u32_e32 v16, v16, v14
	v_and_b32_e32 v15, v17, v15
	s_delay_alu instid0(VALU_DEP_4) | instskip(NEXT) | instid1(VALU_DEP_2)
	v_bfe_u32 v100, v99, 20, 1
	v_cmp_eq_u32_e64 s11, v15, v101
	s_delay_alu instid0(VALU_DEP_2) | instskip(NEXT) | instid1(VALU_DEP_1)
	v_add_nc_u32_e32 v17, -1, v100
	v_cndmask_b32_e64 v15, 0, v17, s11
	v_lshrrev_b32_e32 v17, 23, v99
	s_mov_b32 s11, exec_lo
	s_delay_alu instid0(VALU_DEP_2) | instskip(NEXT) | instid1(VALU_DEP_2)
	v_add_nc_u32_e32 v15, v15, v99
	v_xor_b32_e32 v17, 1, v17
	s_delay_alu instid0(VALU_DEP_2) | instskip(NEXT) | instid1(VALU_DEP_1)
	v_and_b32_e32 v14, 0xfffff, v15
	v_add_nc_u32_e32 v15, v14, v99
                                        ; implicit-def: $vgpr14
	s_delay_alu instid0(VALU_DEP_3)
	v_cmpx_ne_u32_e64 v16, v17
	s_xor_b32 s11, exec_lo, s11
; %bb.422:                              ;   in Loop: Header=BB4_142 Depth=2
	s_delay_alu instid0(VALU_DEP_2) | instskip(SKIP_2) | instid1(VALU_DEP_2)
	v_cmp_lt_u32_e32 vcc_lo, 0xffffff, v15
	v_sub_nc_u32_e32 v14, v16, v17
	v_cndmask_b32_e64 v16, 0, 1, vcc_lo
	v_add_co_ci_u32_e32 v14, vcc_lo, 0, v14, vcc_lo
	s_delay_alu instid0(VALU_DEP_2)
	v_lshrrev_b32_e32 v15, v16, v15
; %bb.423:                              ;   in Loop: Header=BB4_142 Depth=2
	s_and_not1_saveexec_b32 s11, s11
; %bb.424:                              ;   in Loop: Header=BB4_142 Depth=2
	s_delay_alu instid0(VALU_DEP_1)
	v_bfe_u32 v14, v15, 23, 1
; %bb.425:                              ;   in Loop: Header=BB4_142 Depth=2
	s_or_b32 exec_lo, exec_lo, s11
	v_lshrrev_b32_e32 v15, 20, v15
	s_delay_alu instid0(VALU_DEP_2) | instskip(SKIP_2) | instid1(VALU_DEP_2)
	v_cmp_gt_i32_e32 vcc_lo, 16, v14
	v_min_i32_e32 v16, 15, v14
	v_lshrrev_b32_e32 v10, 24, v10
	v_dual_cndmask_b32 v15, 7, v15 :: v_dual_lshlrev_b32 v16, 3, v16
	s_delay_alu instid0(VALU_DEP_2) | instskip(NEXT) | instid1(VALU_DEP_2)
	v_and_b32_e32 v10, 0x80, v10
	v_or_b32_e32 v14, v14, v15
	v_and_b32_e32 v17, 7, v15
	s_delay_alu instid0(VALU_DEP_2) | instskip(SKIP_1) | instid1(VALU_DEP_1)
	v_cmp_ne_u32_e32 vcc_lo, 0, v14
	v_and_b32_e32 v16, 0xf8, v16
	v_or3_b32 v10, v16, v10, v17
	s_delay_alu instid0(VALU_DEP_1)
	v_cndmask_b32_e32 v117, 0, v10, vcc_lo
.LBB4_426:                              ;   in Loop: Header=BB4_142 Depth=2
	s_or_b32 exec_lo, exec_lo, s27
.LBB4_427:                              ;   in Loop: Header=BB4_142 Depth=2
	s_delay_alu instid0(SALU_CYCLE_1) | instskip(SKIP_3) | instid1(VALU_DEP_1)
	s_or_b32 exec_lo, exec_lo, s26
	v_lshrrev_b32_e32 v10, 24, v11
	s_mov_b32 s11, 0
	s_mov_b32 s27, exec_lo
                                        ; implicit-def: $sgpr26
	v_cmpx_lt_i16_e32 0x7f, v10
	s_xor_b32 s27, exec_lo, s27
	s_cbranch_execnz .LBB4_1137
; %bb.428:                              ;   in Loop: Header=BB4_142 Depth=2
	s_or_saveexec_b32 s27, s27
	v_mov_b32_e32 v14, s26
	s_xor_b32 exec_lo, exec_lo, s27
	s_cbranch_execnz .LBB4_1140
.LBB4_429:                              ;   in Loop: Header=BB4_142 Depth=2
	s_or_b32 exec_lo, exec_lo, s27
	s_and_saveexec_b32 s26, s11
	s_cbranch_execz .LBB4_431
.LBB4_430:                              ;   in Loop: Header=BB4_142 Depth=2
	v_bfe_u32 v14, v11, 24, 3
	s_delay_alu instid0(VALU_DEP_1) | instskip(NEXT) | instid1(VALU_DEP_1)
	v_clz_i32_u32_e32 v15, v14
	v_min_u32_e32 v15, 32, v15
	s_delay_alu instid0(VALU_DEP_1) | instskip(SKIP_1) | instid1(VALU_DEP_2)
	v_subrev_nc_u32_e32 v16, 28, v15
	v_sub_nc_u32_e32 v15, 29, v15
	v_lshlrev_b32_e32 v10, v16, v10
	v_bfe_u32 v16, v11, 27, 4
	v_and_b32_e32 v11, 0x80000000, v11
	s_delay_alu instid0(VALU_DEP_2) | instskip(NEXT) | instid1(VALU_DEP_4)
	v_cmp_eq_u32_e32 vcc_lo, 0, v16
	v_dual_cndmask_b32 v15, v16, v15 :: v_dual_and_b32 v10, 7, v10
	s_delay_alu instid0(VALU_DEP_1) | instskip(NEXT) | instid1(VALU_DEP_2)
	v_cndmask_b32_e32 v10, v14, v10, vcc_lo
	v_lshl_add_u32 v14, v15, 23, 0x3b800000
	s_delay_alu instid0(VALU_DEP_2) | instskip(NEXT) | instid1(VALU_DEP_1)
	v_lshlrev_b32_e32 v10, 20, v10
	v_or3_b32 v14, v11, v14, v10
.LBB4_431:                              ;   in Loop: Header=BB4_142 Depth=2
	s_or_b32 exec_lo, exec_lo, s26
	s_delay_alu instid0(VALU_DEP_1) | instskip(SKIP_2) | instid1(VALU_DEP_2)
	v_mul_f32_e32 v10, s25, v14
	v_mov_b32_e32 v128, 0x8000
	s_mov_b32 s26, exec_lo
	v_and_b32_e32 v11, 0x7f800000, v10
	s_delay_alu instid0(VALU_DEP_1)
	v_cmpx_ne_u32_e32 0x7f800000, v11
	s_cbranch_execz .LBB4_439
; %bb.432:                              ;   in Loop: Header=BB4_142 Depth=2
	v_mov_b32_e32 v128, 0
	s_mov_b32 s27, exec_lo
	v_cmpx_ne_u32_e32 0, v10
	s_cbranch_execz .LBB4_438
; %bb.433:                              ;   in Loop: Header=BB4_142 Depth=2
	v_bfe_u32 v11, v10, 23, 8
	s_delay_alu instid0(VALU_DEP_1) | instskip(SKIP_1) | instid1(VALU_DEP_2)
	v_sub_nc_u32_e32 v15, 0x78, v11
	v_cmp_gt_u32_e32 vcc_lo, 0x79, v11
	v_dual_cndmask_b32 v15, 0, v15 :: v_dual_and_b32 v14, 0x7fffff, v10
	s_delay_alu instid0(VALU_DEP_1) | instskip(SKIP_2) | instid1(VALU_DEP_4)
	v_or_b32_e32 v16, 0x800000, v14
	v_cmp_eq_u32_e32 vcc_lo, 0, v11
	v_add_nc_u32_e32 v11, 0xffffff89, v11
	v_cndmask_b32_e64 v15, v15, 0x77, vcc_lo
	s_delay_alu instid0(VALU_DEP_4) | instskip(NEXT) | instid1(VALU_DEP_3)
	v_cndmask_b32_e32 v14, v16, v14, vcc_lo
	v_cndmask_b32_e64 v11, v11, 0xffffff8a, vcc_lo
	s_delay_alu instid0(VALU_DEP_3) | instskip(NEXT) | instid1(VALU_DEP_3)
	v_lshl_add_u32 v16, 0x100000, v15, -1
	v_lshrrev_b32_e32 v17, v15, v14
	v_lshlrev_b32_e64 v100, v15, 0x80000
	s_delay_alu instid0(VALU_DEP_4) | instskip(NEXT) | instid1(VALU_DEP_4)
	v_add_nc_u32_e32 v15, v15, v11
	v_and_b32_e32 v14, v16, v14
	s_delay_alu instid0(VALU_DEP_4) | instskip(NEXT) | instid1(VALU_DEP_2)
	v_bfe_u32 v99, v17, 20, 1
	v_cmp_eq_u32_e64 s11, v14, v100
	s_delay_alu instid0(VALU_DEP_2) | instskip(NEXT) | instid1(VALU_DEP_1)
	v_add_nc_u32_e32 v16, -1, v99
	v_cndmask_b32_e64 v14, 0, v16, s11
	v_lshrrev_b32_e32 v16, 23, v17
	s_mov_b32 s11, exec_lo
	s_delay_alu instid0(VALU_DEP_2) | instskip(NEXT) | instid1(VALU_DEP_2)
	v_add_nc_u32_e32 v14, v14, v17
	v_xor_b32_e32 v16, 1, v16
	s_delay_alu instid0(VALU_DEP_2) | instskip(NEXT) | instid1(VALU_DEP_1)
	v_and_b32_e32 v11, 0xfffff, v14
	v_add_nc_u32_e32 v14, v11, v17
                                        ; implicit-def: $vgpr11
	s_delay_alu instid0(VALU_DEP_3)
	v_cmpx_ne_u32_e64 v15, v16
	s_xor_b32 s11, exec_lo, s11
; %bb.434:                              ;   in Loop: Header=BB4_142 Depth=2
	s_delay_alu instid0(VALU_DEP_2) | instskip(SKIP_2) | instid1(VALU_DEP_2)
	v_cmp_lt_u32_e32 vcc_lo, 0xffffff, v14
	v_sub_nc_u32_e32 v11, v15, v16
	v_cndmask_b32_e64 v15, 0, 1, vcc_lo
	v_add_co_ci_u32_e32 v11, vcc_lo, 0, v11, vcc_lo
	s_delay_alu instid0(VALU_DEP_2)
	v_lshrrev_b32_e32 v14, v15, v14
; %bb.435:                              ;   in Loop: Header=BB4_142 Depth=2
	s_and_not1_saveexec_b32 s11, s11
; %bb.436:                              ;   in Loop: Header=BB4_142 Depth=2
	s_delay_alu instid0(VALU_DEP_1)
	v_bfe_u32 v11, v14, 23, 1
; %bb.437:                              ;   in Loop: Header=BB4_142 Depth=2
	s_or_b32 exec_lo, exec_lo, s11
	v_lshrrev_b32_e32 v14, 20, v14
	s_delay_alu instid0(VALU_DEP_2) | instskip(SKIP_2) | instid1(VALU_DEP_2)
	v_cmp_gt_i32_e32 vcc_lo, 16, v11
	v_min_i32_e32 v15, 15, v11
	v_lshrrev_b32_e32 v10, 24, v10
	v_dual_cndmask_b32 v14, 7, v14 :: v_dual_lshlrev_b32 v15, 3, v15
	s_delay_alu instid0(VALU_DEP_2) | instskip(NEXT) | instid1(VALU_DEP_2)
	v_and_b32_e32 v10, 0x80, v10
	v_or_b32_e32 v11, v11, v14
	v_and_b32_e32 v16, 7, v14
	s_delay_alu instid0(VALU_DEP_2) | instskip(SKIP_1) | instid1(VALU_DEP_1)
	v_cmp_ne_u32_e32 vcc_lo, 0, v11
	v_and_b32_e32 v15, 0xf8, v15
	v_or3_b32 v10, v10, v15, v16
	s_delay_alu instid0(VALU_DEP_1) | instskip(NEXT) | instid1(VALU_DEP_1)
	v_lshlrev_b32_e32 v10, 8, v10
	v_cndmask_b32_e32 v128, 0, v10, vcc_lo
.LBB4_438:                              ;   in Loop: Header=BB4_142 Depth=2
	s_or_b32 exec_lo, exec_lo, s27
.LBB4_439:                              ;   in Loop: Header=BB4_142 Depth=2
	s_delay_alu instid0(SALU_CYCLE_1) | instskip(SKIP_3) | instid1(VALU_DEP_1)
	s_or_b32 exec_lo, exec_lo, s26
	v_and_b32_e32 v11, 0xff, v12
	s_mov_b32 s11, 0
	s_mov_b32 s27, exec_lo
                                        ; implicit-def: $sgpr26
	v_cmpx_lt_i16_e32 0x7f, v11
	s_xor_b32 s27, exec_lo, s27
	s_cbranch_execnz .LBB4_1141
; %bb.440:                              ;   in Loop: Header=BB4_142 Depth=2
	s_or_saveexec_b32 s27, s27
	v_mov_b32_e32 v10, s26
	s_xor_b32 exec_lo, exec_lo, s27
	s_cbranch_execnz .LBB4_1144
.LBB4_441:                              ;   in Loop: Header=BB4_142 Depth=2
	s_or_b32 exec_lo, exec_lo, s27
	s_and_saveexec_b32 s26, s11
	s_cbranch_execz .LBB4_443
.LBB4_442:                              ;   in Loop: Header=BB4_142 Depth=2
	v_bfe_u32 v15, v12, 3, 4
	v_lshlrev_b32_e32 v16, 24, v12
	s_delay_alu instid0(VALU_DEP_2) | instskip(SKIP_1) | instid1(VALU_DEP_1)
	v_cmp_eq_u32_e32 vcc_lo, 0, v15
	v_and_b32_e32 v10, 7, v12
	v_clz_i32_u32_e32 v11, v10
	s_delay_alu instid0(VALU_DEP_1) | instskip(NEXT) | instid1(VALU_DEP_1)
	v_min_u32_e32 v11, 32, v11
	v_subrev_nc_u32_e32 v14, 28, v11
	v_sub_nc_u32_e32 v11, 29, v11
	s_delay_alu instid0(VALU_DEP_1) | instskip(NEXT) | instid1(VALU_DEP_1)
	v_dual_cndmask_b32 v11, v15, v11 :: v_dual_lshlrev_b32 v14, v14, v12
	v_and_b32_e32 v14, 7, v14
	s_delay_alu instid0(VALU_DEP_2) | instskip(NEXT) | instid1(VALU_DEP_2)
	v_lshl_add_u32 v11, v11, 23, 0x3b800000
	v_cndmask_b32_e32 v10, v10, v14, vcc_lo
	v_and_b32_e32 v14, 0x80000000, v16
	s_delay_alu instid0(VALU_DEP_2) | instskip(NEXT) | instid1(VALU_DEP_1)
	v_lshlrev_b32_e32 v10, 20, v10
	v_or3_b32 v10, v14, v11, v10
.LBB4_443:                              ;   in Loop: Header=BB4_142 Depth=2
	s_or_b32 exec_lo, exec_lo, s26
	s_delay_alu instid0(VALU_DEP_1) | instskip(SKIP_1) | instid1(VALU_DEP_1)
	v_dual_mul_f32 v10, s25, v10 :: v_dual_mov_b32 v115, 0x80
	s_mov_b32 s26, exec_lo
	v_and_b32_e32 v11, 0x7f800000, v10
	s_delay_alu instid0(VALU_DEP_1)
	v_cmpx_ne_u32_e32 0x7f800000, v11
	s_cbranch_execz .LBB4_451
; %bb.444:                              ;   in Loop: Header=BB4_142 Depth=2
	v_mov_b32_e32 v115, 0
	s_mov_b32 s27, exec_lo
	v_cmpx_ne_u32_e32 0, v10
	s_cbranch_execz .LBB4_450
; %bb.445:                              ;   in Loop: Header=BB4_142 Depth=2
	v_bfe_u32 v11, v10, 23, 8
	s_delay_alu instid0(VALU_DEP_1) | instskip(SKIP_1) | instid1(VALU_DEP_2)
	v_sub_nc_u32_e32 v15, 0x78, v11
	v_cmp_gt_u32_e32 vcc_lo, 0x79, v11
	v_dual_cndmask_b32 v15, 0, v15 :: v_dual_and_b32 v14, 0x7fffff, v10
	s_delay_alu instid0(VALU_DEP_1) | instskip(SKIP_2) | instid1(VALU_DEP_4)
	v_or_b32_e32 v16, 0x800000, v14
	v_cmp_eq_u32_e32 vcc_lo, 0, v11
	v_add_nc_u32_e32 v11, 0xffffff89, v11
	v_cndmask_b32_e64 v15, v15, 0x77, vcc_lo
	s_delay_alu instid0(VALU_DEP_4) | instskip(NEXT) | instid1(VALU_DEP_3)
	v_cndmask_b32_e32 v14, v16, v14, vcc_lo
	v_cndmask_b32_e64 v11, v11, 0xffffff8a, vcc_lo
	s_delay_alu instid0(VALU_DEP_3) | instskip(NEXT) | instid1(VALU_DEP_3)
	v_lshl_add_u32 v16, 0x100000, v15, -1
	v_lshrrev_b32_e32 v17, v15, v14
	v_lshlrev_b32_e64 v100, v15, 0x80000
	s_delay_alu instid0(VALU_DEP_4) | instskip(NEXT) | instid1(VALU_DEP_4)
	v_add_nc_u32_e32 v15, v15, v11
	v_and_b32_e32 v14, v16, v14
	s_delay_alu instid0(VALU_DEP_4) | instskip(NEXT) | instid1(VALU_DEP_2)
	v_bfe_u32 v99, v17, 20, 1
	v_cmp_eq_u32_e64 s11, v14, v100
	s_delay_alu instid0(VALU_DEP_2) | instskip(NEXT) | instid1(VALU_DEP_1)
	v_add_nc_u32_e32 v16, -1, v99
	v_cndmask_b32_e64 v14, 0, v16, s11
	v_lshrrev_b32_e32 v16, 23, v17
	s_mov_b32 s11, exec_lo
	s_delay_alu instid0(VALU_DEP_2) | instskip(NEXT) | instid1(VALU_DEP_2)
	v_add_nc_u32_e32 v14, v14, v17
	v_xor_b32_e32 v16, 1, v16
	s_delay_alu instid0(VALU_DEP_2) | instskip(NEXT) | instid1(VALU_DEP_1)
	v_and_b32_e32 v11, 0xfffff, v14
	v_add_nc_u32_e32 v14, v11, v17
                                        ; implicit-def: $vgpr11
	s_delay_alu instid0(VALU_DEP_3)
	v_cmpx_ne_u32_e64 v15, v16
	s_xor_b32 s11, exec_lo, s11
; %bb.446:                              ;   in Loop: Header=BB4_142 Depth=2
	s_delay_alu instid0(VALU_DEP_2) | instskip(SKIP_2) | instid1(VALU_DEP_2)
	v_cmp_lt_u32_e32 vcc_lo, 0xffffff, v14
	v_sub_nc_u32_e32 v11, v15, v16
	v_cndmask_b32_e64 v15, 0, 1, vcc_lo
	v_add_co_ci_u32_e32 v11, vcc_lo, 0, v11, vcc_lo
	s_delay_alu instid0(VALU_DEP_2)
	v_lshrrev_b32_e32 v14, v15, v14
; %bb.447:                              ;   in Loop: Header=BB4_142 Depth=2
	s_and_not1_saveexec_b32 s11, s11
; %bb.448:                              ;   in Loop: Header=BB4_142 Depth=2
	s_delay_alu instid0(VALU_DEP_1)
	v_bfe_u32 v11, v14, 23, 1
; %bb.449:                              ;   in Loop: Header=BB4_142 Depth=2
	s_or_b32 exec_lo, exec_lo, s11
	v_lshrrev_b32_e32 v14, 20, v14
	s_delay_alu instid0(VALU_DEP_2) | instskip(SKIP_2) | instid1(VALU_DEP_4)
	v_cmp_gt_i32_e32 vcc_lo, 16, v11
	v_lshrrev_b32_e32 v10, 24, v10
	v_min_i32_e32 v15, 15, v11
	v_cndmask_b32_e32 v14, 7, v14, vcc_lo
	s_delay_alu instid0(VALU_DEP_3) | instskip(NEXT) | instid1(VALU_DEP_3)
	v_and_b32_e32 v10, 0x80, v10
	v_lshlrev_b32_e32 v15, 3, v15
	s_delay_alu instid0(VALU_DEP_3) | instskip(SKIP_1) | instid1(VALU_DEP_2)
	v_and_b32_e32 v16, 7, v14
	v_or_b32_e32 v11, v11, v14
	v_or3_b32 v10, v15, v10, v16
	s_delay_alu instid0(VALU_DEP_2) | instskip(NEXT) | instid1(VALU_DEP_2)
	v_cmp_ne_u32_e32 vcc_lo, 0, v11
	v_cndmask_b32_e32 v115, 0, v10, vcc_lo
.LBB4_450:                              ;   in Loop: Header=BB4_142 Depth=2
	s_or_b32 exec_lo, exec_lo, s27
.LBB4_451:                              ;   in Loop: Header=BB4_142 Depth=2
	s_delay_alu instid0(SALU_CYCLE_1) | instskip(SKIP_3) | instid1(VALU_DEP_1)
	s_or_b32 exec_lo, exec_lo, s26
	v_lshrrev_b16 v10, 8, v12
	s_mov_b32 s11, 0
	s_mov_b32 s27, exec_lo
                                        ; implicit-def: $sgpr26
	v_cmpx_lt_i16_e32 0x7f, v10
	s_xor_b32 s27, exec_lo, s27
	s_cbranch_execnz .LBB4_1145
; %bb.452:                              ;   in Loop: Header=BB4_142 Depth=2
	s_or_saveexec_b32 s27, s27
	v_mov_b32_e32 v11, s26
	s_xor_b32 exec_lo, exec_lo, s27
	s_cbranch_execnz .LBB4_1148
.LBB4_453:                              ;   in Loop: Header=BB4_142 Depth=2
	s_or_b32 exec_lo, exec_lo, s27
	s_and_saveexec_b32 s26, s11
	s_cbranch_execz .LBB4_455
.LBB4_454:                              ;   in Loop: Header=BB4_142 Depth=2
	v_and_b32_e32 v11, 0xffff, v10
	v_lshlrev_b32_e32 v10, 24, v10
	s_delay_alu instid0(VALU_DEP_2) | instskip(NEXT) | instid1(VALU_DEP_2)
	v_and_b32_e32 v14, 7, v11
	v_and_b32_e32 v10, 0x80000000, v10
	s_delay_alu instid0(VALU_DEP_2) | instskip(NEXT) | instid1(VALU_DEP_1)
	v_clz_i32_u32_e32 v15, v14
	v_min_u32_e32 v15, 32, v15
	s_delay_alu instid0(VALU_DEP_1) | instskip(SKIP_1) | instid1(VALU_DEP_2)
	v_subrev_nc_u32_e32 v16, 28, v15
	v_sub_nc_u32_e32 v15, 29, v15
	v_lshlrev_b32_e32 v16, v16, v11
	v_bfe_u32 v11, v11, 3, 4
	s_delay_alu instid0(VALU_DEP_1) | instskip(NEXT) | instid1(VALU_DEP_3)
	v_cmp_eq_u32_e32 vcc_lo, 0, v11
	v_dual_cndmask_b32 v11, v11, v15 :: v_dual_and_b32 v16, 7, v16
	s_delay_alu instid0(VALU_DEP_1) | instskip(NEXT) | instid1(VALU_DEP_2)
	v_cndmask_b32_e32 v14, v14, v16, vcc_lo
	v_lshl_add_u32 v11, v11, 23, 0x3b800000
	s_delay_alu instid0(VALU_DEP_2) | instskip(NEXT) | instid1(VALU_DEP_1)
	v_lshlrev_b32_e32 v14, 20, v14
	v_or3_b32 v11, v10, v11, v14
.LBB4_455:                              ;   in Loop: Header=BB4_142 Depth=2
	s_or_b32 exec_lo, exec_lo, s26
	s_delay_alu instid0(VALU_DEP_1) | instskip(SKIP_1) | instid1(VALU_DEP_1)
	v_dual_mul_f32 v10, s25, v11 :: v_dual_mov_b32 v113, 0x80
	s_mov_b32 s26, exec_lo
	v_and_b32_e32 v11, 0x7f800000, v10
	s_delay_alu instid0(VALU_DEP_1)
	v_cmpx_ne_u32_e32 0x7f800000, v11
	s_cbranch_execz .LBB4_463
; %bb.456:                              ;   in Loop: Header=BB4_142 Depth=2
	v_mov_b32_e32 v113, 0
	s_mov_b32 s27, exec_lo
	v_cmpx_ne_u32_e32 0, v10
	s_cbranch_execz .LBB4_462
; %bb.457:                              ;   in Loop: Header=BB4_142 Depth=2
	v_bfe_u32 v11, v10, 23, 8
	s_delay_alu instid0(VALU_DEP_1) | instskip(SKIP_1) | instid1(VALU_DEP_2)
	v_sub_nc_u32_e32 v15, 0x78, v11
	v_cmp_gt_u32_e32 vcc_lo, 0x79, v11
	v_dual_cndmask_b32 v15, 0, v15 :: v_dual_and_b32 v14, 0x7fffff, v10
	s_delay_alu instid0(VALU_DEP_1) | instskip(SKIP_2) | instid1(VALU_DEP_4)
	v_or_b32_e32 v16, 0x800000, v14
	v_cmp_eq_u32_e32 vcc_lo, 0, v11
	v_add_nc_u32_e32 v11, 0xffffff89, v11
	v_cndmask_b32_e64 v15, v15, 0x77, vcc_lo
	s_delay_alu instid0(VALU_DEP_4) | instskip(NEXT) | instid1(VALU_DEP_3)
	v_cndmask_b32_e32 v14, v16, v14, vcc_lo
	v_cndmask_b32_e64 v11, v11, 0xffffff8a, vcc_lo
	s_delay_alu instid0(VALU_DEP_3) | instskip(NEXT) | instid1(VALU_DEP_3)
	v_lshl_add_u32 v16, 0x100000, v15, -1
	v_lshrrev_b32_e32 v17, v15, v14
	v_lshlrev_b32_e64 v100, v15, 0x80000
	s_delay_alu instid0(VALU_DEP_4) | instskip(NEXT) | instid1(VALU_DEP_4)
	v_add_nc_u32_e32 v15, v15, v11
	v_and_b32_e32 v14, v16, v14
	s_delay_alu instid0(VALU_DEP_4) | instskip(NEXT) | instid1(VALU_DEP_2)
	v_bfe_u32 v99, v17, 20, 1
	v_cmp_eq_u32_e64 s11, v14, v100
	s_delay_alu instid0(VALU_DEP_2) | instskip(NEXT) | instid1(VALU_DEP_1)
	v_add_nc_u32_e32 v16, -1, v99
	v_cndmask_b32_e64 v14, 0, v16, s11
	v_lshrrev_b32_e32 v16, 23, v17
	s_mov_b32 s11, exec_lo
	s_delay_alu instid0(VALU_DEP_2) | instskip(NEXT) | instid1(VALU_DEP_2)
	v_add_nc_u32_e32 v14, v14, v17
	v_xor_b32_e32 v16, 1, v16
	s_delay_alu instid0(VALU_DEP_2) | instskip(NEXT) | instid1(VALU_DEP_1)
	v_and_b32_e32 v11, 0xfffff, v14
	v_add_nc_u32_e32 v14, v11, v17
                                        ; implicit-def: $vgpr11
	s_delay_alu instid0(VALU_DEP_3)
	v_cmpx_ne_u32_e64 v15, v16
	s_xor_b32 s11, exec_lo, s11
; %bb.458:                              ;   in Loop: Header=BB4_142 Depth=2
	s_delay_alu instid0(VALU_DEP_2) | instskip(SKIP_2) | instid1(VALU_DEP_2)
	v_cmp_lt_u32_e32 vcc_lo, 0xffffff, v14
	v_sub_nc_u32_e32 v11, v15, v16
	v_cndmask_b32_e64 v15, 0, 1, vcc_lo
	v_add_co_ci_u32_e32 v11, vcc_lo, 0, v11, vcc_lo
	s_delay_alu instid0(VALU_DEP_2)
	v_lshrrev_b32_e32 v14, v15, v14
; %bb.459:                              ;   in Loop: Header=BB4_142 Depth=2
	s_and_not1_saveexec_b32 s11, s11
; %bb.460:                              ;   in Loop: Header=BB4_142 Depth=2
	s_delay_alu instid0(VALU_DEP_1)
	v_bfe_u32 v11, v14, 23, 1
; %bb.461:                              ;   in Loop: Header=BB4_142 Depth=2
	s_or_b32 exec_lo, exec_lo, s11
	v_lshrrev_b32_e32 v14, 20, v14
	s_delay_alu instid0(VALU_DEP_2) | instskip(SKIP_2) | instid1(VALU_DEP_4)
	v_cmp_gt_i32_e32 vcc_lo, 16, v11
	v_lshrrev_b32_e32 v10, 24, v10
	v_min_i32_e32 v15, 15, v11
	v_cndmask_b32_e32 v14, 7, v14, vcc_lo
	s_delay_alu instid0(VALU_DEP_3) | instskip(NEXT) | instid1(VALU_DEP_3)
	v_and_b32_e32 v10, 0x80, v10
	v_lshlrev_b32_e32 v15, 3, v15
	s_delay_alu instid0(VALU_DEP_3) | instskip(SKIP_1) | instid1(VALU_DEP_2)
	v_and_b32_e32 v16, 7, v14
	v_or_b32_e32 v11, v11, v14
	v_or3_b32 v10, v15, v10, v16
	s_delay_alu instid0(VALU_DEP_2) | instskip(NEXT) | instid1(VALU_DEP_2)
	v_cmp_ne_u32_e32 vcc_lo, 0, v11
	v_cndmask_b32_e32 v113, 0, v10, vcc_lo
.LBB4_462:                              ;   in Loop: Header=BB4_142 Depth=2
	s_or_b32 exec_lo, exec_lo, s27
.LBB4_463:                              ;   in Loop: Header=BB4_142 Depth=2
	s_delay_alu instid0(SALU_CYCLE_1) | instskip(SKIP_3) | instid1(VALU_DEP_1)
	s_or_b32 exec_lo, exec_lo, s26
	v_lshrrev_b32_e32 v10, 16, v12
	s_mov_b32 s11, 0
	s_mov_b32 s27, exec_lo
                                        ; implicit-def: $sgpr26
	v_and_b32_e32 v14, 0xff, v10
	s_delay_alu instid0(VALU_DEP_1)
	v_cmpx_lt_i16_e32 0x7f, v14
	s_xor_b32 s27, exec_lo, s27
	s_cbranch_execnz .LBB4_1149
; %bb.464:                              ;   in Loop: Header=BB4_142 Depth=2
	s_or_saveexec_b32 s27, s27
	v_mov_b32_e32 v11, s26
	s_xor_b32 exec_lo, exec_lo, s27
	s_cbranch_execnz .LBB4_1152
.LBB4_465:                              ;   in Loop: Header=BB4_142 Depth=2
	s_or_b32 exec_lo, exec_lo, s27
	s_and_saveexec_b32 s26, s11
	s_cbranch_execz .LBB4_467
.LBB4_466:                              ;   in Loop: Header=BB4_142 Depth=2
	v_bfe_u32 v11, v12, 16, 3
	v_lshlrev_b32_e32 v16, 8, v12
	s_delay_alu instid0(VALU_DEP_2) | instskip(NEXT) | instid1(VALU_DEP_1)
	v_clz_i32_u32_e32 v14, v11
	v_min_u32_e32 v14, 32, v14
	s_delay_alu instid0(VALU_DEP_1) | instskip(SKIP_1) | instid1(VALU_DEP_2)
	v_subrev_nc_u32_e32 v15, 28, v14
	v_sub_nc_u32_e32 v14, 29, v14
	v_lshlrev_b32_e32 v10, v15, v10
	v_bfe_u32 v15, v12, 19, 4
	s_delay_alu instid0(VALU_DEP_2) | instskip(NEXT) | instid1(VALU_DEP_2)
	v_and_b32_e32 v10, 7, v10
	v_cmp_eq_u32_e32 vcc_lo, 0, v15
	v_cndmask_b32_e32 v14, v15, v14, vcc_lo
	s_delay_alu instid0(VALU_DEP_3) | instskip(NEXT) | instid1(VALU_DEP_2)
	v_dual_cndmask_b32 v10, v11, v10 :: v_dual_and_b32 v11, 0x80000000, v16
	v_lshl_add_u32 v14, v14, 23, 0x3b800000
	s_delay_alu instid0(VALU_DEP_2) | instskip(NEXT) | instid1(VALU_DEP_1)
	v_lshlrev_b32_e32 v10, 20, v10
	v_or3_b32 v11, v11, v14, v10
.LBB4_467:                              ;   in Loop: Header=BB4_142 Depth=2
	s_or_b32 exec_lo, exec_lo, s26
	s_delay_alu instid0(VALU_DEP_1) | instskip(SKIP_2) | instid1(VALU_DEP_2)
	v_mul_f32_e32 v10, s25, v11
	v_mov_b32_e32 v112, 0x80
	s_mov_b32 s26, exec_lo
	v_and_b32_e32 v11, 0x7f800000, v10
	s_delay_alu instid0(VALU_DEP_1)
	v_cmpx_ne_u32_e32 0x7f800000, v11
	s_cbranch_execz .LBB4_475
; %bb.468:                              ;   in Loop: Header=BB4_142 Depth=2
	v_mov_b32_e32 v112, 0
	s_mov_b32 s27, exec_lo
	v_cmpx_ne_u32_e32 0, v10
	s_cbranch_execz .LBB4_474
; %bb.469:                              ;   in Loop: Header=BB4_142 Depth=2
	v_bfe_u32 v11, v10, 23, 8
	s_delay_alu instid0(VALU_DEP_1) | instskip(SKIP_1) | instid1(VALU_DEP_2)
	v_sub_nc_u32_e32 v15, 0x78, v11
	v_cmp_gt_u32_e32 vcc_lo, 0x79, v11
	v_dual_cndmask_b32 v15, 0, v15 :: v_dual_and_b32 v14, 0x7fffff, v10
	s_delay_alu instid0(VALU_DEP_1) | instskip(SKIP_2) | instid1(VALU_DEP_4)
	v_or_b32_e32 v16, 0x800000, v14
	v_cmp_eq_u32_e32 vcc_lo, 0, v11
	v_add_nc_u32_e32 v11, 0xffffff89, v11
	v_cndmask_b32_e64 v15, v15, 0x77, vcc_lo
	s_delay_alu instid0(VALU_DEP_4) | instskip(NEXT) | instid1(VALU_DEP_3)
	v_cndmask_b32_e32 v14, v16, v14, vcc_lo
	v_cndmask_b32_e64 v11, v11, 0xffffff8a, vcc_lo
	s_delay_alu instid0(VALU_DEP_3) | instskip(NEXT) | instid1(VALU_DEP_3)
	v_lshl_add_u32 v16, 0x100000, v15, -1
	v_lshrrev_b32_e32 v17, v15, v14
	v_lshlrev_b32_e64 v100, v15, 0x80000
	s_delay_alu instid0(VALU_DEP_4) | instskip(NEXT) | instid1(VALU_DEP_4)
	v_add_nc_u32_e32 v15, v15, v11
	v_and_b32_e32 v14, v16, v14
	s_delay_alu instid0(VALU_DEP_4) | instskip(NEXT) | instid1(VALU_DEP_2)
	v_bfe_u32 v99, v17, 20, 1
	v_cmp_eq_u32_e64 s11, v14, v100
	s_delay_alu instid0(VALU_DEP_2) | instskip(NEXT) | instid1(VALU_DEP_1)
	v_add_nc_u32_e32 v16, -1, v99
	v_cndmask_b32_e64 v14, 0, v16, s11
	v_lshrrev_b32_e32 v16, 23, v17
	s_mov_b32 s11, exec_lo
	s_delay_alu instid0(VALU_DEP_2) | instskip(NEXT) | instid1(VALU_DEP_2)
	v_add_nc_u32_e32 v14, v14, v17
	v_xor_b32_e32 v16, 1, v16
	s_delay_alu instid0(VALU_DEP_2) | instskip(NEXT) | instid1(VALU_DEP_1)
	v_and_b32_e32 v11, 0xfffff, v14
	v_add_nc_u32_e32 v14, v11, v17
                                        ; implicit-def: $vgpr11
	s_delay_alu instid0(VALU_DEP_3)
	v_cmpx_ne_u32_e64 v15, v16
	s_xor_b32 s11, exec_lo, s11
; %bb.470:                              ;   in Loop: Header=BB4_142 Depth=2
	s_delay_alu instid0(VALU_DEP_2) | instskip(SKIP_2) | instid1(VALU_DEP_2)
	v_cmp_lt_u32_e32 vcc_lo, 0xffffff, v14
	v_sub_nc_u32_e32 v11, v15, v16
	v_cndmask_b32_e64 v15, 0, 1, vcc_lo
	v_add_co_ci_u32_e32 v11, vcc_lo, 0, v11, vcc_lo
	s_delay_alu instid0(VALU_DEP_2)
	v_lshrrev_b32_e32 v14, v15, v14
; %bb.471:                              ;   in Loop: Header=BB4_142 Depth=2
	s_and_not1_saveexec_b32 s11, s11
; %bb.472:                              ;   in Loop: Header=BB4_142 Depth=2
	s_delay_alu instid0(VALU_DEP_1)
	v_bfe_u32 v11, v14, 23, 1
; %bb.473:                              ;   in Loop: Header=BB4_142 Depth=2
	s_or_b32 exec_lo, exec_lo, s11
	v_lshrrev_b32_e32 v14, 20, v14
	s_delay_alu instid0(VALU_DEP_2) | instskip(SKIP_2) | instid1(VALU_DEP_4)
	v_cmp_gt_i32_e32 vcc_lo, 16, v11
	v_lshrrev_b32_e32 v10, 24, v10
	v_min_i32_e32 v15, 15, v11
	v_cndmask_b32_e32 v14, 7, v14, vcc_lo
	s_delay_alu instid0(VALU_DEP_3) | instskip(NEXT) | instid1(VALU_DEP_3)
	v_and_b32_e32 v10, 0x80, v10
	v_lshlrev_b32_e32 v15, 3, v15
	s_delay_alu instid0(VALU_DEP_3) | instskip(SKIP_1) | instid1(VALU_DEP_2)
	v_and_b32_e32 v16, 7, v14
	v_or_b32_e32 v11, v11, v14
	v_or3_b32 v10, v15, v10, v16
	s_delay_alu instid0(VALU_DEP_2) | instskip(NEXT) | instid1(VALU_DEP_2)
	v_cmp_ne_u32_e32 vcc_lo, 0, v11
	v_cndmask_b32_e32 v112, 0, v10, vcc_lo
.LBB4_474:                              ;   in Loop: Header=BB4_142 Depth=2
	s_or_b32 exec_lo, exec_lo, s27
.LBB4_475:                              ;   in Loop: Header=BB4_142 Depth=2
	s_delay_alu instid0(SALU_CYCLE_1) | instskip(SKIP_3) | instid1(VALU_DEP_1)
	s_or_b32 exec_lo, exec_lo, s26
	v_lshrrev_b32_e32 v10, 24, v12
	s_mov_b32 s11, 0
	s_mov_b32 s27, exec_lo
                                        ; implicit-def: $sgpr26
	v_cmpx_lt_i16_e32 0x7f, v10
	s_xor_b32 s27, exec_lo, s27
	s_cbranch_execnz .LBB4_1153
; %bb.476:                              ;   in Loop: Header=BB4_142 Depth=2
	s_or_saveexec_b32 s27, s27
	v_mov_b32_e32 v11, s26
	s_xor_b32 exec_lo, exec_lo, s27
	s_cbranch_execnz .LBB4_1156
.LBB4_477:                              ;   in Loop: Header=BB4_142 Depth=2
	s_or_b32 exec_lo, exec_lo, s27
	s_and_saveexec_b32 s26, s11
	s_cbranch_execz .LBB4_479
.LBB4_478:                              ;   in Loop: Header=BB4_142 Depth=2
	v_bfe_u32 v11, v12, 24, 3
	s_delay_alu instid0(VALU_DEP_1) | instskip(NEXT) | instid1(VALU_DEP_1)
	v_clz_i32_u32_e32 v14, v11
	v_min_u32_e32 v14, 32, v14
	s_delay_alu instid0(VALU_DEP_1) | instskip(SKIP_1) | instid1(VALU_DEP_2)
	v_subrev_nc_u32_e32 v15, 28, v14
	v_sub_nc_u32_e32 v14, 29, v14
	v_lshlrev_b32_e32 v10, v15, v10
	v_bfe_u32 v15, v12, 27, 4
	s_delay_alu instid0(VALU_DEP_2) | instskip(NEXT) | instid1(VALU_DEP_2)
	v_and_b32_e32 v10, 7, v10
	v_cmp_eq_u32_e32 vcc_lo, 0, v15
	v_cndmask_b32_e32 v14, v15, v14, vcc_lo
	s_delay_alu instid0(VALU_DEP_3) | instskip(NEXT) | instid1(VALU_DEP_2)
	v_dual_cndmask_b32 v10, v11, v10 :: v_dual_and_b32 v11, 0x80000000, v12
	v_lshl_add_u32 v12, v14, 23, 0x3b800000
	s_delay_alu instid0(VALU_DEP_2) | instskip(NEXT) | instid1(VALU_DEP_1)
	v_lshlrev_b32_e32 v10, 20, v10
	v_or3_b32 v11, v11, v12, v10
.LBB4_479:                              ;   in Loop: Header=BB4_142 Depth=2
	s_or_b32 exec_lo, exec_lo, s26
	s_delay_alu instid0(VALU_DEP_1) | instskip(SKIP_1) | instid1(VALU_DEP_1)
	v_dual_mul_f32 v10, s25, v11 :: v_dual_mov_b32 v101, 0x80
	s_mov_b32 s26, exec_lo
	v_and_b32_e32 v11, 0x7f800000, v10
	s_delay_alu instid0(VALU_DEP_1)
	v_cmpx_ne_u32_e32 0x7f800000, v11
	s_cbranch_execz .LBB4_487
; %bb.480:                              ;   in Loop: Header=BB4_142 Depth=2
	v_mov_b32_e32 v101, 0
	s_mov_b32 s27, exec_lo
	v_cmpx_ne_u32_e32 0, v10
	s_cbranch_execz .LBB4_486
; %bb.481:                              ;   in Loop: Header=BB4_142 Depth=2
	v_bfe_u32 v11, v10, 23, 8
	v_and_b32_e32 v12, 0x7fffff, v10
	s_delay_alu instid0(VALU_DEP_2) | instskip(SKIP_1) | instid1(VALU_DEP_3)
	v_sub_nc_u32_e32 v14, 0x78, v11
	v_cmp_gt_u32_e32 vcc_lo, 0x79, v11
	v_or_b32_e32 v15, 0x800000, v12
	s_delay_alu instid0(VALU_DEP_3) | instskip(SKIP_2) | instid1(VALU_DEP_3)
	v_cndmask_b32_e32 v14, 0, v14, vcc_lo
	v_cmp_eq_u32_e32 vcc_lo, 0, v11
	v_add_nc_u32_e32 v11, 0xffffff89, v11
	v_cndmask_b32_e64 v14, v14, 0x77, vcc_lo
	v_cndmask_b32_e32 v12, v15, v12, vcc_lo
	s_delay_alu instid0(VALU_DEP_3) | instskip(NEXT) | instid1(VALU_DEP_3)
	v_cndmask_b32_e64 v11, v11, 0xffffff8a, vcc_lo
	v_lshl_add_u32 v15, 0x100000, v14, -1
	s_delay_alu instid0(VALU_DEP_3) | instskip(SKIP_1) | instid1(VALU_DEP_4)
	v_lshrrev_b32_e32 v16, v14, v12
	v_lshlrev_b32_e64 v99, v14, 0x80000
	v_add_nc_u32_e32 v14, v14, v11
	s_delay_alu instid0(VALU_DEP_4) | instskip(NEXT) | instid1(VALU_DEP_4)
	v_and_b32_e32 v12, v15, v12
	v_bfe_u32 v17, v16, 20, 1
	s_delay_alu instid0(VALU_DEP_2) | instskip(NEXT) | instid1(VALU_DEP_2)
	v_cmp_eq_u32_e64 s11, v12, v99
	v_add_nc_u32_e32 v15, -1, v17
	s_delay_alu instid0(VALU_DEP_1) | instskip(SKIP_2) | instid1(VALU_DEP_2)
	v_cndmask_b32_e64 v12, 0, v15, s11
	v_lshrrev_b32_e32 v15, 23, v16
	s_mov_b32 s11, exec_lo
	v_add_nc_u32_e32 v12, v12, v16
	s_delay_alu instid0(VALU_DEP_2) | instskip(NEXT) | instid1(VALU_DEP_2)
	v_xor_b32_e32 v15, 1, v15
	v_and_b32_e32 v11, 0xfffff, v12
	s_delay_alu instid0(VALU_DEP_1) | instskip(NEXT) | instid1(VALU_DEP_3)
	v_add_nc_u32_e32 v12, v11, v16
                                        ; implicit-def: $vgpr11
	v_cmpx_ne_u32_e64 v14, v15
	s_xor_b32 s11, exec_lo, s11
; %bb.482:                              ;   in Loop: Header=BB4_142 Depth=2
	s_delay_alu instid0(VALU_DEP_2) | instskip(SKIP_2) | instid1(VALU_DEP_2)
	v_cmp_lt_u32_e32 vcc_lo, 0xffffff, v12
	v_sub_nc_u32_e32 v11, v14, v15
	v_cndmask_b32_e64 v14, 0, 1, vcc_lo
	v_add_co_ci_u32_e32 v11, vcc_lo, 0, v11, vcc_lo
	s_delay_alu instid0(VALU_DEP_2)
	v_lshrrev_b32_e32 v12, v14, v12
; %bb.483:                              ;   in Loop: Header=BB4_142 Depth=2
	s_and_not1_saveexec_b32 s11, s11
; %bb.484:                              ;   in Loop: Header=BB4_142 Depth=2
	s_delay_alu instid0(VALU_DEP_1)
	v_bfe_u32 v11, v12, 23, 1
; %bb.485:                              ;   in Loop: Header=BB4_142 Depth=2
	s_or_b32 exec_lo, exec_lo, s11
	v_lshrrev_b32_e32 v12, 20, v12
	s_delay_alu instid0(VALU_DEP_2) | instskip(SKIP_2) | instid1(VALU_DEP_4)
	v_cmp_gt_i32_e32 vcc_lo, 16, v11
	v_lshrrev_b32_e32 v10, 24, v10
	v_min_i32_e32 v14, 15, v11
	v_cndmask_b32_e32 v12, 7, v12, vcc_lo
	s_delay_alu instid0(VALU_DEP_3) | instskip(NEXT) | instid1(VALU_DEP_3)
	v_and_b32_e32 v10, 0x80, v10
	v_lshlrev_b32_e32 v14, 3, v14
	s_delay_alu instid0(VALU_DEP_3) | instskip(SKIP_1) | instid1(VALU_DEP_2)
	v_and_b32_e32 v15, 7, v12
	v_or_b32_e32 v11, v11, v12
	v_or3_b32 v10, v14, v10, v15
	s_delay_alu instid0(VALU_DEP_2) | instskip(NEXT) | instid1(VALU_DEP_2)
	v_cmp_ne_u32_e32 vcc_lo, 0, v11
	v_cndmask_b32_e32 v101, 0, v10, vcc_lo
.LBB4_486:                              ;   in Loop: Header=BB4_142 Depth=2
	s_or_b32 exec_lo, exec_lo, s27
.LBB4_487:                              ;   in Loop: Header=BB4_142 Depth=2
	s_delay_alu instid0(SALU_CYCLE_1) | instskip(SKIP_3) | instid1(VALU_DEP_1)
	s_or_b32 exec_lo, exec_lo, s26
	v_and_b32_e32 v11, 0xff, v13
	s_mov_b32 s11, 0
	s_mov_b32 s27, exec_lo
                                        ; implicit-def: $sgpr26
	v_cmpx_lt_i16_e32 0x7f, v11
	s_xor_b32 s27, exec_lo, s27
	s_cbranch_execnz .LBB4_1157
; %bb.488:                              ;   in Loop: Header=BB4_142 Depth=2
	s_or_saveexec_b32 s27, s27
	v_mov_b32_e32 v10, s26
	s_xor_b32 exec_lo, exec_lo, s27
	s_cbranch_execnz .LBB4_1160
.LBB4_489:                              ;   in Loop: Header=BB4_142 Depth=2
	s_or_b32 exec_lo, exec_lo, s27
	s_and_saveexec_b32 s26, s11
	s_cbranch_execz .LBB4_491
.LBB4_490:                              ;   in Loop: Header=BB4_142 Depth=2
	v_bfe_u32 v14, v13, 3, 4
	s_delay_alu instid0(VALU_DEP_1) | instskip(SKIP_1) | instid1(VALU_DEP_1)
	v_cmp_eq_u32_e32 vcc_lo, 0, v14
	v_and_b32_e32 v10, 7, v13
	v_clz_i32_u32_e32 v11, v10
	s_delay_alu instid0(VALU_DEP_1) | instskip(NEXT) | instid1(VALU_DEP_1)
	v_min_u32_e32 v11, 32, v11
	v_subrev_nc_u32_e32 v12, 28, v11
	v_sub_nc_u32_e32 v11, 29, v11
	s_delay_alu instid0(VALU_DEP_1) | instskip(NEXT) | instid1(VALU_DEP_1)
	v_dual_cndmask_b32 v11, v14, v11 :: v_dual_lshlrev_b32 v12, v12, v13
	v_and_b32_e32 v12, 7, v12
	v_lshlrev_b32_e32 v15, 24, v13
	s_delay_alu instid0(VALU_DEP_3) | instskip(NEXT) | instid1(VALU_DEP_3)
	v_lshl_add_u32 v11, v11, 23, 0x3b800000
	v_cndmask_b32_e32 v10, v10, v12, vcc_lo
	s_delay_alu instid0(VALU_DEP_3) | instskip(NEXT) | instid1(VALU_DEP_2)
	v_and_b32_e32 v12, 0x80000000, v15
	v_lshlrev_b32_e32 v10, 20, v10
	s_delay_alu instid0(VALU_DEP_1)
	v_or3_b32 v10, v12, v11, v10
.LBB4_491:                              ;   in Loop: Header=BB4_142 Depth=2
	s_or_b32 exec_lo, exec_lo, s26
	s_delay_alu instid0(VALU_DEP_1) | instskip(SKIP_2) | instid1(VALU_DEP_2)
	v_mul_f32_e32 v10, s25, v10
	v_mov_b32_e32 v100, 0x80
	s_mov_b32 s26, exec_lo
	v_and_b32_e32 v11, 0x7f800000, v10
	s_delay_alu instid0(VALU_DEP_1)
	v_cmpx_ne_u32_e32 0x7f800000, v11
	s_cbranch_execz .LBB4_499
; %bb.492:                              ;   in Loop: Header=BB4_142 Depth=2
	v_mov_b32_e32 v100, 0
	s_mov_b32 s27, exec_lo
	v_cmpx_ne_u32_e32 0, v10
	s_cbranch_execz .LBB4_498
; %bb.493:                              ;   in Loop: Header=BB4_142 Depth=2
	v_bfe_u32 v11, v10, 23, 8
	v_and_b32_e32 v12, 0x7fffff, v10
	s_delay_alu instid0(VALU_DEP_2) | instskip(SKIP_1) | instid1(VALU_DEP_3)
	v_sub_nc_u32_e32 v14, 0x78, v11
	v_cmp_gt_u32_e32 vcc_lo, 0x79, v11
	v_or_b32_e32 v15, 0x800000, v12
	s_delay_alu instid0(VALU_DEP_3) | instskip(SKIP_2) | instid1(VALU_DEP_3)
	v_cndmask_b32_e32 v14, 0, v14, vcc_lo
	v_cmp_eq_u32_e32 vcc_lo, 0, v11
	v_add_nc_u32_e32 v11, 0xffffff89, v11
	v_cndmask_b32_e64 v14, v14, 0x77, vcc_lo
	v_cndmask_b32_e32 v12, v15, v12, vcc_lo
	s_delay_alu instid0(VALU_DEP_3) | instskip(NEXT) | instid1(VALU_DEP_3)
	v_cndmask_b32_e64 v11, v11, 0xffffff8a, vcc_lo
	v_lshl_add_u32 v15, 0x100000, v14, -1
	s_delay_alu instid0(VALU_DEP_3) | instskip(SKIP_1) | instid1(VALU_DEP_4)
	v_lshrrev_b32_e32 v16, v14, v12
	v_lshlrev_b32_e64 v99, v14, 0x80000
	v_add_nc_u32_e32 v14, v14, v11
	s_delay_alu instid0(VALU_DEP_4) | instskip(NEXT) | instid1(VALU_DEP_4)
	v_and_b32_e32 v12, v15, v12
	v_bfe_u32 v17, v16, 20, 1
	s_delay_alu instid0(VALU_DEP_2) | instskip(NEXT) | instid1(VALU_DEP_2)
	v_cmp_eq_u32_e64 s11, v12, v99
	v_add_nc_u32_e32 v15, -1, v17
	s_delay_alu instid0(VALU_DEP_1) | instskip(SKIP_2) | instid1(VALU_DEP_2)
	v_cndmask_b32_e64 v12, 0, v15, s11
	v_lshrrev_b32_e32 v15, 23, v16
	s_mov_b32 s11, exec_lo
	v_add_nc_u32_e32 v12, v12, v16
	s_delay_alu instid0(VALU_DEP_2) | instskip(NEXT) | instid1(VALU_DEP_2)
	v_xor_b32_e32 v15, 1, v15
	v_and_b32_e32 v11, 0xfffff, v12
	s_delay_alu instid0(VALU_DEP_1) | instskip(NEXT) | instid1(VALU_DEP_3)
	v_add_nc_u32_e32 v12, v11, v16
                                        ; implicit-def: $vgpr11
	v_cmpx_ne_u32_e64 v14, v15
	s_xor_b32 s11, exec_lo, s11
; %bb.494:                              ;   in Loop: Header=BB4_142 Depth=2
	s_delay_alu instid0(VALU_DEP_2) | instskip(SKIP_2) | instid1(VALU_DEP_2)
	v_cmp_lt_u32_e32 vcc_lo, 0xffffff, v12
	v_sub_nc_u32_e32 v11, v14, v15
	v_cndmask_b32_e64 v14, 0, 1, vcc_lo
	v_add_co_ci_u32_e32 v11, vcc_lo, 0, v11, vcc_lo
	s_delay_alu instid0(VALU_DEP_2)
	v_lshrrev_b32_e32 v12, v14, v12
; %bb.495:                              ;   in Loop: Header=BB4_142 Depth=2
	s_and_not1_saveexec_b32 s11, s11
; %bb.496:                              ;   in Loop: Header=BB4_142 Depth=2
	s_delay_alu instid0(VALU_DEP_1)
	v_bfe_u32 v11, v12, 23, 1
; %bb.497:                              ;   in Loop: Header=BB4_142 Depth=2
	s_or_b32 exec_lo, exec_lo, s11
	v_lshrrev_b32_e32 v12, 20, v12
	s_delay_alu instid0(VALU_DEP_2) | instskip(SKIP_2) | instid1(VALU_DEP_4)
	v_cmp_gt_i32_e32 vcc_lo, 16, v11
	v_min_i32_e32 v14, 15, v11
	v_lshrrev_b32_e32 v10, 24, v10
	v_cndmask_b32_e32 v12, 7, v12, vcc_lo
	s_delay_alu instid0(VALU_DEP_3) | instskip(NEXT) | instid1(VALU_DEP_3)
	v_lshlrev_b32_e32 v14, 3, v14
	v_and_b32_e32 v10, 0x80, v10
	s_delay_alu instid0(VALU_DEP_3) | instskip(NEXT) | instid1(VALU_DEP_3)
	v_or_b32_e32 v11, v11, v12
	v_and_b32_e32 v14, 0xf8, v14
	s_delay_alu instid0(VALU_DEP_2) | instskip(SKIP_1) | instid1(VALU_DEP_1)
	v_cmp_ne_u32_e32 vcc_lo, 0, v11
	v_and_b32_e32 v15, 7, v12
	v_or3_b32 v10, v14, v10, v15
	s_delay_alu instid0(VALU_DEP_1)
	v_cndmask_b32_e32 v100, 0, v10, vcc_lo
.LBB4_498:                              ;   in Loop: Header=BB4_142 Depth=2
	s_or_b32 exec_lo, exec_lo, s27
.LBB4_499:                              ;   in Loop: Header=BB4_142 Depth=2
	s_delay_alu instid0(SALU_CYCLE_1) | instskip(SKIP_3) | instid1(VALU_DEP_1)
	s_or_b32 exec_lo, exec_lo, s26
	v_lshrrev_b16 v10, 8, v13
	s_mov_b32 s11, 0
	s_mov_b32 s27, exec_lo
                                        ; implicit-def: $sgpr26
	v_cmpx_lt_i16_e32 0x7f, v10
	s_xor_b32 s27, exec_lo, s27
	s_cbranch_execnz .LBB4_1161
; %bb.500:                              ;   in Loop: Header=BB4_142 Depth=2
	s_or_saveexec_b32 s27, s27
	v_mov_b32_e32 v11, s26
	s_xor_b32 exec_lo, exec_lo, s27
	s_cbranch_execnz .LBB4_1164
.LBB4_501:                              ;   in Loop: Header=BB4_142 Depth=2
	s_or_b32 exec_lo, exec_lo, s27
	s_and_saveexec_b32 s26, s11
	s_cbranch_execz .LBB4_503
.LBB4_502:                              ;   in Loop: Header=BB4_142 Depth=2
	v_and_b32_e32 v11, 0xffff, v10
	v_lshlrev_b32_e32 v10, 24, v10
	s_delay_alu instid0(VALU_DEP_2) | instskip(NEXT) | instid1(VALU_DEP_2)
	v_and_b32_e32 v12, 7, v11
	v_and_b32_e32 v10, 0x80000000, v10
	s_delay_alu instid0(VALU_DEP_2) | instskip(NEXT) | instid1(VALU_DEP_1)
	v_clz_i32_u32_e32 v14, v12
	v_min_u32_e32 v14, 32, v14
	s_delay_alu instid0(VALU_DEP_1) | instskip(SKIP_1) | instid1(VALU_DEP_2)
	v_subrev_nc_u32_e32 v15, 28, v14
	v_sub_nc_u32_e32 v14, 29, v14
	v_lshlrev_b32_e32 v15, v15, v11
	v_bfe_u32 v11, v11, 3, 4
	s_delay_alu instid0(VALU_DEP_2) | instskip(NEXT) | instid1(VALU_DEP_2)
	v_and_b32_e32 v15, 7, v15
	v_cmp_eq_u32_e32 vcc_lo, 0, v11
	s_delay_alu instid0(VALU_DEP_2) | instskip(NEXT) | instid1(VALU_DEP_1)
	v_dual_cndmask_b32 v11, v11, v14 :: v_dual_cndmask_b32 v12, v12, v15
	v_lshl_add_u32 v11, v11, 23, 0x3b800000
	s_delay_alu instid0(VALU_DEP_2) | instskip(NEXT) | instid1(VALU_DEP_1)
	v_lshlrev_b32_e32 v12, 20, v12
	v_or3_b32 v11, v10, v11, v12
.LBB4_503:                              ;   in Loop: Header=BB4_142 Depth=2
	s_or_b32 exec_lo, exec_lo, s26
	s_delay_alu instid0(VALU_DEP_1) | instskip(SKIP_2) | instid1(VALU_DEP_2)
	v_mul_f32_e32 v10, s25, v11
	v_mov_b32_e32 v114, 0x8000
	s_mov_b32 s26, exec_lo
	v_and_b32_e32 v11, 0x7f800000, v10
	s_delay_alu instid0(VALU_DEP_1)
	v_cmpx_ne_u32_e32 0x7f800000, v11
	s_cbranch_execz .LBB4_511
; %bb.504:                              ;   in Loop: Header=BB4_142 Depth=2
	v_mov_b32_e32 v114, 0
	s_mov_b32 s27, exec_lo
	v_cmpx_ne_u32_e32 0, v10
	s_cbranch_execz .LBB4_510
; %bb.505:                              ;   in Loop: Header=BB4_142 Depth=2
	v_bfe_u32 v11, v10, 23, 8
	v_and_b32_e32 v12, 0x7fffff, v10
	s_delay_alu instid0(VALU_DEP_2) | instskip(SKIP_1) | instid1(VALU_DEP_3)
	v_sub_nc_u32_e32 v14, 0x78, v11
	v_cmp_gt_u32_e32 vcc_lo, 0x79, v11
	v_or_b32_e32 v15, 0x800000, v12
	s_delay_alu instid0(VALU_DEP_3) | instskip(SKIP_2) | instid1(VALU_DEP_3)
	v_cndmask_b32_e32 v14, 0, v14, vcc_lo
	v_cmp_eq_u32_e32 vcc_lo, 0, v11
	v_add_nc_u32_e32 v11, 0xffffff89, v11
	v_cndmask_b32_e64 v14, v14, 0x77, vcc_lo
	v_cndmask_b32_e32 v12, v15, v12, vcc_lo
	s_delay_alu instid0(VALU_DEP_3) | instskip(NEXT) | instid1(VALU_DEP_3)
	v_cndmask_b32_e64 v11, v11, 0xffffff8a, vcc_lo
	v_lshl_add_u32 v15, 0x100000, v14, -1
	s_delay_alu instid0(VALU_DEP_3) | instskip(SKIP_1) | instid1(VALU_DEP_4)
	v_lshrrev_b32_e32 v16, v14, v12
	v_lshlrev_b32_e64 v99, v14, 0x80000
	v_add_nc_u32_e32 v14, v14, v11
	s_delay_alu instid0(VALU_DEP_4) | instskip(NEXT) | instid1(VALU_DEP_4)
	v_and_b32_e32 v12, v15, v12
	v_bfe_u32 v17, v16, 20, 1
	s_delay_alu instid0(VALU_DEP_2) | instskip(NEXT) | instid1(VALU_DEP_2)
	v_cmp_eq_u32_e64 s11, v12, v99
	v_add_nc_u32_e32 v15, -1, v17
	s_delay_alu instid0(VALU_DEP_1) | instskip(SKIP_2) | instid1(VALU_DEP_2)
	v_cndmask_b32_e64 v12, 0, v15, s11
	v_lshrrev_b32_e32 v15, 23, v16
	s_mov_b32 s11, exec_lo
	v_add_nc_u32_e32 v12, v12, v16
	s_delay_alu instid0(VALU_DEP_2) | instskip(NEXT) | instid1(VALU_DEP_2)
	v_xor_b32_e32 v15, 1, v15
	v_and_b32_e32 v11, 0xfffff, v12
	s_delay_alu instid0(VALU_DEP_1) | instskip(NEXT) | instid1(VALU_DEP_3)
	v_add_nc_u32_e32 v12, v11, v16
                                        ; implicit-def: $vgpr11
	v_cmpx_ne_u32_e64 v14, v15
	s_xor_b32 s11, exec_lo, s11
; %bb.506:                              ;   in Loop: Header=BB4_142 Depth=2
	s_delay_alu instid0(VALU_DEP_2) | instskip(SKIP_2) | instid1(VALU_DEP_2)
	v_cmp_lt_u32_e32 vcc_lo, 0xffffff, v12
	v_sub_nc_u32_e32 v11, v14, v15
	v_cndmask_b32_e64 v14, 0, 1, vcc_lo
	v_add_co_ci_u32_e32 v11, vcc_lo, 0, v11, vcc_lo
	s_delay_alu instid0(VALU_DEP_2)
	v_lshrrev_b32_e32 v12, v14, v12
; %bb.507:                              ;   in Loop: Header=BB4_142 Depth=2
	s_and_not1_saveexec_b32 s11, s11
; %bb.508:                              ;   in Loop: Header=BB4_142 Depth=2
	s_delay_alu instid0(VALU_DEP_1)
	v_bfe_u32 v11, v12, 23, 1
; %bb.509:                              ;   in Loop: Header=BB4_142 Depth=2
	s_or_b32 exec_lo, exec_lo, s11
	v_lshrrev_b32_e32 v12, 20, v12
	s_delay_alu instid0(VALU_DEP_2) | instskip(SKIP_2) | instid1(VALU_DEP_4)
	v_cmp_gt_i32_e32 vcc_lo, 16, v11
	v_min_i32_e32 v14, 15, v11
	v_lshrrev_b32_e32 v10, 24, v10
	v_cndmask_b32_e32 v12, 7, v12, vcc_lo
	s_delay_alu instid0(VALU_DEP_3) | instskip(NEXT) | instid1(VALU_DEP_3)
	v_lshlrev_b32_e32 v14, 3, v14
	v_and_b32_e32 v10, 0x80, v10
	s_delay_alu instid0(VALU_DEP_3) | instskip(NEXT) | instid1(VALU_DEP_3)
	v_or_b32_e32 v11, v11, v12
	v_and_b32_e32 v14, 0xf8, v14
	s_delay_alu instid0(VALU_DEP_2) | instskip(SKIP_1) | instid1(VALU_DEP_1)
	v_cmp_ne_u32_e32 vcc_lo, 0, v11
	v_and_b32_e32 v15, 7, v12
	v_or3_b32 v10, v10, v14, v15
	s_delay_alu instid0(VALU_DEP_1) | instskip(NEXT) | instid1(VALU_DEP_1)
	v_lshlrev_b32_e32 v10, 8, v10
	v_cndmask_b32_e32 v114, 0, v10, vcc_lo
.LBB4_510:                              ;   in Loop: Header=BB4_142 Depth=2
	s_or_b32 exec_lo, exec_lo, s27
.LBB4_511:                              ;   in Loop: Header=BB4_142 Depth=2
	s_delay_alu instid0(SALU_CYCLE_1) | instskip(SKIP_3) | instid1(VALU_DEP_1)
	s_or_b32 exec_lo, exec_lo, s26
	v_lshrrev_b32_e32 v10, 16, v13
	s_mov_b32 s11, 0
	s_mov_b32 s27, exec_lo
                                        ; implicit-def: $sgpr26
	v_and_b32_e32 v12, 0xff, v10
	s_delay_alu instid0(VALU_DEP_1)
	v_cmpx_lt_i16_e32 0x7f, v12
	s_xor_b32 s27, exec_lo, s27
	s_cbranch_execnz .LBB4_1165
; %bb.512:                              ;   in Loop: Header=BB4_142 Depth=2
	s_or_saveexec_b32 s27, s27
	v_mov_b32_e32 v11, s26
	s_xor_b32 exec_lo, exec_lo, s27
	s_cbranch_execnz .LBB4_1168
.LBB4_513:                              ;   in Loop: Header=BB4_142 Depth=2
	s_or_b32 exec_lo, exec_lo, s27
	s_and_saveexec_b32 s26, s11
	s_cbranch_execz .LBB4_515
.LBB4_514:                              ;   in Loop: Header=BB4_142 Depth=2
	v_bfe_u32 v11, v13, 16, 3
	s_delay_alu instid0(VALU_DEP_1) | instskip(NEXT) | instid1(VALU_DEP_1)
	v_clz_i32_u32_e32 v12, v11
	v_min_u32_e32 v12, 32, v12
	s_delay_alu instid0(VALU_DEP_1) | instskip(SKIP_1) | instid1(VALU_DEP_2)
	v_subrev_nc_u32_e32 v14, 28, v12
	v_sub_nc_u32_e32 v12, 29, v12
	v_lshlrev_b32_e32 v10, v14, v10
	v_bfe_u32 v14, v13, 19, 4
	s_delay_alu instid0(VALU_DEP_2) | instskip(NEXT) | instid1(VALU_DEP_2)
	v_and_b32_e32 v10, 7, v10
	v_cmp_eq_u32_e32 vcc_lo, 0, v14
	v_dual_cndmask_b32 v12, v14, v12 :: v_dual_lshlrev_b32 v15, 8, v13
	s_delay_alu instid0(VALU_DEP_1) | instskip(NEXT) | instid1(VALU_DEP_2)
	v_dual_cndmask_b32 v10, v11, v10 :: v_dual_and_b32 v11, 0x80000000, v15
	v_lshl_add_u32 v12, v12, 23, 0x3b800000
	s_delay_alu instid0(VALU_DEP_2) | instskip(NEXT) | instid1(VALU_DEP_1)
	v_lshlrev_b32_e32 v10, 20, v10
	v_or3_b32 v11, v11, v12, v10
.LBB4_515:                              ;   in Loop: Header=BB4_142 Depth=2
	s_or_b32 exec_lo, exec_lo, s26
	s_delay_alu instid0(VALU_DEP_1) | instskip(SKIP_1) | instid1(VALU_DEP_1)
	v_dual_mul_f32 v10, s25, v11 :: v_dual_mov_b32 v99, 0x80
	s_mov_b32 s26, exec_lo
	v_and_b32_e32 v11, 0x7f800000, v10
	s_delay_alu instid0(VALU_DEP_1)
	v_cmpx_ne_u32_e32 0x7f800000, v11
	s_cbranch_execz .LBB4_523
; %bb.516:                              ;   in Loop: Header=BB4_142 Depth=2
	v_mov_b32_e32 v99, 0
	s_mov_b32 s27, exec_lo
	v_cmpx_ne_u32_e32 0, v10
	s_cbranch_execz .LBB4_522
; %bb.517:                              ;   in Loop: Header=BB4_142 Depth=2
	v_bfe_u32 v11, v10, 23, 8
	v_and_b32_e32 v12, 0x7fffff, v10
	s_delay_alu instid0(VALU_DEP_2) | instskip(SKIP_1) | instid1(VALU_DEP_3)
	v_sub_nc_u32_e32 v14, 0x78, v11
	v_cmp_gt_u32_e32 vcc_lo, 0x79, v11
	v_or_b32_e32 v15, 0x800000, v12
	s_delay_alu instid0(VALU_DEP_3) | instskip(SKIP_2) | instid1(VALU_DEP_3)
	v_cndmask_b32_e32 v14, 0, v14, vcc_lo
	v_cmp_eq_u32_e32 vcc_lo, 0, v11
	v_add_nc_u32_e32 v11, 0xffffff89, v11
	v_cndmask_b32_e64 v14, v14, 0x77, vcc_lo
	v_cndmask_b32_e32 v12, v15, v12, vcc_lo
	s_delay_alu instid0(VALU_DEP_3) | instskip(NEXT) | instid1(VALU_DEP_3)
	v_cndmask_b32_e64 v11, v11, 0xffffff8a, vcc_lo
	v_lshl_add_u32 v15, 0x100000, v14, -1
	s_delay_alu instid0(VALU_DEP_3) | instskip(SKIP_1) | instid1(VALU_DEP_4)
	v_lshrrev_b32_e32 v16, v14, v12
	v_lshlrev_b32_e64 v99, v14, 0x80000
	v_add_nc_u32_e32 v14, v14, v11
	s_delay_alu instid0(VALU_DEP_4) | instskip(NEXT) | instid1(VALU_DEP_4)
	v_and_b32_e32 v12, v15, v12
	v_bfe_u32 v17, v16, 20, 1
	s_delay_alu instid0(VALU_DEP_2) | instskip(NEXT) | instid1(VALU_DEP_2)
	v_cmp_eq_u32_e64 s11, v12, v99
	v_add_nc_u32_e32 v15, -1, v17
	s_delay_alu instid0(VALU_DEP_1) | instskip(SKIP_2) | instid1(VALU_DEP_2)
	v_cndmask_b32_e64 v12, 0, v15, s11
	v_lshrrev_b32_e32 v15, 23, v16
	s_mov_b32 s11, exec_lo
	v_add_nc_u32_e32 v12, v12, v16
	s_delay_alu instid0(VALU_DEP_2) | instskip(NEXT) | instid1(VALU_DEP_2)
	v_xor_b32_e32 v15, 1, v15
	v_and_b32_e32 v11, 0xfffff, v12
	s_delay_alu instid0(VALU_DEP_1) | instskip(NEXT) | instid1(VALU_DEP_3)
	v_add_nc_u32_e32 v12, v11, v16
                                        ; implicit-def: $vgpr11
	v_cmpx_ne_u32_e64 v14, v15
	s_xor_b32 s11, exec_lo, s11
; %bb.518:                              ;   in Loop: Header=BB4_142 Depth=2
	s_delay_alu instid0(VALU_DEP_2) | instskip(SKIP_2) | instid1(VALU_DEP_2)
	v_cmp_lt_u32_e32 vcc_lo, 0xffffff, v12
	v_sub_nc_u32_e32 v11, v14, v15
	v_cndmask_b32_e64 v14, 0, 1, vcc_lo
	v_add_co_ci_u32_e32 v11, vcc_lo, 0, v11, vcc_lo
	s_delay_alu instid0(VALU_DEP_2)
	v_lshrrev_b32_e32 v12, v14, v12
; %bb.519:                              ;   in Loop: Header=BB4_142 Depth=2
	s_and_not1_saveexec_b32 s11, s11
; %bb.520:                              ;   in Loop: Header=BB4_142 Depth=2
	s_delay_alu instid0(VALU_DEP_1)
	v_bfe_u32 v11, v12, 23, 1
; %bb.521:                              ;   in Loop: Header=BB4_142 Depth=2
	s_or_b32 exec_lo, exec_lo, s11
	v_lshrrev_b32_e32 v12, 20, v12
	s_delay_alu instid0(VALU_DEP_2) | instskip(SKIP_2) | instid1(VALU_DEP_3)
	v_min_i32_e32 v14, 15, v11
	v_cmp_gt_i32_e32 vcc_lo, 16, v11
	v_lshrrev_b32_e32 v10, 24, v10
	v_lshlrev_b32_e32 v14, 3, v14
	v_cndmask_b32_e32 v12, 7, v12, vcc_lo
	s_delay_alu instid0(VALU_DEP_3) | instskip(NEXT) | instid1(VALU_DEP_3)
	v_and_b32_e32 v10, 0x80, v10
	v_and_b32_e32 v14, 0xf8, v14
	s_delay_alu instid0(VALU_DEP_3) | instskip(SKIP_1) | instid1(VALU_DEP_2)
	v_and_b32_e32 v15, 7, v12
	v_or_b32_e32 v11, v11, v12
	v_or3_b32 v10, v14, v10, v15
	s_delay_alu instid0(VALU_DEP_2) | instskip(NEXT) | instid1(VALU_DEP_2)
	v_cmp_ne_u32_e32 vcc_lo, 0, v11
	v_cndmask_b32_e32 v99, 0, v10, vcc_lo
.LBB4_522:                              ;   in Loop: Header=BB4_142 Depth=2
	s_or_b32 exec_lo, exec_lo, s27
.LBB4_523:                              ;   in Loop: Header=BB4_142 Depth=2
	s_delay_alu instid0(SALU_CYCLE_1) | instskip(SKIP_3) | instid1(VALU_DEP_1)
	s_or_b32 exec_lo, exec_lo, s26
	v_lshrrev_b32_e32 v10, 24, v13
	s_mov_b32 s11, 0
	s_mov_b32 s27, exec_lo
                                        ; implicit-def: $sgpr26
	v_cmpx_lt_i16_e32 0x7f, v10
	s_xor_b32 s27, exec_lo, s27
	s_cbranch_execnz .LBB4_1169
; %bb.524:                              ;   in Loop: Header=BB4_142 Depth=2
	s_or_saveexec_b32 s27, s27
	v_mov_b32_e32 v11, s26
	s_xor_b32 exec_lo, exec_lo, s27
	s_cbranch_execnz .LBB4_1172
.LBB4_525:                              ;   in Loop: Header=BB4_142 Depth=2
	s_or_b32 exec_lo, exec_lo, s27
	s_and_saveexec_b32 s26, s11
	s_cbranch_execz .LBB4_527
.LBB4_526:                              ;   in Loop: Header=BB4_142 Depth=2
	v_bfe_u32 v11, v13, 24, 3
	s_delay_alu instid0(VALU_DEP_1) | instskip(NEXT) | instid1(VALU_DEP_1)
	v_clz_i32_u32_e32 v12, v11
	v_min_u32_e32 v12, 32, v12
	s_delay_alu instid0(VALU_DEP_1) | instskip(SKIP_1) | instid1(VALU_DEP_2)
	v_subrev_nc_u32_e32 v14, 28, v12
	v_sub_nc_u32_e32 v12, 29, v12
	v_lshlrev_b32_e32 v10, v14, v10
	v_bfe_u32 v14, v13, 27, 4
	s_delay_alu instid0(VALU_DEP_2) | instskip(NEXT) | instid1(VALU_DEP_2)
	v_and_b32_e32 v10, 7, v10
	v_cmp_eq_u32_e32 vcc_lo, 0, v14
	v_cndmask_b32_e32 v12, v14, v12, vcc_lo
	s_delay_alu instid0(VALU_DEP_3) | instskip(NEXT) | instid1(VALU_DEP_2)
	v_dual_cndmask_b32 v10, v11, v10 :: v_dual_and_b32 v11, 0x80000000, v13
	v_lshl_add_u32 v12, v12, 23, 0x3b800000
	s_delay_alu instid0(VALU_DEP_2) | instskip(NEXT) | instid1(VALU_DEP_1)
	v_lshlrev_b32_e32 v10, 20, v10
	v_or3_b32 v11, v11, v12, v10
.LBB4_527:                              ;   in Loop: Header=BB4_142 Depth=2
	s_or_b32 exec_lo, exec_lo, s26
	s_delay_alu instid0(VALU_DEP_1) | instskip(SKIP_1) | instid1(VALU_DEP_1)
	v_dual_mul_f32 v10, s25, v11 :: v_dual_mov_b32 v103, 0x8000
	s_mov_b32 s25, exec_lo
	v_and_b32_e32 v11, 0x7f800000, v10
	s_delay_alu instid0(VALU_DEP_1)
	v_cmpx_ne_u32_e32 0x7f800000, v11
	s_cbranch_execz .LBB4_535
; %bb.528:                              ;   in Loop: Header=BB4_142 Depth=2
	v_mov_b32_e32 v103, 0
	s_mov_b32 s26, exec_lo
	v_cmpx_ne_u32_e32 0, v10
	s_cbranch_execz .LBB4_534
; %bb.529:                              ;   in Loop: Header=BB4_142 Depth=2
	v_bfe_u32 v11, v10, 23, 8
	s_delay_alu instid0(VALU_DEP_1) | instskip(SKIP_1) | instid1(VALU_DEP_2)
	v_sub_nc_u32_e32 v13, 0x78, v11
	v_cmp_gt_u32_e32 vcc_lo, 0x79, v11
	v_dual_cndmask_b32 v13, 0, v13 :: v_dual_and_b32 v12, 0x7fffff, v10
	s_delay_alu instid0(VALU_DEP_1) | instskip(SKIP_2) | instid1(VALU_DEP_4)
	v_or_b32_e32 v14, 0x800000, v12
	v_cmp_eq_u32_e32 vcc_lo, 0, v11
	v_add_nc_u32_e32 v11, 0xffffff89, v11
	v_cndmask_b32_e64 v13, v13, 0x77, vcc_lo
	s_delay_alu instid0(VALU_DEP_4) | instskip(NEXT) | instid1(VALU_DEP_3)
	v_cndmask_b32_e32 v12, v14, v12, vcc_lo
	v_cndmask_b32_e64 v11, v11, 0xffffff8a, vcc_lo
	s_delay_alu instid0(VALU_DEP_3) | instskip(NEXT) | instid1(VALU_DEP_3)
	v_lshl_add_u32 v14, 0x100000, v13, -1
	v_lshrrev_b32_e32 v15, v13, v12
	v_lshlrev_b32_e64 v17, v13, 0x80000
	s_delay_alu instid0(VALU_DEP_4) | instskip(NEXT) | instid1(VALU_DEP_4)
	v_add_nc_u32_e32 v13, v13, v11
	v_and_b32_e32 v12, v14, v12
	s_delay_alu instid0(VALU_DEP_4) | instskip(NEXT) | instid1(VALU_DEP_2)
	v_bfe_u32 v16, v15, 20, 1
	v_cmp_eq_u32_e64 s11, v12, v17
	s_delay_alu instid0(VALU_DEP_2) | instskip(NEXT) | instid1(VALU_DEP_1)
	v_add_nc_u32_e32 v14, -1, v16
	v_cndmask_b32_e64 v12, 0, v14, s11
	v_lshrrev_b32_e32 v14, 23, v15
	s_mov_b32 s11, exec_lo
	s_delay_alu instid0(VALU_DEP_2) | instskip(NEXT) | instid1(VALU_DEP_2)
	v_add_nc_u32_e32 v12, v12, v15
	v_xor_b32_e32 v14, 1, v14
	s_delay_alu instid0(VALU_DEP_2) | instskip(NEXT) | instid1(VALU_DEP_1)
	v_and_b32_e32 v11, 0xfffff, v12
	v_add_nc_u32_e32 v12, v11, v15
                                        ; implicit-def: $vgpr11
	s_delay_alu instid0(VALU_DEP_3)
	v_cmpx_ne_u32_e64 v13, v14
	s_xor_b32 s11, exec_lo, s11
; %bb.530:                              ;   in Loop: Header=BB4_142 Depth=2
	s_delay_alu instid0(VALU_DEP_2) | instskip(SKIP_2) | instid1(VALU_DEP_2)
	v_cmp_lt_u32_e32 vcc_lo, 0xffffff, v12
	v_sub_nc_u32_e32 v11, v13, v14
	v_cndmask_b32_e64 v13, 0, 1, vcc_lo
	v_add_co_ci_u32_e32 v11, vcc_lo, 0, v11, vcc_lo
	s_delay_alu instid0(VALU_DEP_2)
	v_lshrrev_b32_e32 v12, v13, v12
; %bb.531:                              ;   in Loop: Header=BB4_142 Depth=2
	s_and_not1_saveexec_b32 s11, s11
; %bb.532:                              ;   in Loop: Header=BB4_142 Depth=2
	s_delay_alu instid0(VALU_DEP_1)
	v_bfe_u32 v11, v12, 23, 1
; %bb.533:                              ;   in Loop: Header=BB4_142 Depth=2
	s_or_b32 exec_lo, exec_lo, s11
	v_lshrrev_b32_e32 v12, 20, v12
	s_delay_alu instid0(VALU_DEP_2) | instskip(SKIP_2) | instid1(VALU_DEP_2)
	v_cmp_gt_i32_e32 vcc_lo, 16, v11
	v_min_i32_e32 v13, 15, v11
	v_lshrrev_b32_e32 v10, 24, v10
	v_dual_cndmask_b32 v12, 7, v12 :: v_dual_lshlrev_b32 v13, 3, v13
	s_delay_alu instid0(VALU_DEP_2) | instskip(NEXT) | instid1(VALU_DEP_2)
	v_and_b32_e32 v10, 0x80, v10
	v_or_b32_e32 v11, v11, v12
	s_delay_alu instid0(VALU_DEP_3) | instskip(NEXT) | instid1(VALU_DEP_2)
	v_and_b32_e32 v13, 0xf8, v13
	v_cmp_ne_u32_e32 vcc_lo, 0, v11
	v_and_b32_e32 v14, 7, v12
	s_delay_alu instid0(VALU_DEP_1) | instskip(NEXT) | instid1(VALU_DEP_1)
	v_or3_b32 v10, v10, v13, v14
	v_lshlrev_b32_e32 v10, 8, v10
	s_delay_alu instid0(VALU_DEP_1)
	v_cndmask_b32_e32 v103, 0, v10, vcc_lo
.LBB4_534:                              ;   in Loop: Header=BB4_142 Depth=2
	s_or_b32 exec_lo, exec_lo, s26
.LBB4_535:                              ;   in Loop: Header=BB4_142 Depth=2
	s_delay_alu instid0(SALU_CYCLE_1)
	s_or_b32 exec_lo, exec_lo, s25
	s_clause 0x1
	global_load_b128 v[14:17], v[52:53], off slc dlc
	global_load_b128 v[10:13], v[52:53], off offset:512 slc dlc
	v_and_b32_e32 v163, 0xff, v98
	s_mov_b32 s11, 0
	s_mov_b32 s26, exec_lo
                                        ; implicit-def: $sgpr25
	s_delay_alu instid0(VALU_DEP_1)
	v_cmpx_lt_i16_e64 0x7f, v163
	s_xor_b32 s26, exec_lo, s26
	s_cbranch_execnz .LBB4_1173
; %bb.536:                              ;   in Loop: Header=BB4_142 Depth=2
	s_or_saveexec_b32 s26, s26
	v_mov_b32_e32 v162, s25
	s_xor_b32 exec_lo, exec_lo, s26
	s_cbranch_execnz .LBB4_1176
.LBB4_537:                              ;   in Loop: Header=BB4_142 Depth=2
	s_or_b32 exec_lo, exec_lo, s26
	s_and_saveexec_b32 s25, s11
	s_cbranch_execz .LBB4_539
.LBB4_538:                              ;   in Loop: Header=BB4_142 Depth=2
	v_bfe_u32 v165, v98, 3, 4
	s_delay_alu instid0(VALU_DEP_1) | instskip(SKIP_1) | instid1(VALU_DEP_1)
	v_cmp_eq_u32_e32 vcc_lo, 0, v165
	v_and_b32_e32 v162, 7, v98
	v_clz_i32_u32_e32 v163, v162
	s_delay_alu instid0(VALU_DEP_1) | instskip(NEXT) | instid1(VALU_DEP_1)
	v_min_u32_e32 v163, 32, v163
	v_subrev_nc_u32_e32 v164, 28, v163
	v_sub_nc_u32_e32 v163, 29, v163
	s_delay_alu instid0(VALU_DEP_1) | instskip(SKIP_1) | instid1(VALU_DEP_2)
	v_dual_cndmask_b32 v163, v165, v163 :: v_dual_lshlrev_b32 v164, v164, v98
	v_lshlrev_b32_e32 v98, 24, v98
	v_and_b32_e32 v164, 7, v164
	s_delay_alu instid0(VALU_DEP_3) | instskip(NEXT) | instid1(VALU_DEP_3)
	v_lshl_add_u32 v163, v163, 23, 0x3b800000
	v_and_b32_e32 v98, 0x80000000, v98
	s_delay_alu instid0(VALU_DEP_3) | instskip(NEXT) | instid1(VALU_DEP_1)
	v_cndmask_b32_e32 v162, v162, v164, vcc_lo
	v_lshlrev_b32_e32 v162, 20, v162
	s_delay_alu instid0(VALU_DEP_1)
	v_or3_b32 v162, v98, v163, v162
.LBB4_539:                              ;   in Loop: Header=BB4_142 Depth=2
	s_or_b32 exec_lo, exec_lo, s25
	s_waitcnt vmcnt(1)
	v_and_b32_e32 v163, 0xff, v14
	s_mov_b32 s11, 0
	s_mov_b32 s26, exec_lo
                                        ; implicit-def: $sgpr25
	s_delay_alu instid0(VALU_DEP_1)
	v_cmpx_lt_i16_e64 0x7f, v163
	s_xor_b32 s26, exec_lo, s26
	s_cbranch_execnz .LBB4_1177
; %bb.540:                              ;   in Loop: Header=BB4_142 Depth=2
	s_or_saveexec_b32 s26, s26
	v_mov_b32_e32 v98, s25
	s_xor_b32 exec_lo, exec_lo, s26
	s_cbranch_execnz .LBB4_1180
.LBB4_541:                              ;   in Loop: Header=BB4_142 Depth=2
	s_or_b32 exec_lo, exec_lo, s26
	s_and_saveexec_b32 s25, s11
	s_cbranch_execz .LBB4_543
.LBB4_542:                              ;   in Loop: Header=BB4_142 Depth=2
	v_bfe_u32 v165, v14, 3, 4
	v_lshlrev_b32_e32 v166, 24, v14
	s_delay_alu instid0(VALU_DEP_2) | instskip(SKIP_1) | instid1(VALU_DEP_1)
	v_cmp_eq_u32_e32 vcc_lo, 0, v165
	v_and_b32_e32 v98, 7, v14
	v_clz_i32_u32_e32 v163, v98
	s_delay_alu instid0(VALU_DEP_1) | instskip(NEXT) | instid1(VALU_DEP_1)
	v_min_u32_e32 v163, 32, v163
	v_subrev_nc_u32_e32 v164, 28, v163
	v_sub_nc_u32_e32 v163, 29, v163
	s_delay_alu instid0(VALU_DEP_1) | instskip(NEXT) | instid1(VALU_DEP_1)
	v_dual_cndmask_b32 v163, v165, v163 :: v_dual_lshlrev_b32 v164, v164, v14
	v_and_b32_e32 v164, 7, v164
	s_delay_alu instid0(VALU_DEP_2) | instskip(NEXT) | instid1(VALU_DEP_2)
	v_lshl_add_u32 v163, v163, 23, 0x3b800000
	v_cndmask_b32_e32 v98, v98, v164, vcc_lo
	v_and_b32_e32 v164, 0x80000000, v166
	s_delay_alu instid0(VALU_DEP_2) | instskip(NEXT) | instid1(VALU_DEP_1)
	v_lshlrev_b32_e32 v98, 20, v98
	v_or3_b32 v98, v164, v163, v98
.LBB4_543:                              ;   in Loop: Header=BB4_142 Depth=2
	s_or_b32 exec_lo, exec_lo, s25
	s_delay_alu instid0(VALU_DEP_1) | instskip(NEXT) | instid1(VALU_DEP_1)
	v_add_f32_e32 v162, v162, v98
	v_and_b32_e32 v98, 0x7f800000, v162
	s_delay_alu instid0(VALU_DEP_1)
	v_cmp_ne_u32_e32 vcc_lo, 0x7f800000, v98
	v_mov_b32_e32 v98, 0x80
	s_and_saveexec_b32 s25, vcc_lo
	s_cbranch_execz .LBB4_551
; %bb.544:                              ;   in Loop: Header=BB4_142 Depth=2
	v_mov_b32_e32 v98, 0
	s_mov_b32 s26, exec_lo
	v_cmpx_ne_u32_e32 0, v162
	s_cbranch_execz .LBB4_550
; %bb.545:                              ;   in Loop: Header=BB4_142 Depth=2
	v_bfe_u32 v98, v162, 23, 8
	s_delay_alu instid0(VALU_DEP_1) | instskip(SKIP_1) | instid1(VALU_DEP_2)
	v_sub_nc_u32_e32 v164, 0x78, v98
	v_cmp_gt_u32_e32 vcc_lo, 0x79, v98
	v_dual_cndmask_b32 v164, 0, v164 :: v_dual_and_b32 v163, 0x7fffff, v162
	s_delay_alu instid0(VALU_DEP_1) | instskip(SKIP_2) | instid1(VALU_DEP_4)
	v_or_b32_e32 v165, 0x800000, v163
	v_cmp_eq_u32_e32 vcc_lo, 0, v98
	v_add_nc_u32_e32 v98, 0xffffff89, v98
	v_cndmask_b32_e64 v164, v164, 0x77, vcc_lo
	s_delay_alu instid0(VALU_DEP_4) | instskip(NEXT) | instid1(VALU_DEP_3)
	v_cndmask_b32_e32 v163, v165, v163, vcc_lo
	v_cndmask_b32_e64 v98, v98, 0xffffff8a, vcc_lo
	s_delay_alu instid0(VALU_DEP_3) | instskip(NEXT) | instid1(VALU_DEP_3)
	v_lshl_add_u32 v165, 0x100000, v164, -1
	v_lshrrev_b32_e32 v166, v164, v163
	v_lshlrev_b32_e64 v176, v164, 0x80000
	s_delay_alu instid0(VALU_DEP_4) | instskip(NEXT) | instid1(VALU_DEP_4)
	v_add_nc_u32_e32 v164, v164, v98
	v_and_b32_e32 v163, v165, v163
	s_delay_alu instid0(VALU_DEP_4) | instskip(NEXT) | instid1(VALU_DEP_2)
	v_bfe_u32 v167, v166, 20, 1
	v_cmp_eq_u32_e64 s11, v163, v176
	s_delay_alu instid0(VALU_DEP_2) | instskip(NEXT) | instid1(VALU_DEP_1)
	v_add_nc_u32_e32 v165, -1, v167
	v_cndmask_b32_e64 v163, 0, v165, s11
	v_lshrrev_b32_e32 v165, 23, v166
	s_mov_b32 s11, exec_lo
	s_delay_alu instid0(VALU_DEP_2) | instskip(NEXT) | instid1(VALU_DEP_2)
	v_add_nc_u32_e32 v163, v163, v166
	v_xor_b32_e32 v165, 1, v165
	s_delay_alu instid0(VALU_DEP_2) | instskip(NEXT) | instid1(VALU_DEP_1)
	v_and_b32_e32 v98, 0xfffff, v163
	v_add_nc_u32_e32 v163, v98, v166
                                        ; implicit-def: $vgpr98
	s_delay_alu instid0(VALU_DEP_3)
	v_cmpx_ne_u32_e64 v164, v165
	s_xor_b32 s11, exec_lo, s11
; %bb.546:                              ;   in Loop: Header=BB4_142 Depth=2
	s_delay_alu instid0(VALU_DEP_2) | instskip(SKIP_2) | instid1(VALU_DEP_2)
	v_cmp_lt_u32_e32 vcc_lo, 0xffffff, v163
	v_sub_nc_u32_e32 v98, v164, v165
	v_cndmask_b32_e64 v164, 0, 1, vcc_lo
	v_add_co_ci_u32_e32 v98, vcc_lo, 0, v98, vcc_lo
	s_delay_alu instid0(VALU_DEP_2)
	v_lshrrev_b32_e32 v163, v164, v163
; %bb.547:                              ;   in Loop: Header=BB4_142 Depth=2
	s_and_not1_saveexec_b32 s11, s11
; %bb.548:                              ;   in Loop: Header=BB4_142 Depth=2
	s_delay_alu instid0(VALU_DEP_1)
	v_bfe_u32 v98, v163, 23, 1
; %bb.549:                              ;   in Loop: Header=BB4_142 Depth=2
	s_or_b32 exec_lo, exec_lo, s11
	v_lshrrev_b32_e32 v163, 20, v163
	s_delay_alu instid0(VALU_DEP_2) | instskip(SKIP_2) | instid1(VALU_DEP_2)
	v_cmp_gt_i32_e32 vcc_lo, 16, v98
	v_lshrrev_b32_e32 v162, 24, v162
	v_min_i32_e32 v164, 15, v98
	v_dual_cndmask_b32 v163, 7, v163 :: v_dual_and_b32 v162, 0x80, v162
	s_delay_alu instid0(VALU_DEP_2) | instskip(NEXT) | instid1(VALU_DEP_2)
	v_lshlrev_b32_e32 v164, 3, v164
	v_or_b32_e32 v98, v98, v163
	s_delay_alu instid0(VALU_DEP_1) | instskip(SKIP_1) | instid1(VALU_DEP_1)
	v_cmp_ne_u32_e32 vcc_lo, 0, v98
	v_and_b32_e32 v165, 7, v163
	v_or3_b32 v162, v164, v162, v165
	s_delay_alu instid0(VALU_DEP_1)
	v_cndmask_b32_e32 v98, 0, v162, vcc_lo
.LBB4_550:                              ;   in Loop: Header=BB4_142 Depth=2
	s_or_b32 exec_lo, exec_lo, s26
.LBB4_551:                              ;   in Loop: Header=BB4_142 Depth=2
	s_delay_alu instid0(SALU_CYCLE_1) | instskip(SKIP_3) | instid1(VALU_DEP_1)
	s_or_b32 exec_lo, exec_lo, s25
	v_and_b32_e32 v163, 0xff, v102
	s_mov_b32 s11, 0
	s_mov_b32 s26, exec_lo
                                        ; implicit-def: $sgpr25
	v_cmpx_lt_i16_e64 0x7f, v163
	s_xor_b32 s26, exec_lo, s26
	s_cbranch_execnz .LBB4_1181
; %bb.552:                              ;   in Loop: Header=BB4_142 Depth=2
	s_or_saveexec_b32 s26, s26
	v_mov_b32_e32 v162, s25
	s_xor_b32 exec_lo, exec_lo, s26
	s_cbranch_execnz .LBB4_1184
.LBB4_553:                              ;   in Loop: Header=BB4_142 Depth=2
	s_or_b32 exec_lo, exec_lo, s26
	s_and_saveexec_b32 s25, s11
	s_cbranch_execz .LBB4_555
.LBB4_554:                              ;   in Loop: Header=BB4_142 Depth=2
	v_bfe_u32 v165, v102, 3, 4
	s_delay_alu instid0(VALU_DEP_1) | instskip(SKIP_1) | instid1(VALU_DEP_1)
	v_cmp_eq_u32_e32 vcc_lo, 0, v165
	v_and_b32_e32 v162, 7, v102
	v_clz_i32_u32_e32 v163, v162
	s_delay_alu instid0(VALU_DEP_1) | instskip(NEXT) | instid1(VALU_DEP_1)
	v_min_u32_e32 v163, 32, v163
	v_subrev_nc_u32_e32 v164, 28, v163
	v_sub_nc_u32_e32 v163, 29, v163
	s_delay_alu instid0(VALU_DEP_1) | instskip(SKIP_1) | instid1(VALU_DEP_2)
	v_dual_cndmask_b32 v163, v165, v163 :: v_dual_lshlrev_b32 v164, v164, v102
	v_lshlrev_b32_e32 v102, 24, v102
	v_and_b32_e32 v164, 7, v164
	s_delay_alu instid0(VALU_DEP_3) | instskip(NEXT) | instid1(VALU_DEP_3)
	v_lshl_add_u32 v163, v163, 23, 0x3b800000
	v_and_b32_e32 v102, 0x80000000, v102
	s_delay_alu instid0(VALU_DEP_3) | instskip(NEXT) | instid1(VALU_DEP_1)
	v_cndmask_b32_e32 v162, v162, v164, vcc_lo
	v_lshlrev_b32_e32 v162, 20, v162
	s_delay_alu instid0(VALU_DEP_1)
	v_or3_b32 v162, v102, v163, v162
.LBB4_555:                              ;   in Loop: Header=BB4_142 Depth=2
	s_or_b32 exec_lo, exec_lo, s25
	v_lshrrev_b16 v102, 8, v14
	s_mov_b32 s11, 0
	s_mov_b32 s26, exec_lo
                                        ; implicit-def: $sgpr25
	s_delay_alu instid0(VALU_DEP_1)
	v_cmpx_lt_i16_e32 0x7f, v102
	s_xor_b32 s26, exec_lo, s26
	s_cbranch_execnz .LBB4_1185
; %bb.556:                              ;   in Loop: Header=BB4_142 Depth=2
	s_or_saveexec_b32 s26, s26
	v_mov_b32_e32 v163, s25
	s_xor_b32 exec_lo, exec_lo, s26
	s_cbranch_execnz .LBB4_1188
.LBB4_557:                              ;   in Loop: Header=BB4_142 Depth=2
	s_or_b32 exec_lo, exec_lo, s26
	s_and_saveexec_b32 s25, s11
	s_cbranch_execz .LBB4_559
.LBB4_558:                              ;   in Loop: Header=BB4_142 Depth=2
	v_and_b32_e32 v163, 0xffff, v102
	v_lshlrev_b32_e32 v102, 24, v102
	s_delay_alu instid0(VALU_DEP_2) | instskip(NEXT) | instid1(VALU_DEP_2)
	v_and_b32_e32 v164, 7, v163
	v_and_b32_e32 v102, 0x80000000, v102
	s_delay_alu instid0(VALU_DEP_2) | instskip(NEXT) | instid1(VALU_DEP_1)
	v_clz_i32_u32_e32 v165, v164
	v_min_u32_e32 v165, 32, v165
	s_delay_alu instid0(VALU_DEP_1) | instskip(SKIP_1) | instid1(VALU_DEP_2)
	v_subrev_nc_u32_e32 v166, 28, v165
	v_sub_nc_u32_e32 v165, 29, v165
	v_lshlrev_b32_e32 v166, v166, v163
	v_bfe_u32 v163, v163, 3, 4
	s_delay_alu instid0(VALU_DEP_2) | instskip(NEXT) | instid1(VALU_DEP_2)
	v_and_b32_e32 v166, 7, v166
	v_cmp_eq_u32_e32 vcc_lo, 0, v163
	s_delay_alu instid0(VALU_DEP_2) | instskip(NEXT) | instid1(VALU_DEP_1)
	v_dual_cndmask_b32 v163, v163, v165 :: v_dual_cndmask_b32 v164, v164, v166
	v_lshl_add_u32 v163, v163, 23, 0x3b800000
	s_delay_alu instid0(VALU_DEP_2) | instskip(NEXT) | instid1(VALU_DEP_1)
	v_lshlrev_b32_e32 v164, 20, v164
	v_or3_b32 v163, v102, v163, v164
.LBB4_559:                              ;   in Loop: Header=BB4_142 Depth=2
	s_or_b32 exec_lo, exec_lo, s25
	s_delay_alu instid0(VALU_DEP_1) | instskip(NEXT) | instid1(VALU_DEP_1)
	v_add_f32_e32 v162, v162, v163
	v_and_b32_e32 v102, 0x7f800000, v162
	s_delay_alu instid0(VALU_DEP_1)
	v_cmp_ne_u32_e32 vcc_lo, 0x7f800000, v102
	v_mov_b32_e32 v102, 0x80
	s_and_saveexec_b32 s25, vcc_lo
	s_cbranch_execz .LBB4_567
; %bb.560:                              ;   in Loop: Header=BB4_142 Depth=2
	v_mov_b32_e32 v102, 0
	s_mov_b32 s26, exec_lo
	v_cmpx_ne_u32_e32 0, v162
	s_cbranch_execz .LBB4_566
; %bb.561:                              ;   in Loop: Header=BB4_142 Depth=2
	v_bfe_u32 v102, v162, 23, 8
	s_delay_alu instid0(VALU_DEP_1) | instskip(SKIP_1) | instid1(VALU_DEP_2)
	v_sub_nc_u32_e32 v164, 0x78, v102
	v_cmp_gt_u32_e32 vcc_lo, 0x79, v102
	v_dual_cndmask_b32 v164, 0, v164 :: v_dual_and_b32 v163, 0x7fffff, v162
	s_delay_alu instid0(VALU_DEP_1) | instskip(SKIP_2) | instid1(VALU_DEP_4)
	v_or_b32_e32 v165, 0x800000, v163
	v_cmp_eq_u32_e32 vcc_lo, 0, v102
	v_add_nc_u32_e32 v102, 0xffffff89, v102
	v_cndmask_b32_e64 v164, v164, 0x77, vcc_lo
	s_delay_alu instid0(VALU_DEP_4) | instskip(NEXT) | instid1(VALU_DEP_3)
	v_cndmask_b32_e32 v163, v165, v163, vcc_lo
	v_cndmask_b32_e64 v102, v102, 0xffffff8a, vcc_lo
	s_delay_alu instid0(VALU_DEP_3) | instskip(NEXT) | instid1(VALU_DEP_3)
	v_lshl_add_u32 v165, 0x100000, v164, -1
	v_lshrrev_b32_e32 v166, v164, v163
	v_lshlrev_b32_e64 v176, v164, 0x80000
	s_delay_alu instid0(VALU_DEP_4) | instskip(NEXT) | instid1(VALU_DEP_4)
	v_add_nc_u32_e32 v164, v164, v102
	v_and_b32_e32 v163, v165, v163
	s_delay_alu instid0(VALU_DEP_4) | instskip(NEXT) | instid1(VALU_DEP_2)
	v_bfe_u32 v167, v166, 20, 1
	v_cmp_eq_u32_e64 s11, v163, v176
	s_delay_alu instid0(VALU_DEP_2) | instskip(NEXT) | instid1(VALU_DEP_1)
	v_add_nc_u32_e32 v165, -1, v167
	v_cndmask_b32_e64 v163, 0, v165, s11
	v_lshrrev_b32_e32 v165, 23, v166
	s_mov_b32 s11, exec_lo
	s_delay_alu instid0(VALU_DEP_2) | instskip(NEXT) | instid1(VALU_DEP_2)
	v_add_nc_u32_e32 v163, v163, v166
	v_xor_b32_e32 v165, 1, v165
	s_delay_alu instid0(VALU_DEP_2) | instskip(NEXT) | instid1(VALU_DEP_1)
	v_and_b32_e32 v102, 0xfffff, v163
	v_add_nc_u32_e32 v163, v102, v166
                                        ; implicit-def: $vgpr102
	s_delay_alu instid0(VALU_DEP_3)
	v_cmpx_ne_u32_e64 v164, v165
	s_xor_b32 s11, exec_lo, s11
; %bb.562:                              ;   in Loop: Header=BB4_142 Depth=2
	s_delay_alu instid0(VALU_DEP_2) | instskip(SKIP_2) | instid1(VALU_DEP_2)
	v_cmp_lt_u32_e32 vcc_lo, 0xffffff, v163
	v_sub_nc_u32_e32 v102, v164, v165
	v_cndmask_b32_e64 v164, 0, 1, vcc_lo
	v_add_co_ci_u32_e32 v102, vcc_lo, 0, v102, vcc_lo
	s_delay_alu instid0(VALU_DEP_2)
	v_lshrrev_b32_e32 v163, v164, v163
; %bb.563:                              ;   in Loop: Header=BB4_142 Depth=2
	s_and_not1_saveexec_b32 s11, s11
; %bb.564:                              ;   in Loop: Header=BB4_142 Depth=2
	s_delay_alu instid0(VALU_DEP_1)
	v_bfe_u32 v102, v163, 23, 1
; %bb.565:                              ;   in Loop: Header=BB4_142 Depth=2
	s_or_b32 exec_lo, exec_lo, s11
	v_lshrrev_b32_e32 v163, 20, v163
	s_delay_alu instid0(VALU_DEP_2) | instskip(SKIP_2) | instid1(VALU_DEP_2)
	v_cmp_gt_i32_e32 vcc_lo, 16, v102
	v_lshrrev_b32_e32 v162, 24, v162
	v_min_i32_e32 v164, 15, v102
	v_dual_cndmask_b32 v163, 7, v163 :: v_dual_and_b32 v162, 0x80, v162
	s_delay_alu instid0(VALU_DEP_2) | instskip(NEXT) | instid1(VALU_DEP_2)
	v_lshlrev_b32_e32 v164, 3, v164
	v_or_b32_e32 v102, v102, v163
	s_delay_alu instid0(VALU_DEP_1) | instskip(SKIP_1) | instid1(VALU_DEP_1)
	v_cmp_ne_u32_e32 vcc_lo, 0, v102
	v_and_b32_e32 v165, 7, v163
	v_or3_b32 v162, v164, v162, v165
	s_delay_alu instid0(VALU_DEP_1)
	v_cndmask_b32_e32 v102, 0, v162, vcc_lo
.LBB4_566:                              ;   in Loop: Header=BB4_142 Depth=2
	s_or_b32 exec_lo, exec_lo, s26
.LBB4_567:                              ;   in Loop: Header=BB4_142 Depth=2
	s_delay_alu instid0(SALU_CYCLE_1) | instskip(SKIP_3) | instid1(VALU_DEP_1)
	s_or_b32 exec_lo, exec_lo, s25
	v_and_b32_e32 v163, 0xff, v116
	s_mov_b32 s11, 0
	s_mov_b32 s26, exec_lo
                                        ; implicit-def: $sgpr25
	v_cmpx_lt_i16_e64 0x7f, v163
	s_xor_b32 s26, exec_lo, s26
	s_cbranch_execnz .LBB4_1189
; %bb.568:                              ;   in Loop: Header=BB4_142 Depth=2
	s_or_saveexec_b32 s26, s26
	v_mov_b32_e32 v162, s25
	s_xor_b32 exec_lo, exec_lo, s26
	s_cbranch_execnz .LBB4_1192
.LBB4_569:                              ;   in Loop: Header=BB4_142 Depth=2
	s_or_b32 exec_lo, exec_lo, s26
	s_and_saveexec_b32 s25, s11
	s_cbranch_execz .LBB4_571
.LBB4_570:                              ;   in Loop: Header=BB4_142 Depth=2
	v_bfe_u32 v165, v116, 3, 4
	s_delay_alu instid0(VALU_DEP_1) | instskip(SKIP_1) | instid1(VALU_DEP_1)
	v_cmp_eq_u32_e32 vcc_lo, 0, v165
	v_and_b32_e32 v162, 7, v116
	v_clz_i32_u32_e32 v163, v162
	s_delay_alu instid0(VALU_DEP_1) | instskip(NEXT) | instid1(VALU_DEP_1)
	v_min_u32_e32 v163, 32, v163
	v_subrev_nc_u32_e32 v164, 28, v163
	v_sub_nc_u32_e32 v163, 29, v163
	s_delay_alu instid0(VALU_DEP_1) | instskip(SKIP_1) | instid1(VALU_DEP_2)
	v_dual_cndmask_b32 v163, v165, v163 :: v_dual_lshlrev_b32 v164, v164, v116
	v_lshlrev_b32_e32 v116, 24, v116
	v_and_b32_e32 v164, 7, v164
	s_delay_alu instid0(VALU_DEP_3) | instskip(NEXT) | instid1(VALU_DEP_3)
	v_lshl_add_u32 v163, v163, 23, 0x3b800000
	v_and_b32_e32 v116, 0x80000000, v116
	s_delay_alu instid0(VALU_DEP_3) | instskip(NEXT) | instid1(VALU_DEP_1)
	v_cndmask_b32_e32 v162, v162, v164, vcc_lo
	v_lshlrev_b32_e32 v162, 20, v162
	s_delay_alu instid0(VALU_DEP_1)
	v_or3_b32 v162, v116, v163, v162
.LBB4_571:                              ;   in Loop: Header=BB4_142 Depth=2
	s_or_b32 exec_lo, exec_lo, s25
	v_lshrrev_b32_e32 v116, 16, v14
	s_mov_b32 s11, 0
	s_mov_b32 s26, exec_lo
                                        ; implicit-def: $sgpr25
	s_delay_alu instid0(VALU_DEP_1) | instskip(NEXT) | instid1(VALU_DEP_1)
	v_and_b32_e32 v164, 0xff, v116
	v_cmpx_lt_i16_e64 0x7f, v164
	s_xor_b32 s26, exec_lo, s26
	s_cbranch_execnz .LBB4_1193
; %bb.572:                              ;   in Loop: Header=BB4_142 Depth=2
	s_or_saveexec_b32 s26, s26
	v_mov_b32_e32 v163, s25
	s_xor_b32 exec_lo, exec_lo, s26
	s_cbranch_execnz .LBB4_1196
.LBB4_573:                              ;   in Loop: Header=BB4_142 Depth=2
	s_or_b32 exec_lo, exec_lo, s26
	s_and_saveexec_b32 s25, s11
	s_cbranch_execz .LBB4_575
.LBB4_574:                              ;   in Loop: Header=BB4_142 Depth=2
	v_bfe_u32 v163, v14, 16, 3
	v_lshlrev_b32_e32 v166, 8, v14
	s_delay_alu instid0(VALU_DEP_2) | instskip(NEXT) | instid1(VALU_DEP_1)
	v_clz_i32_u32_e32 v164, v163
	v_min_u32_e32 v164, 32, v164
	s_delay_alu instid0(VALU_DEP_1) | instskip(SKIP_1) | instid1(VALU_DEP_2)
	v_subrev_nc_u32_e32 v165, 28, v164
	v_sub_nc_u32_e32 v164, 29, v164
	v_lshlrev_b32_e32 v116, v165, v116
	v_bfe_u32 v165, v14, 19, 4
	s_delay_alu instid0(VALU_DEP_2) | instskip(NEXT) | instid1(VALU_DEP_2)
	v_and_b32_e32 v116, 7, v116
	v_cmp_eq_u32_e32 vcc_lo, 0, v165
	v_cndmask_b32_e32 v164, v165, v164, vcc_lo
	s_delay_alu instid0(VALU_DEP_3) | instskip(NEXT) | instid1(VALU_DEP_2)
	v_dual_cndmask_b32 v116, v163, v116 :: v_dual_and_b32 v163, 0x80000000, v166
	v_lshl_add_u32 v164, v164, 23, 0x3b800000
	s_delay_alu instid0(VALU_DEP_2) | instskip(NEXT) | instid1(VALU_DEP_1)
	v_lshlrev_b32_e32 v116, 20, v116
	v_or3_b32 v163, v163, v164, v116
.LBB4_575:                              ;   in Loop: Header=BB4_142 Depth=2
	s_or_b32 exec_lo, exec_lo, s25
	s_delay_alu instid0(VALU_DEP_1) | instskip(NEXT) | instid1(VALU_DEP_1)
	v_add_f32_e32 v162, v162, v163
	v_and_b32_e32 v116, 0x7f800000, v162
	s_delay_alu instid0(VALU_DEP_1)
	v_cmp_ne_u32_e32 vcc_lo, 0x7f800000, v116
	v_mov_b32_e32 v116, 0x80
	s_and_saveexec_b32 s25, vcc_lo
	s_cbranch_execz .LBB4_583
; %bb.576:                              ;   in Loop: Header=BB4_142 Depth=2
	v_mov_b32_e32 v116, 0
	s_mov_b32 s26, exec_lo
	v_cmpx_ne_u32_e32 0, v162
	s_cbranch_execz .LBB4_582
; %bb.577:                              ;   in Loop: Header=BB4_142 Depth=2
	v_bfe_u32 v116, v162, 23, 8
	s_delay_alu instid0(VALU_DEP_1) | instskip(SKIP_1) | instid1(VALU_DEP_2)
	v_sub_nc_u32_e32 v164, 0x78, v116
	v_cmp_gt_u32_e32 vcc_lo, 0x79, v116
	v_dual_cndmask_b32 v164, 0, v164 :: v_dual_and_b32 v163, 0x7fffff, v162
	s_delay_alu instid0(VALU_DEP_1) | instskip(SKIP_2) | instid1(VALU_DEP_4)
	v_or_b32_e32 v165, 0x800000, v163
	v_cmp_eq_u32_e32 vcc_lo, 0, v116
	v_add_nc_u32_e32 v116, 0xffffff89, v116
	v_cndmask_b32_e64 v164, v164, 0x77, vcc_lo
	s_delay_alu instid0(VALU_DEP_4) | instskip(NEXT) | instid1(VALU_DEP_3)
	v_cndmask_b32_e32 v163, v165, v163, vcc_lo
	v_cndmask_b32_e64 v116, v116, 0xffffff8a, vcc_lo
	s_delay_alu instid0(VALU_DEP_3) | instskip(NEXT) | instid1(VALU_DEP_3)
	v_lshl_add_u32 v165, 0x100000, v164, -1
	v_lshrrev_b32_e32 v166, v164, v163
	v_lshlrev_b32_e64 v176, v164, 0x80000
	s_delay_alu instid0(VALU_DEP_4) | instskip(NEXT) | instid1(VALU_DEP_4)
	v_add_nc_u32_e32 v164, v164, v116
	v_and_b32_e32 v163, v165, v163
	s_delay_alu instid0(VALU_DEP_4) | instskip(NEXT) | instid1(VALU_DEP_2)
	v_bfe_u32 v167, v166, 20, 1
	v_cmp_eq_u32_e64 s11, v163, v176
	s_delay_alu instid0(VALU_DEP_2) | instskip(NEXT) | instid1(VALU_DEP_1)
	v_add_nc_u32_e32 v165, -1, v167
	v_cndmask_b32_e64 v163, 0, v165, s11
	v_lshrrev_b32_e32 v165, 23, v166
	s_mov_b32 s11, exec_lo
	s_delay_alu instid0(VALU_DEP_2) | instskip(NEXT) | instid1(VALU_DEP_2)
	v_add_nc_u32_e32 v163, v163, v166
	v_xor_b32_e32 v165, 1, v165
	s_delay_alu instid0(VALU_DEP_2) | instskip(NEXT) | instid1(VALU_DEP_1)
	v_and_b32_e32 v116, 0xfffff, v163
	v_add_nc_u32_e32 v163, v116, v166
                                        ; implicit-def: $vgpr116
	s_delay_alu instid0(VALU_DEP_3)
	v_cmpx_ne_u32_e64 v164, v165
	s_xor_b32 s11, exec_lo, s11
; %bb.578:                              ;   in Loop: Header=BB4_142 Depth=2
	s_delay_alu instid0(VALU_DEP_2) | instskip(SKIP_2) | instid1(VALU_DEP_2)
	v_cmp_lt_u32_e32 vcc_lo, 0xffffff, v163
	v_sub_nc_u32_e32 v116, v164, v165
	v_cndmask_b32_e64 v164, 0, 1, vcc_lo
	v_add_co_ci_u32_e32 v116, vcc_lo, 0, v116, vcc_lo
	s_delay_alu instid0(VALU_DEP_2)
	v_lshrrev_b32_e32 v163, v164, v163
; %bb.579:                              ;   in Loop: Header=BB4_142 Depth=2
	s_and_not1_saveexec_b32 s11, s11
; %bb.580:                              ;   in Loop: Header=BB4_142 Depth=2
	s_delay_alu instid0(VALU_DEP_1)
	v_bfe_u32 v116, v163, 23, 1
; %bb.581:                              ;   in Loop: Header=BB4_142 Depth=2
	s_or_b32 exec_lo, exec_lo, s11
	v_lshrrev_b32_e32 v163, 20, v163
	s_delay_alu instid0(VALU_DEP_2) | instskip(SKIP_2) | instid1(VALU_DEP_2)
	v_cmp_gt_i32_e32 vcc_lo, 16, v116
	v_lshrrev_b32_e32 v162, 24, v162
	v_min_i32_e32 v164, 15, v116
	v_dual_cndmask_b32 v163, 7, v163 :: v_dual_and_b32 v162, 0x80, v162
	s_delay_alu instid0(VALU_DEP_2) | instskip(NEXT) | instid1(VALU_DEP_2)
	v_lshlrev_b32_e32 v164, 3, v164
	v_or_b32_e32 v116, v116, v163
	s_delay_alu instid0(VALU_DEP_1) | instskip(SKIP_1) | instid1(VALU_DEP_1)
	v_cmp_ne_u32_e32 vcc_lo, 0, v116
	v_and_b32_e32 v165, 7, v163
	v_or3_b32 v162, v164, v162, v165
	s_delay_alu instid0(VALU_DEP_1)
	v_cndmask_b32_e32 v116, 0, v162, vcc_lo
.LBB4_582:                              ;   in Loop: Header=BB4_142 Depth=2
	s_or_b32 exec_lo, exec_lo, s26
.LBB4_583:                              ;   in Loop: Header=BB4_142 Depth=2
	s_delay_alu instid0(SALU_CYCLE_1) | instskip(SKIP_3) | instid1(VALU_DEP_1)
	s_or_b32 exec_lo, exec_lo, s25
	v_and_b32_e32 v163, 0xff, v134
	s_mov_b32 s11, 0
	s_mov_b32 s26, exec_lo
                                        ; implicit-def: $sgpr25
	v_cmpx_lt_i16_e64 0x7f, v163
	s_xor_b32 s26, exec_lo, s26
	s_cbranch_execnz .LBB4_1197
; %bb.584:                              ;   in Loop: Header=BB4_142 Depth=2
	s_or_saveexec_b32 s26, s26
	v_mov_b32_e32 v162, s25
	s_xor_b32 exec_lo, exec_lo, s26
	s_cbranch_execnz .LBB4_1200
.LBB4_585:                              ;   in Loop: Header=BB4_142 Depth=2
	s_or_b32 exec_lo, exec_lo, s26
	s_and_saveexec_b32 s25, s11
	s_cbranch_execz .LBB4_587
.LBB4_586:                              ;   in Loop: Header=BB4_142 Depth=2
	v_lshlrev_b32_e32 v134, 8, v134
	s_delay_alu instid0(VALU_DEP_1) | instskip(SKIP_1) | instid1(VALU_DEP_2)
	v_and_b32_e32 v162, 0xff00, v134
	v_bfe_u32 v134, v134, 11, 4
	v_bfe_u32 v164, v162, 8, 3
	s_delay_alu instid0(VALU_DEP_2) | instskip(SKIP_1) | instid1(VALU_DEP_3)
	v_cmp_eq_u32_e32 vcc_lo, 0, v134
	v_lshlrev_b32_e32 v162, 16, v162
	v_clz_i32_u32_e32 v165, v164
	s_delay_alu instid0(VALU_DEP_2) | instskip(NEXT) | instid1(VALU_DEP_2)
	v_and_b32_e32 v162, 0x80000000, v162
	v_min_u32_e32 v165, 32, v165
	s_delay_alu instid0(VALU_DEP_1) | instskip(SKIP_1) | instid1(VALU_DEP_2)
	v_subrev_nc_u32_e32 v166, 28, v165
	v_sub_nc_u32_e32 v165, 29, v165
	v_lshlrev_b32_e32 v163, v166, v163
	s_delay_alu instid0(VALU_DEP_1) | instskip(NEXT) | instid1(VALU_DEP_1)
	v_dual_cndmask_b32 v134, v134, v165 :: v_dual_and_b32 v163, 7, v163
	v_lshl_add_u32 v134, v134, 23, 0x3b800000
	s_delay_alu instid0(VALU_DEP_2) | instskip(NEXT) | instid1(VALU_DEP_1)
	v_cndmask_b32_e32 v163, v164, v163, vcc_lo
	v_lshlrev_b32_e32 v163, 20, v163
	s_delay_alu instid0(VALU_DEP_1)
	v_or3_b32 v162, v162, v134, v163
.LBB4_587:                              ;   in Loop: Header=BB4_142 Depth=2
	s_or_b32 exec_lo, exec_lo, s25
	v_lshrrev_b32_e32 v134, 24, v14
	s_mov_b32 s11, 0
	s_mov_b32 s26, exec_lo
                                        ; implicit-def: $sgpr25
	s_delay_alu instid0(VALU_DEP_1)
	v_cmpx_lt_i16_e64 0x7f, v134
	s_xor_b32 s26, exec_lo, s26
	s_cbranch_execnz .LBB4_1201
; %bb.588:                              ;   in Loop: Header=BB4_142 Depth=2
	s_or_saveexec_b32 s26, s26
	v_mov_b32_e32 v163, s25
	s_xor_b32 exec_lo, exec_lo, s26
	s_cbranch_execnz .LBB4_1204
.LBB4_589:                              ;   in Loop: Header=BB4_142 Depth=2
	s_or_b32 exec_lo, exec_lo, s26
	s_and_saveexec_b32 s25, s11
	s_cbranch_execz .LBB4_591
.LBB4_590:                              ;   in Loop: Header=BB4_142 Depth=2
	v_bfe_u32 v163, v14, 24, 3
	s_delay_alu instid0(VALU_DEP_1) | instskip(NEXT) | instid1(VALU_DEP_1)
	v_clz_i32_u32_e32 v164, v163
	v_min_u32_e32 v164, 32, v164
	s_delay_alu instid0(VALU_DEP_1) | instskip(SKIP_1) | instid1(VALU_DEP_2)
	v_subrev_nc_u32_e32 v165, 28, v164
	v_sub_nc_u32_e32 v164, 29, v164
	v_lshlrev_b32_e32 v134, v165, v134
	v_bfe_u32 v165, v14, 27, 4
	v_and_b32_e32 v14, 0x80000000, v14
	s_delay_alu instid0(VALU_DEP_3) | instskip(NEXT) | instid1(VALU_DEP_3)
	v_and_b32_e32 v134, 7, v134
	v_cmp_eq_u32_e32 vcc_lo, 0, v165
	v_cndmask_b32_e32 v164, v165, v164, vcc_lo
	s_delay_alu instid0(VALU_DEP_3) | instskip(NEXT) | instid1(VALU_DEP_2)
	v_cndmask_b32_e32 v134, v163, v134, vcc_lo
	v_lshl_add_u32 v163, v164, 23, 0x3b800000
	s_delay_alu instid0(VALU_DEP_2) | instskip(NEXT) | instid1(VALU_DEP_1)
	v_lshlrev_b32_e32 v134, 20, v134
	v_or3_b32 v163, v14, v163, v134
.LBB4_591:                              ;   in Loop: Header=BB4_142 Depth=2
	s_or_b32 exec_lo, exec_lo, s25
	s_delay_alu instid0(VALU_DEP_1) | instskip(NEXT) | instid1(VALU_DEP_1)
	v_add_f32_e32 v134, v162, v163
	v_and_b32_e32 v14, 0x7f800000, v134
	s_delay_alu instid0(VALU_DEP_1)
	v_cmp_ne_u32_e32 vcc_lo, 0x7f800000, v14
	v_mov_b32_e32 v14, 0x80
	s_and_saveexec_b32 s25, vcc_lo
	s_cbranch_execz .LBB4_599
; %bb.592:                              ;   in Loop: Header=BB4_142 Depth=2
	v_mov_b32_e32 v14, 0
	s_mov_b32 s26, exec_lo
	v_cmpx_ne_u32_e32 0, v134
	s_cbranch_execz .LBB4_598
; %bb.593:                              ;   in Loop: Header=BB4_142 Depth=2
	v_bfe_u32 v14, v134, 23, 8
	s_delay_alu instid0(VALU_DEP_1) | instskip(SKIP_1) | instid1(VALU_DEP_2)
	v_sub_nc_u32_e32 v163, 0x78, v14
	v_cmp_gt_u32_e32 vcc_lo, 0x79, v14
	v_dual_cndmask_b32 v163, 0, v163 :: v_dual_and_b32 v162, 0x7fffff, v134
	s_delay_alu instid0(VALU_DEP_1) | instskip(SKIP_2) | instid1(VALU_DEP_4)
	v_or_b32_e32 v164, 0x800000, v162
	v_cmp_eq_u32_e32 vcc_lo, 0, v14
	v_add_nc_u32_e32 v14, 0xffffff89, v14
	v_cndmask_b32_e64 v163, v163, 0x77, vcc_lo
	s_delay_alu instid0(VALU_DEP_4) | instskip(NEXT) | instid1(VALU_DEP_3)
	v_cndmask_b32_e32 v162, v164, v162, vcc_lo
	v_cndmask_b32_e64 v14, v14, 0xffffff8a, vcc_lo
	s_delay_alu instid0(VALU_DEP_3) | instskip(NEXT) | instid1(VALU_DEP_3)
	v_lshl_add_u32 v164, 0x100000, v163, -1
	v_lshrrev_b32_e32 v165, v163, v162
	v_lshlrev_b32_e64 v167, v163, 0x80000
	s_delay_alu instid0(VALU_DEP_4) | instskip(NEXT) | instid1(VALU_DEP_4)
	v_add_nc_u32_e32 v163, v163, v14
	v_and_b32_e32 v162, v164, v162
	s_delay_alu instid0(VALU_DEP_4) | instskip(NEXT) | instid1(VALU_DEP_2)
	v_bfe_u32 v166, v165, 20, 1
	v_cmp_eq_u32_e64 s11, v162, v167
	s_delay_alu instid0(VALU_DEP_2) | instskip(NEXT) | instid1(VALU_DEP_1)
	v_add_nc_u32_e32 v164, -1, v166
	v_cndmask_b32_e64 v162, 0, v164, s11
	v_lshrrev_b32_e32 v164, 23, v165
	s_mov_b32 s11, exec_lo
	s_delay_alu instid0(VALU_DEP_2) | instskip(NEXT) | instid1(VALU_DEP_2)
	v_add_nc_u32_e32 v162, v162, v165
	v_xor_b32_e32 v164, 1, v164
	s_delay_alu instid0(VALU_DEP_2) | instskip(NEXT) | instid1(VALU_DEP_1)
	v_and_b32_e32 v14, 0xfffff, v162
	v_add_nc_u32_e32 v162, v14, v165
                                        ; implicit-def: $vgpr14
	s_delay_alu instid0(VALU_DEP_3)
	v_cmpx_ne_u32_e64 v163, v164
	s_xor_b32 s11, exec_lo, s11
; %bb.594:                              ;   in Loop: Header=BB4_142 Depth=2
	s_delay_alu instid0(VALU_DEP_2) | instskip(SKIP_2) | instid1(VALU_DEP_2)
	v_cmp_lt_u32_e32 vcc_lo, 0xffffff, v162
	v_sub_nc_u32_e32 v14, v163, v164
	v_cndmask_b32_e64 v163, 0, 1, vcc_lo
	v_add_co_ci_u32_e32 v14, vcc_lo, 0, v14, vcc_lo
	s_delay_alu instid0(VALU_DEP_2)
	v_lshrrev_b32_e32 v162, v163, v162
; %bb.595:                              ;   in Loop: Header=BB4_142 Depth=2
	s_and_not1_saveexec_b32 s11, s11
; %bb.596:                              ;   in Loop: Header=BB4_142 Depth=2
	s_delay_alu instid0(VALU_DEP_1)
	v_bfe_u32 v14, v162, 23, 1
; %bb.597:                              ;   in Loop: Header=BB4_142 Depth=2
	s_or_b32 exec_lo, exec_lo, s11
	v_lshrrev_b32_e32 v162, 20, v162
	s_delay_alu instid0(VALU_DEP_2) | instskip(SKIP_2) | instid1(VALU_DEP_4)
	v_cmp_gt_i32_e32 vcc_lo, 16, v14
	v_lshrrev_b32_e32 v134, 24, v134
	v_min_i32_e32 v163, 15, v14
	v_cndmask_b32_e32 v162, 7, v162, vcc_lo
	s_delay_alu instid0(VALU_DEP_3) | instskip(NEXT) | instid1(VALU_DEP_3)
	v_and_b32_e32 v134, 0x80, v134
	v_lshlrev_b32_e32 v163, 3, v163
	s_delay_alu instid0(VALU_DEP_3) | instskip(SKIP_1) | instid1(VALU_DEP_2)
	v_and_b32_e32 v164, 7, v162
	v_or_b32_e32 v14, v14, v162
	v_or3_b32 v134, v163, v134, v164
	s_delay_alu instid0(VALU_DEP_2) | instskip(NEXT) | instid1(VALU_DEP_2)
	v_cmp_ne_u32_e32 vcc_lo, 0, v14
	v_cndmask_b32_e32 v14, 0, v134, vcc_lo
.LBB4_598:                              ;   in Loop: Header=BB4_142 Depth=2
	s_or_b32 exec_lo, exec_lo, s26
.LBB4_599:                              ;   in Loop: Header=BB4_142 Depth=2
	s_delay_alu instid0(SALU_CYCLE_1) | instskip(SKIP_3) | instid1(VALU_DEP_1)
	s_or_b32 exec_lo, exec_lo, s25
	v_or_b32_e32 v161, v161, v131
	s_mov_b32 s11, 0
	s_mov_b32 s26, exec_lo
                                        ; implicit-def: $sgpr25
	v_and_b32_e32 v134, 0xff, v161
	s_delay_alu instid0(VALU_DEP_1)
	v_cmpx_lt_i16_e64 0x7f, v134
	s_xor_b32 s26, exec_lo, s26
	s_cbranch_execnz .LBB4_1205
; %bb.600:                              ;   in Loop: Header=BB4_142 Depth=2
	s_or_saveexec_b32 s26, s26
	v_mov_b32_e32 v131, s25
	s_xor_b32 exec_lo, exec_lo, s26
	s_cbranch_execnz .LBB4_1208
.LBB4_601:                              ;   in Loop: Header=BB4_142 Depth=2
	s_or_b32 exec_lo, exec_lo, s26
	s_and_saveexec_b32 s25, s11
	s_cbranch_execz .LBB4_603
.LBB4_602:                              ;   in Loop: Header=BB4_142 Depth=2
	v_bfe_u32 v163, v161, 3, 4
	s_delay_alu instid0(VALU_DEP_1) | instskip(SKIP_1) | instid1(VALU_DEP_1)
	v_cmp_eq_u32_e32 vcc_lo, 0, v163
	v_and_b32_e32 v131, 7, v161
	v_clz_i32_u32_e32 v134, v131
	s_delay_alu instid0(VALU_DEP_1) | instskip(NEXT) | instid1(VALU_DEP_1)
	v_min_u32_e32 v134, 32, v134
	v_subrev_nc_u32_e32 v162, 28, v134
	v_sub_nc_u32_e32 v134, 29, v134
	s_delay_alu instid0(VALU_DEP_2) | instskip(NEXT) | instid1(VALU_DEP_2)
	v_lshlrev_b32_e32 v162, v162, v161
	v_cndmask_b32_e32 v134, v163, v134, vcc_lo
	s_delay_alu instid0(VALU_DEP_2) | instskip(SKIP_1) | instid1(VALU_DEP_3)
	v_and_b32_e32 v162, 7, v162
	v_lshlrev_b32_e32 v164, 24, v161
	v_lshl_add_u32 v134, v134, 23, 0x3b800000
	s_delay_alu instid0(VALU_DEP_2) | instskip(NEXT) | instid1(VALU_DEP_1)
	v_dual_cndmask_b32 v131, v131, v162 :: v_dual_and_b32 v162, 0x80000000, v164
	v_lshlrev_b32_e32 v131, 20, v131
	s_delay_alu instid0(VALU_DEP_1)
	v_or3_b32 v131, v162, v134, v131
.LBB4_603:                              ;   in Loop: Header=BB4_142 Depth=2
	s_or_b32 exec_lo, exec_lo, s25
	v_and_b32_e32 v162, 0xff, v15
	s_mov_b32 s11, 0
	s_mov_b32 s26, exec_lo
                                        ; implicit-def: $sgpr25
	s_delay_alu instid0(VALU_DEP_1)
	v_cmpx_lt_i16_e64 0x7f, v162
	s_xor_b32 s26, exec_lo, s26
	s_cbranch_execnz .LBB4_1209
; %bb.604:                              ;   in Loop: Header=BB4_142 Depth=2
	s_or_saveexec_b32 s26, s26
	v_mov_b32_e32 v134, s25
	s_xor_b32 exec_lo, exec_lo, s26
	s_cbranch_execnz .LBB4_1212
.LBB4_605:                              ;   in Loop: Header=BB4_142 Depth=2
	s_or_b32 exec_lo, exec_lo, s26
	s_and_saveexec_b32 s25, s11
	s_cbranch_execz .LBB4_607
.LBB4_606:                              ;   in Loop: Header=BB4_142 Depth=2
	v_and_b32_e32 v134, 7, v15
	v_bfe_u32 v164, v15, 3, 4
	v_lshlrev_b32_e32 v165, 24, v15
	s_delay_alu instid0(VALU_DEP_3) | instskip(NEXT) | instid1(VALU_DEP_3)
	v_clz_i32_u32_e32 v162, v134
	v_cmp_eq_u32_e32 vcc_lo, 0, v164
	s_delay_alu instid0(VALU_DEP_2) | instskip(NEXT) | instid1(VALU_DEP_1)
	v_min_u32_e32 v162, 32, v162
	v_subrev_nc_u32_e32 v163, 28, v162
	v_sub_nc_u32_e32 v162, 29, v162
	s_delay_alu instid0(VALU_DEP_1) | instskip(NEXT) | instid1(VALU_DEP_1)
	v_dual_cndmask_b32 v162, v164, v162 :: v_dual_lshlrev_b32 v163, v163, v15
	v_and_b32_e32 v163, 7, v163
	s_delay_alu instid0(VALU_DEP_2) | instskip(NEXT) | instid1(VALU_DEP_2)
	v_lshl_add_u32 v162, v162, 23, 0x3b800000
	v_dual_cndmask_b32 v134, v134, v163 :: v_dual_and_b32 v163, 0x80000000, v165
	s_delay_alu instid0(VALU_DEP_1) | instskip(NEXT) | instid1(VALU_DEP_1)
	v_lshlrev_b32_e32 v134, 20, v134
	v_or3_b32 v134, v163, v162, v134
.LBB4_607:                              ;   in Loop: Header=BB4_142 Depth=2
	s_or_b32 exec_lo, exec_lo, s25
	s_delay_alu instid0(VALU_DEP_1) | instskip(NEXT) | instid1(VALU_DEP_1)
	v_add_f32_e32 v134, v131, v134
	v_and_b32_e32 v131, 0x7f800000, v134
	s_delay_alu instid0(VALU_DEP_1)
	v_cmp_ne_u32_e32 vcc_lo, 0x7f800000, v131
	v_mov_b32_e32 v131, 0x80
	s_and_saveexec_b32 s25, vcc_lo
	s_cbranch_execz .LBB4_615
; %bb.608:                              ;   in Loop: Header=BB4_142 Depth=2
	v_mov_b32_e32 v131, 0
	s_mov_b32 s26, exec_lo
	v_cmpx_ne_u32_e32 0, v134
	s_cbranch_execz .LBB4_614
; %bb.609:                              ;   in Loop: Header=BB4_142 Depth=2
	v_bfe_u32 v131, v134, 23, 8
	s_delay_alu instid0(VALU_DEP_1) | instskip(SKIP_1) | instid1(VALU_DEP_2)
	v_sub_nc_u32_e32 v163, 0x78, v131
	v_cmp_gt_u32_e32 vcc_lo, 0x79, v131
	v_dual_cndmask_b32 v163, 0, v163 :: v_dual_and_b32 v162, 0x7fffff, v134
	s_delay_alu instid0(VALU_DEP_1) | instskip(SKIP_2) | instid1(VALU_DEP_4)
	v_or_b32_e32 v164, 0x800000, v162
	v_cmp_eq_u32_e32 vcc_lo, 0, v131
	v_add_nc_u32_e32 v131, 0xffffff89, v131
	v_cndmask_b32_e64 v163, v163, 0x77, vcc_lo
	s_delay_alu instid0(VALU_DEP_4) | instskip(NEXT) | instid1(VALU_DEP_3)
	v_cndmask_b32_e32 v162, v164, v162, vcc_lo
	v_cndmask_b32_e64 v131, v131, 0xffffff8a, vcc_lo
	s_delay_alu instid0(VALU_DEP_3) | instskip(NEXT) | instid1(VALU_DEP_3)
	v_lshl_add_u32 v164, 0x100000, v163, -1
	v_lshrrev_b32_e32 v165, v163, v162
	v_lshlrev_b32_e64 v167, v163, 0x80000
	s_delay_alu instid0(VALU_DEP_4) | instskip(NEXT) | instid1(VALU_DEP_4)
	v_add_nc_u32_e32 v163, v163, v131
	v_and_b32_e32 v162, v164, v162
	s_delay_alu instid0(VALU_DEP_4) | instskip(NEXT) | instid1(VALU_DEP_2)
	v_bfe_u32 v166, v165, 20, 1
	v_cmp_eq_u32_e64 s11, v162, v167
	s_delay_alu instid0(VALU_DEP_2) | instskip(NEXT) | instid1(VALU_DEP_1)
	v_add_nc_u32_e32 v164, -1, v166
	v_cndmask_b32_e64 v162, 0, v164, s11
	v_lshrrev_b32_e32 v164, 23, v165
	s_mov_b32 s11, exec_lo
	s_delay_alu instid0(VALU_DEP_2) | instskip(NEXT) | instid1(VALU_DEP_2)
	v_add_nc_u32_e32 v162, v162, v165
	v_xor_b32_e32 v164, 1, v164
	s_delay_alu instid0(VALU_DEP_2) | instskip(NEXT) | instid1(VALU_DEP_1)
	v_and_b32_e32 v131, 0xfffff, v162
	v_add_nc_u32_e32 v162, v131, v165
                                        ; implicit-def: $vgpr131
	s_delay_alu instid0(VALU_DEP_3)
	v_cmpx_ne_u32_e64 v163, v164
	s_xor_b32 s11, exec_lo, s11
; %bb.610:                              ;   in Loop: Header=BB4_142 Depth=2
	s_delay_alu instid0(VALU_DEP_2) | instskip(SKIP_2) | instid1(VALU_DEP_2)
	v_cmp_lt_u32_e32 vcc_lo, 0xffffff, v162
	v_sub_nc_u32_e32 v131, v163, v164
	v_cndmask_b32_e64 v163, 0, 1, vcc_lo
	v_add_co_ci_u32_e32 v131, vcc_lo, 0, v131, vcc_lo
	s_delay_alu instid0(VALU_DEP_2)
	v_lshrrev_b32_e32 v162, v163, v162
; %bb.611:                              ;   in Loop: Header=BB4_142 Depth=2
	s_and_not1_saveexec_b32 s11, s11
; %bb.612:                              ;   in Loop: Header=BB4_142 Depth=2
	s_delay_alu instid0(VALU_DEP_1)
	v_bfe_u32 v131, v162, 23, 1
; %bb.613:                              ;   in Loop: Header=BB4_142 Depth=2
	s_or_b32 exec_lo, exec_lo, s11
	v_lshrrev_b32_e32 v162, 20, v162
	s_delay_alu instid0(VALU_DEP_2) | instskip(SKIP_2) | instid1(VALU_DEP_4)
	v_cmp_gt_i32_e32 vcc_lo, 16, v131
	v_lshrrev_b32_e32 v134, 24, v134
	v_min_i32_e32 v163, 15, v131
	v_cndmask_b32_e32 v162, 7, v162, vcc_lo
	s_delay_alu instid0(VALU_DEP_3) | instskip(NEXT) | instid1(VALU_DEP_3)
	v_and_b32_e32 v134, 0x80, v134
	v_lshlrev_b32_e32 v163, 3, v163
	s_delay_alu instid0(VALU_DEP_3) | instskip(SKIP_1) | instid1(VALU_DEP_2)
	v_and_b32_e32 v164, 7, v162
	v_or_b32_e32 v131, v131, v162
	v_or3_b32 v134, v163, v134, v164
	s_delay_alu instid0(VALU_DEP_2) | instskip(NEXT) | instid1(VALU_DEP_2)
	v_cmp_ne_u32_e32 vcc_lo, 0, v131
	v_cndmask_b32_e32 v131, 0, v134, vcc_lo
.LBB4_614:                              ;   in Loop: Header=BB4_142 Depth=2
	s_or_b32 exec_lo, exec_lo, s26
.LBB4_615:                              ;   in Loop: Header=BB4_142 Depth=2
	s_delay_alu instid0(SALU_CYCLE_1) | instskip(SKIP_3) | instid1(VALU_DEP_1)
	s_or_b32 exec_lo, exec_lo, s25
	v_lshrrev_b16 v162, 8, v161
	s_mov_b32 s11, 0
	s_mov_b32 s26, exec_lo
                                        ; implicit-def: $sgpr25
	v_cmpx_lt_i16_e64 0x7f, v162
	s_xor_b32 s26, exec_lo, s26
	s_cbranch_execnz .LBB4_1213
; %bb.616:                              ;   in Loop: Header=BB4_142 Depth=2
	s_or_saveexec_b32 s26, s26
	v_mov_b32_e32 v134, s25
	s_xor_b32 exec_lo, exec_lo, s26
	s_cbranch_execnz .LBB4_1216
.LBB4_617:                              ;   in Loop: Header=BB4_142 Depth=2
	s_or_b32 exec_lo, exec_lo, s26
	s_and_saveexec_b32 s25, s11
	s_cbranch_execz .LBB4_619
.LBB4_618:                              ;   in Loop: Header=BB4_142 Depth=2
	v_and_b32_e32 v134, 0xffff, v162
	v_lshlrev_b32_e32 v162, 24, v162
	s_delay_alu instid0(VALU_DEP_2) | instskip(NEXT) | instid1(VALU_DEP_2)
	v_and_b32_e32 v163, 7, v134
	v_and_b32_e32 v162, 0x80000000, v162
	s_delay_alu instid0(VALU_DEP_2) | instskip(NEXT) | instid1(VALU_DEP_1)
	v_clz_i32_u32_e32 v164, v163
	v_min_u32_e32 v164, 32, v164
	s_delay_alu instid0(VALU_DEP_1) | instskip(SKIP_1) | instid1(VALU_DEP_2)
	v_subrev_nc_u32_e32 v165, 28, v164
	v_sub_nc_u32_e32 v164, 29, v164
	v_lshlrev_b32_e32 v165, v165, v134
	v_bfe_u32 v134, v134, 3, 4
	s_delay_alu instid0(VALU_DEP_2) | instskip(NEXT) | instid1(VALU_DEP_2)
	v_and_b32_e32 v165, 7, v165
	v_cmp_eq_u32_e32 vcc_lo, 0, v134
	s_delay_alu instid0(VALU_DEP_2) | instskip(NEXT) | instid1(VALU_DEP_1)
	v_dual_cndmask_b32 v134, v134, v164 :: v_dual_cndmask_b32 v163, v163, v165
	v_lshl_add_u32 v134, v134, 23, 0x3b800000
	s_delay_alu instid0(VALU_DEP_2) | instskip(NEXT) | instid1(VALU_DEP_1)
	v_lshlrev_b32_e32 v163, 20, v163
	v_or3_b32 v134, v162, v134, v163
.LBB4_619:                              ;   in Loop: Header=BB4_142 Depth=2
	s_or_b32 exec_lo, exec_lo, s25
	v_lshrrev_b16 v162, 8, v15
	s_mov_b32 s11, 0
	s_mov_b32 s26, exec_lo
                                        ; implicit-def: $sgpr25
	s_delay_alu instid0(VALU_DEP_1)
	v_cmpx_lt_i16_e64 0x7f, v162
	s_xor_b32 s26, exec_lo, s26
	s_cbranch_execnz .LBB4_1217
; %bb.620:                              ;   in Loop: Header=BB4_142 Depth=2
	s_or_saveexec_b32 s26, s26
	v_mov_b32_e32 v163, s25
	s_xor_b32 exec_lo, exec_lo, s26
	s_cbranch_execnz .LBB4_1220
.LBB4_621:                              ;   in Loop: Header=BB4_142 Depth=2
	s_or_b32 exec_lo, exec_lo, s26
	s_and_saveexec_b32 s25, s11
	s_cbranch_execz .LBB4_623
.LBB4_622:                              ;   in Loop: Header=BB4_142 Depth=2
	v_and_b32_e32 v163, 0xffff, v162
	v_lshlrev_b32_e32 v162, 24, v162
	s_delay_alu instid0(VALU_DEP_2) | instskip(NEXT) | instid1(VALU_DEP_2)
	v_and_b32_e32 v164, 7, v163
	v_and_b32_e32 v162, 0x80000000, v162
	s_delay_alu instid0(VALU_DEP_2) | instskip(NEXT) | instid1(VALU_DEP_1)
	v_clz_i32_u32_e32 v165, v164
	v_min_u32_e32 v165, 32, v165
	s_delay_alu instid0(VALU_DEP_1) | instskip(SKIP_1) | instid1(VALU_DEP_2)
	v_subrev_nc_u32_e32 v166, 28, v165
	v_sub_nc_u32_e32 v165, 29, v165
	v_lshlrev_b32_e32 v166, v166, v163
	v_bfe_u32 v163, v163, 3, 4
	s_delay_alu instid0(VALU_DEP_2) | instskip(NEXT) | instid1(VALU_DEP_2)
	v_and_b32_e32 v166, 7, v166
	v_cmp_eq_u32_e32 vcc_lo, 0, v163
	s_delay_alu instid0(VALU_DEP_2) | instskip(NEXT) | instid1(VALU_DEP_1)
	v_dual_cndmask_b32 v163, v163, v165 :: v_dual_cndmask_b32 v164, v164, v166
	v_lshl_add_u32 v163, v163, 23, 0x3b800000
	s_delay_alu instid0(VALU_DEP_2) | instskip(NEXT) | instid1(VALU_DEP_1)
	v_lshlrev_b32_e32 v164, 20, v164
	v_or3_b32 v163, v162, v163, v164
.LBB4_623:                              ;   in Loop: Header=BB4_142 Depth=2
	s_or_b32 exec_lo, exec_lo, s25
	s_delay_alu instid0(VALU_DEP_1) | instskip(NEXT) | instid1(VALU_DEP_1)
	v_add_f32_e32 v162, v134, v163
	v_and_b32_e32 v134, 0x7f800000, v162
	s_delay_alu instid0(VALU_DEP_1)
	v_cmp_ne_u32_e32 vcc_lo, 0x7f800000, v134
	v_mov_b32_e32 v134, 0x8000
	s_and_saveexec_b32 s25, vcc_lo
	s_cbranch_execz .LBB4_631
; %bb.624:                              ;   in Loop: Header=BB4_142 Depth=2
	v_mov_b32_e32 v134, 0
	s_mov_b32 s26, exec_lo
	v_cmpx_ne_u32_e32 0, v162
	s_cbranch_execz .LBB4_630
; %bb.625:                              ;   in Loop: Header=BB4_142 Depth=2
	v_bfe_u32 v134, v162, 23, 8
	s_delay_alu instid0(VALU_DEP_1) | instskip(SKIP_1) | instid1(VALU_DEP_2)
	v_sub_nc_u32_e32 v164, 0x78, v134
	v_cmp_gt_u32_e32 vcc_lo, 0x79, v134
	v_dual_cndmask_b32 v164, 0, v164 :: v_dual_and_b32 v163, 0x7fffff, v162
	s_delay_alu instid0(VALU_DEP_1) | instskip(SKIP_2) | instid1(VALU_DEP_4)
	v_or_b32_e32 v165, 0x800000, v163
	v_cmp_eq_u32_e32 vcc_lo, 0, v134
	v_add_nc_u32_e32 v134, 0xffffff89, v134
	v_cndmask_b32_e64 v164, v164, 0x77, vcc_lo
	s_delay_alu instid0(VALU_DEP_4) | instskip(NEXT) | instid1(VALU_DEP_3)
	v_cndmask_b32_e32 v163, v165, v163, vcc_lo
	v_cndmask_b32_e64 v134, v134, 0xffffff8a, vcc_lo
	s_delay_alu instid0(VALU_DEP_3) | instskip(NEXT) | instid1(VALU_DEP_3)
	v_lshl_add_u32 v165, 0x100000, v164, -1
	v_lshrrev_b32_e32 v166, v164, v163
	v_lshlrev_b32_e64 v176, v164, 0x80000
	s_delay_alu instid0(VALU_DEP_4) | instskip(NEXT) | instid1(VALU_DEP_4)
	v_add_nc_u32_e32 v164, v164, v134
	v_and_b32_e32 v163, v165, v163
	s_delay_alu instid0(VALU_DEP_4) | instskip(NEXT) | instid1(VALU_DEP_2)
	v_bfe_u32 v167, v166, 20, 1
	v_cmp_eq_u32_e64 s11, v163, v176
	s_delay_alu instid0(VALU_DEP_2) | instskip(NEXT) | instid1(VALU_DEP_1)
	v_add_nc_u32_e32 v165, -1, v167
	v_cndmask_b32_e64 v163, 0, v165, s11
	v_lshrrev_b32_e32 v165, 23, v166
	s_mov_b32 s11, exec_lo
	s_delay_alu instid0(VALU_DEP_2) | instskip(NEXT) | instid1(VALU_DEP_2)
	v_add_nc_u32_e32 v163, v163, v166
	v_xor_b32_e32 v165, 1, v165
	s_delay_alu instid0(VALU_DEP_2) | instskip(NEXT) | instid1(VALU_DEP_1)
	v_and_b32_e32 v134, 0xfffff, v163
	v_add_nc_u32_e32 v163, v134, v166
                                        ; implicit-def: $vgpr134
	s_delay_alu instid0(VALU_DEP_3)
	v_cmpx_ne_u32_e64 v164, v165
	s_xor_b32 s11, exec_lo, s11
; %bb.626:                              ;   in Loop: Header=BB4_142 Depth=2
	s_delay_alu instid0(VALU_DEP_2) | instskip(SKIP_2) | instid1(VALU_DEP_2)
	v_cmp_lt_u32_e32 vcc_lo, 0xffffff, v163
	v_sub_nc_u32_e32 v134, v164, v165
	v_cndmask_b32_e64 v164, 0, 1, vcc_lo
	v_add_co_ci_u32_e32 v134, vcc_lo, 0, v134, vcc_lo
	s_delay_alu instid0(VALU_DEP_2)
	v_lshrrev_b32_e32 v163, v164, v163
; %bb.627:                              ;   in Loop: Header=BB4_142 Depth=2
	s_and_not1_saveexec_b32 s11, s11
; %bb.628:                              ;   in Loop: Header=BB4_142 Depth=2
	s_delay_alu instid0(VALU_DEP_1)
	v_bfe_u32 v134, v163, 23, 1
; %bb.629:                              ;   in Loop: Header=BB4_142 Depth=2
	s_or_b32 exec_lo, exec_lo, s11
	v_lshrrev_b32_e32 v163, 20, v163
	s_delay_alu instid0(VALU_DEP_2) | instskip(SKIP_2) | instid1(VALU_DEP_2)
	v_cmp_gt_i32_e32 vcc_lo, 16, v134
	v_min_i32_e32 v164, 15, v134
	v_lshrrev_b32_e32 v162, 24, v162
	v_dual_cndmask_b32 v163, 7, v163 :: v_dual_lshlrev_b32 v164, 3, v164
	s_delay_alu instid0(VALU_DEP_2) | instskip(NEXT) | instid1(VALU_DEP_2)
	v_and_b32_e32 v162, 0x80, v162
	v_or_b32_e32 v134, v134, v163
	s_delay_alu instid0(VALU_DEP_3) | instskip(NEXT) | instid1(VALU_DEP_2)
	v_and_b32_e32 v164, 0xf8, v164
	v_cmp_ne_u32_e32 vcc_lo, 0, v134
	v_and_b32_e32 v165, 7, v163
	s_delay_alu instid0(VALU_DEP_1) | instskip(NEXT) | instid1(VALU_DEP_1)
	v_or3_b32 v162, v162, v164, v165
	v_lshlrev_b32_e32 v162, 8, v162
	s_delay_alu instid0(VALU_DEP_1)
	v_cndmask_b32_e32 v134, 0, v162, vcc_lo
.LBB4_630:                              ;   in Loop: Header=BB4_142 Depth=2
	s_or_b32 exec_lo, exec_lo, s26
.LBB4_631:                              ;   in Loop: Header=BB4_142 Depth=2
	s_delay_alu instid0(SALU_CYCLE_1) | instskip(SKIP_3) | instid1(VALU_DEP_1)
	s_or_b32 exec_lo, exec_lo, s25
	v_or_b32_e32 v160, v160, v147
	s_mov_b32 s11, 0
	s_mov_b32 s26, exec_lo
                                        ; implicit-def: $sgpr25
	v_and_b32_e32 v162, 0xff, v160
	s_delay_alu instid0(VALU_DEP_1)
	v_cmpx_lt_i16_e64 0x7f, v162
	s_xor_b32 s26, exec_lo, s26
	s_cbranch_execnz .LBB4_1221
; %bb.632:                              ;   in Loop: Header=BB4_142 Depth=2
	s_or_saveexec_b32 s26, s26
	v_mov_b32_e32 v147, s25
	s_xor_b32 exec_lo, exec_lo, s26
	s_cbranch_execnz .LBB4_1224
.LBB4_633:                              ;   in Loop: Header=BB4_142 Depth=2
	s_or_b32 exec_lo, exec_lo, s26
	v_lshl_or_b32 v160, v160, 16, v161
	s_and_saveexec_b32 s25, s11
	s_cbranch_execz .LBB4_635
.LBB4_634:                              ;   in Loop: Header=BB4_142 Depth=2
	s_delay_alu instid0(VALU_DEP_1) | instskip(SKIP_1) | instid1(VALU_DEP_2)
	v_bfe_u32 v147, v160, 16, 3
	v_lshrrev_b32_e32 v162, 16, v160
	v_clz_i32_u32_e32 v161, v147
	s_delay_alu instid0(VALU_DEP_1) | instskip(NEXT) | instid1(VALU_DEP_1)
	v_min_u32_e32 v161, 32, v161
	v_subrev_nc_u32_e32 v163, 28, v161
	v_sub_nc_u32_e32 v161, 29, v161
	s_delay_alu instid0(VALU_DEP_2) | instskip(SKIP_1) | instid1(VALU_DEP_1)
	v_lshlrev_b32_e32 v162, v163, v162
	v_bfe_u32 v163, v160, 19, 4
	v_cmp_eq_u32_e32 vcc_lo, 0, v163
	s_delay_alu instid0(VALU_DEP_3) | instskip(NEXT) | instid1(VALU_DEP_1)
	v_dual_cndmask_b32 v161, v163, v161 :: v_dual_and_b32 v162, 7, v162
	v_dual_cndmask_b32 v147, v147, v162 :: v_dual_lshlrev_b32 v164, 8, v160
	s_delay_alu instid0(VALU_DEP_2) | instskip(NEXT) | instid1(VALU_DEP_2)
	v_lshl_add_u32 v161, v161, 23, 0x3b800000
	v_and_b32_e32 v162, 0x80000000, v164
	s_delay_alu instid0(VALU_DEP_3) | instskip(NEXT) | instid1(VALU_DEP_1)
	v_lshlrev_b32_e32 v147, 20, v147
	v_or3_b32 v147, v162, v161, v147
.LBB4_635:                              ;   in Loop: Header=BB4_142 Depth=2
	s_or_b32 exec_lo, exec_lo, s25
	v_lshrrev_b32_e32 v161, 16, v15
	s_mov_b32 s11, 0
	s_mov_b32 s26, exec_lo
                                        ; implicit-def: $sgpr25
	s_delay_alu instid0(VALU_DEP_1) | instskip(NEXT) | instid1(VALU_DEP_1)
	v_and_b32_e32 v163, 0xff, v161
	v_cmpx_lt_i16_e64 0x7f, v163
	s_xor_b32 s26, exec_lo, s26
	s_cbranch_execnz .LBB4_1225
; %bb.636:                              ;   in Loop: Header=BB4_142 Depth=2
	s_or_saveexec_b32 s26, s26
	v_mov_b32_e32 v162, s25
	s_xor_b32 exec_lo, exec_lo, s26
	s_cbranch_execnz .LBB4_1228
.LBB4_637:                              ;   in Loop: Header=BB4_142 Depth=2
	s_or_b32 exec_lo, exec_lo, s26
	s_and_saveexec_b32 s25, s11
	s_cbranch_execz .LBB4_639
.LBB4_638:                              ;   in Loop: Header=BB4_142 Depth=2
	v_bfe_u32 v162, v15, 16, 3
	v_lshlrev_b32_e32 v165, 8, v15
	s_delay_alu instid0(VALU_DEP_2) | instskip(NEXT) | instid1(VALU_DEP_1)
	v_clz_i32_u32_e32 v163, v162
	v_min_u32_e32 v163, 32, v163
	s_delay_alu instid0(VALU_DEP_1) | instskip(SKIP_1) | instid1(VALU_DEP_2)
	v_subrev_nc_u32_e32 v164, 28, v163
	v_sub_nc_u32_e32 v163, 29, v163
	v_lshlrev_b32_e32 v161, v164, v161
	v_bfe_u32 v164, v15, 19, 4
	s_delay_alu instid0(VALU_DEP_2) | instskip(NEXT) | instid1(VALU_DEP_2)
	v_and_b32_e32 v161, 7, v161
	v_cmp_eq_u32_e32 vcc_lo, 0, v164
	v_cndmask_b32_e32 v163, v164, v163, vcc_lo
	s_delay_alu instid0(VALU_DEP_3) | instskip(SKIP_1) | instid1(VALU_DEP_3)
	v_cndmask_b32_e32 v161, v162, v161, vcc_lo
	v_and_b32_e32 v162, 0x80000000, v165
	v_lshl_add_u32 v163, v163, 23, 0x3b800000
	s_delay_alu instid0(VALU_DEP_3) | instskip(NEXT) | instid1(VALU_DEP_1)
	v_lshlrev_b32_e32 v161, 20, v161
	v_or3_b32 v162, v162, v163, v161
.LBB4_639:                              ;   in Loop: Header=BB4_142 Depth=2
	s_or_b32 exec_lo, exec_lo, s25
	s_delay_alu instid0(VALU_DEP_1) | instskip(NEXT) | instid1(VALU_DEP_1)
	v_add_f32_e32 v161, v147, v162
	v_and_b32_e32 v147, 0x7f800000, v161
	s_delay_alu instid0(VALU_DEP_1)
	v_cmp_ne_u32_e32 vcc_lo, 0x7f800000, v147
	v_mov_b32_e32 v147, 0x80
	s_and_saveexec_b32 s25, vcc_lo
	s_cbranch_execz .LBB4_647
; %bb.640:                              ;   in Loop: Header=BB4_142 Depth=2
	v_mov_b32_e32 v147, 0
	s_mov_b32 s26, exec_lo
	v_cmpx_ne_u32_e32 0, v161
	s_cbranch_execz .LBB4_646
; %bb.641:                              ;   in Loop: Header=BB4_142 Depth=2
	v_bfe_u32 v147, v161, 23, 8
	s_delay_alu instid0(VALU_DEP_1) | instskip(SKIP_1) | instid1(VALU_DEP_2)
	v_sub_nc_u32_e32 v163, 0x78, v147
	v_cmp_gt_u32_e32 vcc_lo, 0x79, v147
	v_dual_cndmask_b32 v163, 0, v163 :: v_dual_and_b32 v162, 0x7fffff, v161
	s_delay_alu instid0(VALU_DEP_1) | instskip(SKIP_2) | instid1(VALU_DEP_4)
	v_or_b32_e32 v164, 0x800000, v162
	v_cmp_eq_u32_e32 vcc_lo, 0, v147
	v_add_nc_u32_e32 v147, 0xffffff89, v147
	v_cndmask_b32_e64 v163, v163, 0x77, vcc_lo
	s_delay_alu instid0(VALU_DEP_4) | instskip(NEXT) | instid1(VALU_DEP_3)
	v_cndmask_b32_e32 v162, v164, v162, vcc_lo
	v_cndmask_b32_e64 v147, v147, 0xffffff8a, vcc_lo
	s_delay_alu instid0(VALU_DEP_3) | instskip(NEXT) | instid1(VALU_DEP_3)
	v_lshl_add_u32 v164, 0x100000, v163, -1
	v_lshrrev_b32_e32 v165, v163, v162
	v_lshlrev_b32_e64 v167, v163, 0x80000
	s_delay_alu instid0(VALU_DEP_4) | instskip(NEXT) | instid1(VALU_DEP_4)
	v_add_nc_u32_e32 v163, v163, v147
	v_and_b32_e32 v162, v164, v162
	s_delay_alu instid0(VALU_DEP_4) | instskip(NEXT) | instid1(VALU_DEP_2)
	v_bfe_u32 v166, v165, 20, 1
	v_cmp_eq_u32_e64 s11, v162, v167
	s_delay_alu instid0(VALU_DEP_2) | instskip(NEXT) | instid1(VALU_DEP_1)
	v_add_nc_u32_e32 v164, -1, v166
	v_cndmask_b32_e64 v162, 0, v164, s11
	v_lshrrev_b32_e32 v164, 23, v165
	s_mov_b32 s11, exec_lo
	s_delay_alu instid0(VALU_DEP_2) | instskip(NEXT) | instid1(VALU_DEP_2)
	v_add_nc_u32_e32 v162, v162, v165
	v_xor_b32_e32 v164, 1, v164
	s_delay_alu instid0(VALU_DEP_2) | instskip(NEXT) | instid1(VALU_DEP_1)
	v_and_b32_e32 v147, 0xfffff, v162
	v_add_nc_u32_e32 v162, v147, v165
                                        ; implicit-def: $vgpr147
	s_delay_alu instid0(VALU_DEP_3)
	v_cmpx_ne_u32_e64 v163, v164
	s_xor_b32 s11, exec_lo, s11
; %bb.642:                              ;   in Loop: Header=BB4_142 Depth=2
	s_delay_alu instid0(VALU_DEP_2) | instskip(SKIP_2) | instid1(VALU_DEP_2)
	v_cmp_lt_u32_e32 vcc_lo, 0xffffff, v162
	v_sub_nc_u32_e32 v147, v163, v164
	v_cndmask_b32_e64 v163, 0, 1, vcc_lo
	v_add_co_ci_u32_e32 v147, vcc_lo, 0, v147, vcc_lo
	s_delay_alu instid0(VALU_DEP_2)
	v_lshrrev_b32_e32 v162, v163, v162
; %bb.643:                              ;   in Loop: Header=BB4_142 Depth=2
	s_and_not1_saveexec_b32 s11, s11
; %bb.644:                              ;   in Loop: Header=BB4_142 Depth=2
	s_delay_alu instid0(VALU_DEP_1)
	v_bfe_u32 v147, v162, 23, 1
; %bb.645:                              ;   in Loop: Header=BB4_142 Depth=2
	s_or_b32 exec_lo, exec_lo, s11
	v_lshrrev_b32_e32 v162, 20, v162
	s_delay_alu instid0(VALU_DEP_2) | instskip(SKIP_2) | instid1(VALU_DEP_2)
	v_cmp_gt_i32_e32 vcc_lo, 16, v147
	v_min_i32_e32 v163, 15, v147
	v_lshrrev_b32_e32 v161, 24, v161
	v_dual_cndmask_b32 v162, 7, v162 :: v_dual_lshlrev_b32 v163, 3, v163
	s_delay_alu instid0(VALU_DEP_2) | instskip(NEXT) | instid1(VALU_DEP_2)
	v_and_b32_e32 v161, 0x80, v161
	v_or_b32_e32 v147, v147, v162
	s_delay_alu instid0(VALU_DEP_3) | instskip(NEXT) | instid1(VALU_DEP_2)
	v_and_b32_e32 v163, 0xf8, v163
	v_cmp_ne_u32_e32 vcc_lo, 0, v147
	v_and_b32_e32 v164, 7, v162
	s_delay_alu instid0(VALU_DEP_1) | instskip(NEXT) | instid1(VALU_DEP_1)
	v_or3_b32 v161, v163, v161, v164
	v_cndmask_b32_e32 v147, 0, v161, vcc_lo
.LBB4_646:                              ;   in Loop: Header=BB4_142 Depth=2
	s_or_b32 exec_lo, exec_lo, s26
.LBB4_647:                              ;   in Loop: Header=BB4_142 Depth=2
	s_delay_alu instid0(SALU_CYCLE_1) | instskip(SKIP_3) | instid1(VALU_DEP_1)
	s_or_b32 exec_lo, exec_lo, s25
	v_lshrrev_b32_e32 v162, 24, v160
	s_mov_b32 s11, 0
	s_mov_b32 s26, exec_lo
                                        ; implicit-def: $sgpr25
	v_cmpx_lt_i16_e64 0x7f, v162
	s_xor_b32 s26, exec_lo, s26
	s_cbranch_execnz .LBB4_1229
; %bb.648:                              ;   in Loop: Header=BB4_142 Depth=2
	s_or_saveexec_b32 s26, s26
	v_mov_b32_e32 v161, s25
	s_xor_b32 exec_lo, exec_lo, s26
	s_cbranch_execnz .LBB4_1232
.LBB4_649:                              ;   in Loop: Header=BB4_142 Depth=2
	s_or_b32 exec_lo, exec_lo, s26
	s_and_saveexec_b32 s25, s11
	s_cbranch_execz .LBB4_651
.LBB4_650:                              ;   in Loop: Header=BB4_142 Depth=2
	v_bfe_u32 v161, v160, 24, 3
	s_delay_alu instid0(VALU_DEP_1) | instskip(NEXT) | instid1(VALU_DEP_1)
	v_clz_i32_u32_e32 v163, v161
	v_min_u32_e32 v163, 32, v163
	s_delay_alu instid0(VALU_DEP_1) | instskip(SKIP_1) | instid1(VALU_DEP_2)
	v_subrev_nc_u32_e32 v164, 28, v163
	v_sub_nc_u32_e32 v163, 29, v163
	v_lshlrev_b32_e32 v162, v164, v162
	v_bfe_u32 v164, v160, 27, 4
	v_and_b32_e32 v160, 0x80000000, v160
	s_delay_alu instid0(VALU_DEP_2) | instskip(NEXT) | instid1(VALU_DEP_4)
	v_cmp_eq_u32_e32 vcc_lo, 0, v164
	v_dual_cndmask_b32 v163, v164, v163 :: v_dual_and_b32 v162, 7, v162
	s_delay_alu instid0(VALU_DEP_1) | instskip(NEXT) | instid1(VALU_DEP_2)
	v_cndmask_b32_e32 v161, v161, v162, vcc_lo
	v_lshl_add_u32 v162, v163, 23, 0x3b800000
	s_delay_alu instid0(VALU_DEP_2) | instskip(NEXT) | instid1(VALU_DEP_1)
	v_lshlrev_b32_e32 v161, 20, v161
	v_or3_b32 v161, v160, v162, v161
.LBB4_651:                              ;   in Loop: Header=BB4_142 Depth=2
	s_or_b32 exec_lo, exec_lo, s25
	v_lshrrev_b32_e32 v160, 24, v15
	s_mov_b32 s11, 0
	s_mov_b32 s26, exec_lo
                                        ; implicit-def: $sgpr25
	s_delay_alu instid0(VALU_DEP_1)
	v_cmpx_lt_i16_e64 0x7f, v160
	s_xor_b32 s26, exec_lo, s26
	s_cbranch_execnz .LBB4_1233
; %bb.652:                              ;   in Loop: Header=BB4_142 Depth=2
	s_or_saveexec_b32 s26, s26
	v_mov_b32_e32 v162, s25
	s_xor_b32 exec_lo, exec_lo, s26
	s_cbranch_execnz .LBB4_1236
.LBB4_653:                              ;   in Loop: Header=BB4_142 Depth=2
	s_or_b32 exec_lo, exec_lo, s26
	s_and_saveexec_b32 s25, s11
	s_cbranch_execz .LBB4_655
.LBB4_654:                              ;   in Loop: Header=BB4_142 Depth=2
	v_bfe_u32 v162, v15, 24, 3
	s_delay_alu instid0(VALU_DEP_1) | instskip(NEXT) | instid1(VALU_DEP_1)
	v_clz_i32_u32_e32 v163, v162
	v_min_u32_e32 v163, 32, v163
	s_delay_alu instid0(VALU_DEP_1) | instskip(SKIP_1) | instid1(VALU_DEP_2)
	v_subrev_nc_u32_e32 v164, 28, v163
	v_sub_nc_u32_e32 v163, 29, v163
	v_lshlrev_b32_e32 v160, v164, v160
	v_bfe_u32 v164, v15, 27, 4
	v_and_b32_e32 v15, 0x80000000, v15
	s_delay_alu instid0(VALU_DEP_2) | instskip(NEXT) | instid1(VALU_DEP_4)
	v_cmp_eq_u32_e32 vcc_lo, 0, v164
	v_dual_cndmask_b32 v163, v164, v163 :: v_dual_and_b32 v160, 7, v160
	s_delay_alu instid0(VALU_DEP_1) | instskip(NEXT) | instid1(VALU_DEP_2)
	v_cndmask_b32_e32 v160, v162, v160, vcc_lo
	v_lshl_add_u32 v162, v163, 23, 0x3b800000
	s_delay_alu instid0(VALU_DEP_2) | instskip(NEXT) | instid1(VALU_DEP_1)
	v_lshlrev_b32_e32 v160, 20, v160
	v_or3_b32 v162, v15, v162, v160
.LBB4_655:                              ;   in Loop: Header=BB4_142 Depth=2
	s_or_b32 exec_lo, exec_lo, s25
	s_delay_alu instid0(VALU_DEP_1) | instskip(NEXT) | instid1(VALU_DEP_1)
	v_add_f32_e32 v160, v161, v162
	v_and_b32_e32 v15, 0x7f800000, v160
	s_delay_alu instid0(VALU_DEP_1)
	v_cmp_ne_u32_e32 vcc_lo, 0x7f800000, v15
	v_mov_b32_e32 v15, 0x8000
	s_and_saveexec_b32 s25, vcc_lo
	s_cbranch_execz .LBB4_663
; %bb.656:                              ;   in Loop: Header=BB4_142 Depth=2
	v_mov_b32_e32 v15, 0
	s_mov_b32 s26, exec_lo
	v_cmpx_ne_u32_e32 0, v160
	s_cbranch_execz .LBB4_662
; %bb.657:                              ;   in Loop: Header=BB4_142 Depth=2
	v_bfe_u32 v15, v160, 23, 8
	s_delay_alu instid0(VALU_DEP_1) | instskip(SKIP_1) | instid1(VALU_DEP_2)
	v_sub_nc_u32_e32 v162, 0x78, v15
	v_cmp_gt_u32_e32 vcc_lo, 0x79, v15
	v_dual_cndmask_b32 v162, 0, v162 :: v_dual_and_b32 v161, 0x7fffff, v160
	s_delay_alu instid0(VALU_DEP_1) | instskip(SKIP_2) | instid1(VALU_DEP_4)
	v_or_b32_e32 v163, 0x800000, v161
	v_cmp_eq_u32_e32 vcc_lo, 0, v15
	v_add_nc_u32_e32 v15, 0xffffff89, v15
	v_cndmask_b32_e64 v162, v162, 0x77, vcc_lo
	s_delay_alu instid0(VALU_DEP_2) | instskip(SKIP_1) | instid1(VALU_DEP_3)
	v_cndmask_b32_e64 v15, v15, 0xffffff8a, vcc_lo
	v_cndmask_b32_e32 v161, v163, v161, vcc_lo
	v_lshl_add_u32 v163, 0x100000, v162, -1
	v_lshlrev_b32_e64 v166, v162, 0x80000
	s_delay_alu instid0(VALU_DEP_3) | instskip(SKIP_1) | instid1(VALU_DEP_4)
	v_lshrrev_b32_e32 v164, v162, v161
	v_add_nc_u32_e32 v162, v162, v15
	v_and_b32_e32 v161, v163, v161
	s_delay_alu instid0(VALU_DEP_3) | instskip(NEXT) | instid1(VALU_DEP_2)
	v_bfe_u32 v165, v164, 20, 1
	v_cmp_eq_u32_e64 s11, v161, v166
	s_delay_alu instid0(VALU_DEP_2) | instskip(NEXT) | instid1(VALU_DEP_1)
	v_add_nc_u32_e32 v163, -1, v165
	v_cndmask_b32_e64 v161, 0, v163, s11
	v_lshrrev_b32_e32 v163, 23, v164
	s_mov_b32 s11, exec_lo
	s_delay_alu instid0(VALU_DEP_2) | instskip(NEXT) | instid1(VALU_DEP_2)
	v_add_nc_u32_e32 v161, v161, v164
	v_xor_b32_e32 v163, 1, v163
	s_delay_alu instid0(VALU_DEP_2) | instskip(NEXT) | instid1(VALU_DEP_1)
	v_and_b32_e32 v15, 0xfffff, v161
	v_add_nc_u32_e32 v161, v15, v164
                                        ; implicit-def: $vgpr15
	s_delay_alu instid0(VALU_DEP_3)
	v_cmpx_ne_u32_e64 v162, v163
	s_xor_b32 s11, exec_lo, s11
; %bb.658:                              ;   in Loop: Header=BB4_142 Depth=2
	s_delay_alu instid0(VALU_DEP_2) | instskip(SKIP_2) | instid1(VALU_DEP_2)
	v_cmp_lt_u32_e32 vcc_lo, 0xffffff, v161
	v_sub_nc_u32_e32 v15, v162, v163
	v_cndmask_b32_e64 v162, 0, 1, vcc_lo
	v_add_co_ci_u32_e32 v15, vcc_lo, 0, v15, vcc_lo
	s_delay_alu instid0(VALU_DEP_2)
	v_lshrrev_b32_e32 v161, v162, v161
; %bb.659:                              ;   in Loop: Header=BB4_142 Depth=2
	s_and_not1_saveexec_b32 s11, s11
; %bb.660:                              ;   in Loop: Header=BB4_142 Depth=2
	s_delay_alu instid0(VALU_DEP_1)
	v_bfe_u32 v15, v161, 23, 1
; %bb.661:                              ;   in Loop: Header=BB4_142 Depth=2
	s_or_b32 exec_lo, exec_lo, s11
	v_lshrrev_b32_e32 v161, 20, v161
	s_delay_alu instid0(VALU_DEP_2) | instskip(SKIP_2) | instid1(VALU_DEP_2)
	v_cmp_gt_i32_e32 vcc_lo, 16, v15
	v_min_i32_e32 v162, 15, v15
	v_lshrrev_b32_e32 v160, 24, v160
	v_dual_cndmask_b32 v161, 7, v161 :: v_dual_lshlrev_b32 v162, 3, v162
	s_delay_alu instid0(VALU_DEP_2) | instskip(NEXT) | instid1(VALU_DEP_2)
	v_and_b32_e32 v160, 0x80, v160
	v_or_b32_e32 v15, v15, v161
	v_and_b32_e32 v163, 7, v161
	s_delay_alu instid0(VALU_DEP_2) | instskip(SKIP_1) | instid1(VALU_DEP_1)
	v_cmp_ne_u32_e32 vcc_lo, 0, v15
	v_and_b32_e32 v162, 0xf8, v162
	v_or3_b32 v160, v160, v162, v163
	s_delay_alu instid0(VALU_DEP_1) | instskip(NEXT) | instid1(VALU_DEP_1)
	v_lshlrev_b32_e32 v160, 8, v160
	v_cndmask_b32_e32 v15, 0, v160, vcc_lo
.LBB4_662:                              ;   in Loop: Header=BB4_142 Depth=2
	s_or_b32 exec_lo, exec_lo, s26
.LBB4_663:                              ;   in Loop: Header=BB4_142 Depth=2
	s_delay_alu instid0(SALU_CYCLE_1) | instskip(SKIP_3) | instid1(VALU_DEP_1)
	s_or_b32 exec_lo, exec_lo, s25
	v_and_b32_e32 v161, 0xff, v151
	s_mov_b32 s11, 0
	s_mov_b32 s26, exec_lo
                                        ; implicit-def: $sgpr25
	v_cmpx_lt_i16_e64 0x7f, v161
	s_xor_b32 s26, exec_lo, s26
	s_cbranch_execnz .LBB4_1237
; %bb.664:                              ;   in Loop: Header=BB4_142 Depth=2
	s_or_saveexec_b32 s26, s26
	v_mov_b32_e32 v160, s25
	s_xor_b32 exec_lo, exec_lo, s26
	s_cbranch_execnz .LBB4_1240
.LBB4_665:                              ;   in Loop: Header=BB4_142 Depth=2
	s_or_b32 exec_lo, exec_lo, s26
	s_and_saveexec_b32 s25, s11
	s_cbranch_execz .LBB4_667
.LBB4_666:                              ;   in Loop: Header=BB4_142 Depth=2
	v_bfe_u32 v163, v151, 3, 4
	s_delay_alu instid0(VALU_DEP_1) | instskip(SKIP_1) | instid1(VALU_DEP_1)
	v_cmp_eq_u32_e32 vcc_lo, 0, v163
	v_and_b32_e32 v160, 7, v151
	v_clz_i32_u32_e32 v161, v160
	s_delay_alu instid0(VALU_DEP_1) | instskip(NEXT) | instid1(VALU_DEP_1)
	v_min_u32_e32 v161, 32, v161
	v_subrev_nc_u32_e32 v162, 28, v161
	v_sub_nc_u32_e32 v161, 29, v161
	s_delay_alu instid0(VALU_DEP_1) | instskip(NEXT) | instid1(VALU_DEP_1)
	v_dual_cndmask_b32 v161, v163, v161 :: v_dual_lshlrev_b32 v162, v162, v151
	v_and_b32_e32 v162, 7, v162
	v_lshlrev_b32_e32 v151, 24, v151
	s_delay_alu instid0(VALU_DEP_3) | instskip(NEXT) | instid1(VALU_DEP_2)
	v_lshl_add_u32 v161, v161, 23, 0x3b800000
	v_dual_cndmask_b32 v160, v160, v162 :: v_dual_and_b32 v151, 0x80000000, v151
	s_delay_alu instid0(VALU_DEP_1) | instskip(NEXT) | instid1(VALU_DEP_1)
	v_lshlrev_b32_e32 v160, 20, v160
	v_or3_b32 v160, v151, v161, v160
.LBB4_667:                              ;   in Loop: Header=BB4_142 Depth=2
	s_or_b32 exec_lo, exec_lo, s25
	v_and_b32_e32 v161, 0xff, v16
	s_mov_b32 s11, 0
	s_mov_b32 s26, exec_lo
                                        ; implicit-def: $sgpr25
	s_delay_alu instid0(VALU_DEP_1)
	v_cmpx_lt_i16_e64 0x7f, v161
	s_xor_b32 s26, exec_lo, s26
	s_cbranch_execnz .LBB4_1241
; %bb.668:                              ;   in Loop: Header=BB4_142 Depth=2
	s_or_saveexec_b32 s26, s26
	v_mov_b32_e32 v151, s25
	s_xor_b32 exec_lo, exec_lo, s26
	s_cbranch_execnz .LBB4_1244
.LBB4_669:                              ;   in Loop: Header=BB4_142 Depth=2
	s_or_b32 exec_lo, exec_lo, s26
	s_and_saveexec_b32 s25, s11
	s_cbranch_execz .LBB4_671
.LBB4_670:                              ;   in Loop: Header=BB4_142 Depth=2
	v_and_b32_e32 v151, 7, v16
	v_bfe_u32 v163, v16, 3, 4
	s_delay_alu instid0(VALU_DEP_2) | instskip(NEXT) | instid1(VALU_DEP_2)
	v_clz_i32_u32_e32 v161, v151
	v_cmp_eq_u32_e32 vcc_lo, 0, v163
	s_delay_alu instid0(VALU_DEP_2) | instskip(NEXT) | instid1(VALU_DEP_1)
	v_min_u32_e32 v161, 32, v161
	v_subrev_nc_u32_e32 v162, 28, v161
	v_sub_nc_u32_e32 v161, 29, v161
	s_delay_alu instid0(VALU_DEP_1) | instskip(NEXT) | instid1(VALU_DEP_1)
	v_dual_cndmask_b32 v161, v163, v161 :: v_dual_lshlrev_b32 v162, v162, v16
	v_and_b32_e32 v162, 7, v162
	v_lshlrev_b32_e32 v164, 24, v16
	s_delay_alu instid0(VALU_DEP_3) | instskip(NEXT) | instid1(VALU_DEP_2)
	v_lshl_add_u32 v161, v161, 23, 0x3b800000
	v_dual_cndmask_b32 v151, v151, v162 :: v_dual_and_b32 v162, 0x80000000, v164
	s_delay_alu instid0(VALU_DEP_1) | instskip(NEXT) | instid1(VALU_DEP_1)
	v_lshlrev_b32_e32 v151, 20, v151
	v_or3_b32 v151, v162, v161, v151
.LBB4_671:                              ;   in Loop: Header=BB4_142 Depth=2
	s_or_b32 exec_lo, exec_lo, s25
	s_delay_alu instid0(VALU_DEP_1) | instskip(NEXT) | instid1(VALU_DEP_1)
	v_add_f32_e32 v160, v160, v151
	v_and_b32_e32 v151, 0x7f800000, v160
	s_delay_alu instid0(VALU_DEP_1)
	v_cmp_ne_u32_e32 vcc_lo, 0x7f800000, v151
	v_mov_b32_e32 v151, 0x80
	s_and_saveexec_b32 s25, vcc_lo
	s_cbranch_execz .LBB4_679
; %bb.672:                              ;   in Loop: Header=BB4_142 Depth=2
	v_mov_b32_e32 v151, 0
	s_mov_b32 s26, exec_lo
	v_cmpx_ne_u32_e32 0, v160
	s_cbranch_execz .LBB4_678
; %bb.673:                              ;   in Loop: Header=BB4_142 Depth=2
	v_bfe_u32 v151, v160, 23, 8
	s_delay_alu instid0(VALU_DEP_1) | instskip(SKIP_1) | instid1(VALU_DEP_2)
	v_sub_nc_u32_e32 v162, 0x78, v151
	v_cmp_gt_u32_e32 vcc_lo, 0x79, v151
	v_dual_cndmask_b32 v162, 0, v162 :: v_dual_and_b32 v161, 0x7fffff, v160
	s_delay_alu instid0(VALU_DEP_1) | instskip(SKIP_2) | instid1(VALU_DEP_4)
	v_or_b32_e32 v163, 0x800000, v161
	v_cmp_eq_u32_e32 vcc_lo, 0, v151
	v_add_nc_u32_e32 v151, 0xffffff89, v151
	v_cndmask_b32_e64 v162, v162, 0x77, vcc_lo
	s_delay_alu instid0(VALU_DEP_2) | instskip(SKIP_1) | instid1(VALU_DEP_3)
	v_cndmask_b32_e64 v151, v151, 0xffffff8a, vcc_lo
	v_cndmask_b32_e32 v161, v163, v161, vcc_lo
	v_lshl_add_u32 v163, 0x100000, v162, -1
	v_lshlrev_b32_e64 v166, v162, 0x80000
	s_delay_alu instid0(VALU_DEP_3) | instskip(SKIP_1) | instid1(VALU_DEP_4)
	v_lshrrev_b32_e32 v164, v162, v161
	v_add_nc_u32_e32 v162, v162, v151
	v_and_b32_e32 v161, v163, v161
	s_delay_alu instid0(VALU_DEP_3) | instskip(NEXT) | instid1(VALU_DEP_2)
	v_bfe_u32 v165, v164, 20, 1
	v_cmp_eq_u32_e64 s11, v161, v166
	s_delay_alu instid0(VALU_DEP_2) | instskip(NEXT) | instid1(VALU_DEP_1)
	v_add_nc_u32_e32 v163, -1, v165
	v_cndmask_b32_e64 v161, 0, v163, s11
	v_lshrrev_b32_e32 v163, 23, v164
	s_mov_b32 s11, exec_lo
	s_delay_alu instid0(VALU_DEP_2) | instskip(NEXT) | instid1(VALU_DEP_2)
	v_add_nc_u32_e32 v161, v161, v164
	v_xor_b32_e32 v163, 1, v163
	s_delay_alu instid0(VALU_DEP_2) | instskip(NEXT) | instid1(VALU_DEP_1)
	v_and_b32_e32 v151, 0xfffff, v161
	v_add_nc_u32_e32 v161, v151, v164
                                        ; implicit-def: $vgpr151
	s_delay_alu instid0(VALU_DEP_3)
	v_cmpx_ne_u32_e64 v162, v163
	s_xor_b32 s11, exec_lo, s11
; %bb.674:                              ;   in Loop: Header=BB4_142 Depth=2
	s_delay_alu instid0(VALU_DEP_2) | instskip(SKIP_2) | instid1(VALU_DEP_2)
	v_cmp_lt_u32_e32 vcc_lo, 0xffffff, v161
	v_sub_nc_u32_e32 v151, v162, v163
	v_cndmask_b32_e64 v162, 0, 1, vcc_lo
	v_add_co_ci_u32_e32 v151, vcc_lo, 0, v151, vcc_lo
	s_delay_alu instid0(VALU_DEP_2)
	v_lshrrev_b32_e32 v161, v162, v161
; %bb.675:                              ;   in Loop: Header=BB4_142 Depth=2
	s_and_not1_saveexec_b32 s11, s11
; %bb.676:                              ;   in Loop: Header=BB4_142 Depth=2
	s_delay_alu instid0(VALU_DEP_1)
	v_bfe_u32 v151, v161, 23, 1
; %bb.677:                              ;   in Loop: Header=BB4_142 Depth=2
	s_or_b32 exec_lo, exec_lo, s11
	v_lshrrev_b32_e32 v161, 20, v161
	s_delay_alu instid0(VALU_DEP_2) | instskip(SKIP_2) | instid1(VALU_DEP_2)
	v_cmp_gt_i32_e32 vcc_lo, 16, v151
	v_lshrrev_b32_e32 v160, 24, v160
	v_min_i32_e32 v162, 15, v151
	v_dual_cndmask_b32 v161, 7, v161 :: v_dual_and_b32 v160, 0x80, v160
	s_delay_alu instid0(VALU_DEP_1) | instskip(SKIP_1) | instid1(VALU_DEP_2)
	v_or_b32_e32 v151, v151, v161
	v_and_b32_e32 v163, 7, v161
	v_cmp_ne_u32_e32 vcc_lo, 0, v151
	v_lshlrev_b32_e32 v162, 3, v162
	s_delay_alu instid0(VALU_DEP_1) | instskip(NEXT) | instid1(VALU_DEP_1)
	v_or3_b32 v160, v162, v160, v163
	v_cndmask_b32_e32 v151, 0, v160, vcc_lo
.LBB4_678:                              ;   in Loop: Header=BB4_142 Depth=2
	s_or_b32 exec_lo, exec_lo, s26
.LBB4_679:                              ;   in Loop: Header=BB4_142 Depth=2
	s_delay_alu instid0(SALU_CYCLE_1) | instskip(SKIP_3) | instid1(VALU_DEP_1)
	s_or_b32 exec_lo, exec_lo, s25
	v_and_b32_e32 v161, 0xff, v149
	s_mov_b32 s11, 0
	s_mov_b32 s26, exec_lo
                                        ; implicit-def: $sgpr25
	v_cmpx_lt_i16_e64 0x7f, v161
	s_xor_b32 s26, exec_lo, s26
	s_cbranch_execnz .LBB4_1245
; %bb.680:                              ;   in Loop: Header=BB4_142 Depth=2
	s_or_saveexec_b32 s26, s26
	v_mov_b32_e32 v160, s25
	s_xor_b32 exec_lo, exec_lo, s26
	s_cbranch_execnz .LBB4_1248
.LBB4_681:                              ;   in Loop: Header=BB4_142 Depth=2
	s_or_b32 exec_lo, exec_lo, s26
	s_and_saveexec_b32 s25, s11
	s_cbranch_execz .LBB4_683
.LBB4_682:                              ;   in Loop: Header=BB4_142 Depth=2
	v_and_b32_e32 v160, 7, v149
	v_bfe_u32 v163, v149, 3, 4
	s_delay_alu instid0(VALU_DEP_2) | instskip(NEXT) | instid1(VALU_DEP_2)
	v_clz_i32_u32_e32 v161, v160
	v_cmp_eq_u32_e32 vcc_lo, 0, v163
	s_delay_alu instid0(VALU_DEP_2) | instskip(NEXT) | instid1(VALU_DEP_1)
	v_min_u32_e32 v161, 32, v161
	v_subrev_nc_u32_e32 v162, 28, v161
	v_sub_nc_u32_e32 v161, 29, v161
	s_delay_alu instid0(VALU_DEP_2) | instskip(NEXT) | instid1(VALU_DEP_1)
	v_lshlrev_b32_e32 v162, v162, v149
	v_dual_cndmask_b32 v161, v163, v161 :: v_dual_and_b32 v162, 7, v162
	v_lshlrev_b32_e32 v149, 24, v149
	s_delay_alu instid0(VALU_DEP_2) | instskip(NEXT) | instid1(VALU_DEP_2)
	v_lshl_add_u32 v161, v161, 23, 0x3b800000
	v_dual_cndmask_b32 v160, v160, v162 :: v_dual_and_b32 v149, 0x80000000, v149
	s_delay_alu instid0(VALU_DEP_1) | instskip(NEXT) | instid1(VALU_DEP_1)
	v_lshlrev_b32_e32 v160, 20, v160
	v_or3_b32 v160, v149, v161, v160
.LBB4_683:                              ;   in Loop: Header=BB4_142 Depth=2
	s_or_b32 exec_lo, exec_lo, s25
	v_lshrrev_b16 v149, 8, v16
	s_mov_b32 s11, 0
	s_mov_b32 s26, exec_lo
                                        ; implicit-def: $sgpr25
	s_delay_alu instid0(VALU_DEP_1)
	v_cmpx_lt_i16_e64 0x7f, v149
	s_xor_b32 s26, exec_lo, s26
	s_cbranch_execnz .LBB4_1249
; %bb.684:                              ;   in Loop: Header=BB4_142 Depth=2
	s_or_saveexec_b32 s26, s26
	v_mov_b32_e32 v161, s25
	s_xor_b32 exec_lo, exec_lo, s26
	s_cbranch_execnz .LBB4_1252
.LBB4_685:                              ;   in Loop: Header=BB4_142 Depth=2
	s_or_b32 exec_lo, exec_lo, s26
	s_and_saveexec_b32 s25, s11
	s_cbranch_execz .LBB4_687
.LBB4_686:                              ;   in Loop: Header=BB4_142 Depth=2
	v_and_b32_e32 v161, 0xffff, v149
	v_lshlrev_b32_e32 v149, 24, v149
	s_delay_alu instid0(VALU_DEP_2) | instskip(NEXT) | instid1(VALU_DEP_2)
	v_and_b32_e32 v162, 7, v161
	v_and_b32_e32 v149, 0x80000000, v149
	s_delay_alu instid0(VALU_DEP_2) | instskip(NEXT) | instid1(VALU_DEP_1)
	v_clz_i32_u32_e32 v163, v162
	v_min_u32_e32 v163, 32, v163
	s_delay_alu instid0(VALU_DEP_1) | instskip(SKIP_1) | instid1(VALU_DEP_2)
	v_subrev_nc_u32_e32 v164, 28, v163
	v_sub_nc_u32_e32 v163, 29, v163
	v_lshlrev_b32_e32 v164, v164, v161
	v_bfe_u32 v161, v161, 3, 4
	s_delay_alu instid0(VALU_DEP_2) | instskip(NEXT) | instid1(VALU_DEP_2)
	v_and_b32_e32 v164, 7, v164
	v_cmp_eq_u32_e32 vcc_lo, 0, v161
	s_delay_alu instid0(VALU_DEP_2) | instskip(NEXT) | instid1(VALU_DEP_1)
	v_dual_cndmask_b32 v161, v161, v163 :: v_dual_cndmask_b32 v162, v162, v164
	v_lshl_add_u32 v161, v161, 23, 0x3b800000
	s_delay_alu instid0(VALU_DEP_2) | instskip(NEXT) | instid1(VALU_DEP_1)
	v_lshlrev_b32_e32 v162, 20, v162
	v_or3_b32 v161, v149, v161, v162
.LBB4_687:                              ;   in Loop: Header=BB4_142 Depth=2
	s_or_b32 exec_lo, exec_lo, s25
	s_delay_alu instid0(VALU_DEP_1) | instskip(NEXT) | instid1(VALU_DEP_1)
	v_add_f32_e32 v160, v160, v161
	v_and_b32_e32 v149, 0x7f800000, v160
	s_delay_alu instid0(VALU_DEP_1)
	v_cmp_ne_u32_e32 vcc_lo, 0x7f800000, v149
	v_mov_b32_e32 v149, 0x80
	s_and_saveexec_b32 s25, vcc_lo
	s_cbranch_execz .LBB4_695
; %bb.688:                              ;   in Loop: Header=BB4_142 Depth=2
	v_mov_b32_e32 v149, 0
	s_mov_b32 s26, exec_lo
	v_cmpx_ne_u32_e32 0, v160
	s_cbranch_execz .LBB4_694
; %bb.689:                              ;   in Loop: Header=BB4_142 Depth=2
	v_bfe_u32 v149, v160, 23, 8
	s_delay_alu instid0(VALU_DEP_1) | instskip(SKIP_1) | instid1(VALU_DEP_2)
	v_sub_nc_u32_e32 v162, 0x78, v149
	v_cmp_gt_u32_e32 vcc_lo, 0x79, v149
	v_dual_cndmask_b32 v162, 0, v162 :: v_dual_and_b32 v161, 0x7fffff, v160
	s_delay_alu instid0(VALU_DEP_1) | instskip(SKIP_2) | instid1(VALU_DEP_4)
	v_or_b32_e32 v163, 0x800000, v161
	v_cmp_eq_u32_e32 vcc_lo, 0, v149
	v_add_nc_u32_e32 v149, 0xffffff89, v149
	v_cndmask_b32_e64 v162, v162, 0x77, vcc_lo
	s_delay_alu instid0(VALU_DEP_4) | instskip(NEXT) | instid1(VALU_DEP_3)
	v_cndmask_b32_e32 v161, v163, v161, vcc_lo
	v_cndmask_b32_e64 v149, v149, 0xffffff8a, vcc_lo
	s_delay_alu instid0(VALU_DEP_3) | instskip(NEXT) | instid1(VALU_DEP_3)
	v_lshl_add_u32 v163, 0x100000, v162, -1
	v_lshrrev_b32_e32 v164, v162, v161
	v_lshlrev_b32_e64 v166, v162, 0x80000
	s_delay_alu instid0(VALU_DEP_4) | instskip(NEXT) | instid1(VALU_DEP_4)
	v_add_nc_u32_e32 v162, v162, v149
	v_and_b32_e32 v161, v163, v161
	s_delay_alu instid0(VALU_DEP_4) | instskip(NEXT) | instid1(VALU_DEP_2)
	v_bfe_u32 v165, v164, 20, 1
	v_cmp_eq_u32_e64 s11, v161, v166
	s_delay_alu instid0(VALU_DEP_2) | instskip(NEXT) | instid1(VALU_DEP_1)
	v_add_nc_u32_e32 v163, -1, v165
	v_cndmask_b32_e64 v161, 0, v163, s11
	v_lshrrev_b32_e32 v163, 23, v164
	s_mov_b32 s11, exec_lo
	s_delay_alu instid0(VALU_DEP_2) | instskip(NEXT) | instid1(VALU_DEP_2)
	v_add_nc_u32_e32 v161, v161, v164
	v_xor_b32_e32 v163, 1, v163
	s_delay_alu instid0(VALU_DEP_2) | instskip(NEXT) | instid1(VALU_DEP_1)
	v_and_b32_e32 v149, 0xfffff, v161
	v_add_nc_u32_e32 v161, v149, v164
                                        ; implicit-def: $vgpr149
	s_delay_alu instid0(VALU_DEP_3)
	v_cmpx_ne_u32_e64 v162, v163
	s_xor_b32 s11, exec_lo, s11
; %bb.690:                              ;   in Loop: Header=BB4_142 Depth=2
	s_delay_alu instid0(VALU_DEP_2) | instskip(SKIP_2) | instid1(VALU_DEP_2)
	v_cmp_lt_u32_e32 vcc_lo, 0xffffff, v161
	v_sub_nc_u32_e32 v149, v162, v163
	v_cndmask_b32_e64 v162, 0, 1, vcc_lo
	v_add_co_ci_u32_e32 v149, vcc_lo, 0, v149, vcc_lo
	s_delay_alu instid0(VALU_DEP_2)
	v_lshrrev_b32_e32 v161, v162, v161
; %bb.691:                              ;   in Loop: Header=BB4_142 Depth=2
	s_and_not1_saveexec_b32 s11, s11
; %bb.692:                              ;   in Loop: Header=BB4_142 Depth=2
	s_delay_alu instid0(VALU_DEP_1)
	v_bfe_u32 v149, v161, 23, 1
; %bb.693:                              ;   in Loop: Header=BB4_142 Depth=2
	s_or_b32 exec_lo, exec_lo, s11
	v_lshrrev_b32_e32 v161, 20, v161
	s_delay_alu instid0(VALU_DEP_2) | instskip(SKIP_2) | instid1(VALU_DEP_2)
	v_cmp_gt_i32_e32 vcc_lo, 16, v149
	v_lshrrev_b32_e32 v160, 24, v160
	v_min_i32_e32 v162, 15, v149
	v_dual_cndmask_b32 v161, 7, v161 :: v_dual_and_b32 v160, 0x80, v160
	s_delay_alu instid0(VALU_DEP_1) | instskip(SKIP_1) | instid1(VALU_DEP_2)
	v_or_b32_e32 v149, v149, v161
	v_and_b32_e32 v163, 7, v161
	v_cmp_ne_u32_e32 vcc_lo, 0, v149
	v_lshlrev_b32_e32 v162, 3, v162
	s_delay_alu instid0(VALU_DEP_1) | instskip(NEXT) | instid1(VALU_DEP_1)
	v_or3_b32 v160, v162, v160, v163
	v_cndmask_b32_e32 v149, 0, v160, vcc_lo
.LBB4_694:                              ;   in Loop: Header=BB4_142 Depth=2
	s_or_b32 exec_lo, exec_lo, s26
.LBB4_695:                              ;   in Loop: Header=BB4_142 Depth=2
	s_delay_alu instid0(SALU_CYCLE_1) | instskip(SKIP_3) | instid1(VALU_DEP_1)
	s_or_b32 exec_lo, exec_lo, s25
	v_and_b32_e32 v161, 0xff, v148
	s_mov_b32 s11, 0
	s_mov_b32 s26, exec_lo
                                        ; implicit-def: $sgpr25
	v_cmpx_lt_i16_e64 0x7f, v161
	s_xor_b32 s26, exec_lo, s26
	s_cbranch_execnz .LBB4_1253
; %bb.696:                              ;   in Loop: Header=BB4_142 Depth=2
	s_or_saveexec_b32 s26, s26
	v_mov_b32_e32 v160, s25
	s_xor_b32 exec_lo, exec_lo, s26
	s_cbranch_execnz .LBB4_1256
.LBB4_697:                              ;   in Loop: Header=BB4_142 Depth=2
	s_or_b32 exec_lo, exec_lo, s26
	s_and_saveexec_b32 s25, s11
	s_cbranch_execz .LBB4_699
.LBB4_698:                              ;   in Loop: Header=BB4_142 Depth=2
	v_bfe_u32 v163, v148, 3, 4
	s_delay_alu instid0(VALU_DEP_1) | instskip(SKIP_1) | instid1(VALU_DEP_1)
	v_cmp_eq_u32_e32 vcc_lo, 0, v163
	v_and_b32_e32 v160, 7, v148
	v_clz_i32_u32_e32 v161, v160
	s_delay_alu instid0(VALU_DEP_1) | instskip(NEXT) | instid1(VALU_DEP_1)
	v_min_u32_e32 v161, 32, v161
	v_subrev_nc_u32_e32 v162, 28, v161
	v_sub_nc_u32_e32 v161, 29, v161
	s_delay_alu instid0(VALU_DEP_1) | instskip(SKIP_1) | instid1(VALU_DEP_2)
	v_dual_cndmask_b32 v161, v163, v161 :: v_dual_lshlrev_b32 v162, v162, v148
	v_lshlrev_b32_e32 v148, 24, v148
	v_and_b32_e32 v162, 7, v162
	s_delay_alu instid0(VALU_DEP_3) | instskip(NEXT) | instid1(VALU_DEP_3)
	v_lshl_add_u32 v161, v161, 23, 0x3b800000
	v_and_b32_e32 v148, 0x80000000, v148
	s_delay_alu instid0(VALU_DEP_3) | instskip(NEXT) | instid1(VALU_DEP_1)
	v_cndmask_b32_e32 v160, v160, v162, vcc_lo
	v_lshlrev_b32_e32 v160, 20, v160
	s_delay_alu instid0(VALU_DEP_1)
	v_or3_b32 v160, v148, v161, v160
.LBB4_699:                              ;   in Loop: Header=BB4_142 Depth=2
	s_or_b32 exec_lo, exec_lo, s25
	v_lshrrev_b32_e32 v148, 16, v16
	s_mov_b32 s11, 0
	s_mov_b32 s26, exec_lo
                                        ; implicit-def: $sgpr25
	s_delay_alu instid0(VALU_DEP_1) | instskip(NEXT) | instid1(VALU_DEP_1)
	v_and_b32_e32 v162, 0xff, v148
	v_cmpx_lt_i16_e64 0x7f, v162
	s_xor_b32 s26, exec_lo, s26
	s_cbranch_execnz .LBB4_1257
; %bb.700:                              ;   in Loop: Header=BB4_142 Depth=2
	s_or_saveexec_b32 s26, s26
	v_mov_b32_e32 v161, s25
	s_xor_b32 exec_lo, exec_lo, s26
	s_cbranch_execnz .LBB4_1260
.LBB4_701:                              ;   in Loop: Header=BB4_142 Depth=2
	s_or_b32 exec_lo, exec_lo, s26
	s_and_saveexec_b32 s25, s11
	s_cbranch_execz .LBB4_703
.LBB4_702:                              ;   in Loop: Header=BB4_142 Depth=2
	v_bfe_u32 v161, v16, 16, 3
	v_lshlrev_b32_e32 v164, 8, v16
	s_delay_alu instid0(VALU_DEP_2) | instskip(NEXT) | instid1(VALU_DEP_1)
	v_clz_i32_u32_e32 v162, v161
	v_min_u32_e32 v162, 32, v162
	s_delay_alu instid0(VALU_DEP_1) | instskip(SKIP_1) | instid1(VALU_DEP_2)
	v_subrev_nc_u32_e32 v163, 28, v162
	v_sub_nc_u32_e32 v162, 29, v162
	v_lshlrev_b32_e32 v148, v163, v148
	v_bfe_u32 v163, v16, 19, 4
	s_delay_alu instid0(VALU_DEP_2) | instskip(NEXT) | instid1(VALU_DEP_2)
	v_and_b32_e32 v148, 7, v148
	v_cmp_eq_u32_e32 vcc_lo, 0, v163
	v_cndmask_b32_e32 v162, v163, v162, vcc_lo
	s_delay_alu instid0(VALU_DEP_3) | instskip(SKIP_1) | instid1(VALU_DEP_3)
	v_cndmask_b32_e32 v148, v161, v148, vcc_lo
	v_and_b32_e32 v161, 0x80000000, v164
	v_lshl_add_u32 v162, v162, 23, 0x3b800000
	s_delay_alu instid0(VALU_DEP_3) | instskip(NEXT) | instid1(VALU_DEP_1)
	v_lshlrev_b32_e32 v148, 20, v148
	v_or3_b32 v161, v161, v162, v148
.LBB4_703:                              ;   in Loop: Header=BB4_142 Depth=2
	s_or_b32 exec_lo, exec_lo, s25
	s_delay_alu instid0(VALU_DEP_1) | instskip(NEXT) | instid1(VALU_DEP_1)
	v_add_f32_e32 v160, v160, v161
	v_and_b32_e32 v148, 0x7f800000, v160
	s_delay_alu instid0(VALU_DEP_1)
	v_cmp_ne_u32_e32 vcc_lo, 0x7f800000, v148
	v_mov_b32_e32 v148, 0x80
	s_and_saveexec_b32 s25, vcc_lo
	s_cbranch_execz .LBB4_711
; %bb.704:                              ;   in Loop: Header=BB4_142 Depth=2
	v_mov_b32_e32 v148, 0
	s_mov_b32 s26, exec_lo
	v_cmpx_ne_u32_e32 0, v160
	s_cbranch_execz .LBB4_710
; %bb.705:                              ;   in Loop: Header=BB4_142 Depth=2
	v_bfe_u32 v148, v160, 23, 8
	s_delay_alu instid0(VALU_DEP_1) | instskip(SKIP_1) | instid1(VALU_DEP_2)
	v_sub_nc_u32_e32 v162, 0x78, v148
	v_cmp_gt_u32_e32 vcc_lo, 0x79, v148
	v_dual_cndmask_b32 v162, 0, v162 :: v_dual_and_b32 v161, 0x7fffff, v160
	s_delay_alu instid0(VALU_DEP_1) | instskip(SKIP_2) | instid1(VALU_DEP_4)
	v_or_b32_e32 v163, 0x800000, v161
	v_cmp_eq_u32_e32 vcc_lo, 0, v148
	v_add_nc_u32_e32 v148, 0xffffff89, v148
	v_cndmask_b32_e64 v162, v162, 0x77, vcc_lo
	s_delay_alu instid0(VALU_DEP_4) | instskip(NEXT) | instid1(VALU_DEP_3)
	v_cndmask_b32_e32 v161, v163, v161, vcc_lo
	v_cndmask_b32_e64 v148, v148, 0xffffff8a, vcc_lo
	s_delay_alu instid0(VALU_DEP_3) | instskip(NEXT) | instid1(VALU_DEP_3)
	v_lshl_add_u32 v163, 0x100000, v162, -1
	v_lshrrev_b32_e32 v164, v162, v161
	v_lshlrev_b32_e64 v166, v162, 0x80000
	s_delay_alu instid0(VALU_DEP_4) | instskip(NEXT) | instid1(VALU_DEP_4)
	v_add_nc_u32_e32 v162, v162, v148
	v_and_b32_e32 v161, v163, v161
	s_delay_alu instid0(VALU_DEP_4) | instskip(NEXT) | instid1(VALU_DEP_2)
	v_bfe_u32 v165, v164, 20, 1
	v_cmp_eq_u32_e64 s11, v161, v166
	s_delay_alu instid0(VALU_DEP_2) | instskip(NEXT) | instid1(VALU_DEP_1)
	v_add_nc_u32_e32 v163, -1, v165
	v_cndmask_b32_e64 v161, 0, v163, s11
	v_lshrrev_b32_e32 v163, 23, v164
	s_mov_b32 s11, exec_lo
	s_delay_alu instid0(VALU_DEP_2) | instskip(NEXT) | instid1(VALU_DEP_2)
	v_add_nc_u32_e32 v161, v161, v164
	v_xor_b32_e32 v163, 1, v163
	s_delay_alu instid0(VALU_DEP_2) | instskip(NEXT) | instid1(VALU_DEP_1)
	v_and_b32_e32 v148, 0xfffff, v161
	v_add_nc_u32_e32 v161, v148, v164
                                        ; implicit-def: $vgpr148
	s_delay_alu instid0(VALU_DEP_3)
	v_cmpx_ne_u32_e64 v162, v163
	s_xor_b32 s11, exec_lo, s11
; %bb.706:                              ;   in Loop: Header=BB4_142 Depth=2
	s_delay_alu instid0(VALU_DEP_2) | instskip(SKIP_2) | instid1(VALU_DEP_2)
	v_cmp_lt_u32_e32 vcc_lo, 0xffffff, v161
	v_sub_nc_u32_e32 v148, v162, v163
	v_cndmask_b32_e64 v162, 0, 1, vcc_lo
	v_add_co_ci_u32_e32 v148, vcc_lo, 0, v148, vcc_lo
	s_delay_alu instid0(VALU_DEP_2)
	v_lshrrev_b32_e32 v161, v162, v161
; %bb.707:                              ;   in Loop: Header=BB4_142 Depth=2
	s_and_not1_saveexec_b32 s11, s11
; %bb.708:                              ;   in Loop: Header=BB4_142 Depth=2
	s_delay_alu instid0(VALU_DEP_1)
	v_bfe_u32 v148, v161, 23, 1
; %bb.709:                              ;   in Loop: Header=BB4_142 Depth=2
	s_or_b32 exec_lo, exec_lo, s11
	v_lshrrev_b32_e32 v161, 20, v161
	s_delay_alu instid0(VALU_DEP_2) | instskip(SKIP_2) | instid1(VALU_DEP_2)
	v_cmp_gt_i32_e32 vcc_lo, 16, v148
	v_lshrrev_b32_e32 v160, 24, v160
	v_min_i32_e32 v162, 15, v148
	v_dual_cndmask_b32 v161, 7, v161 :: v_dual_and_b32 v160, 0x80, v160
	s_delay_alu instid0(VALU_DEP_2) | instskip(NEXT) | instid1(VALU_DEP_2)
	v_lshlrev_b32_e32 v162, 3, v162
	v_or_b32_e32 v148, v148, v161
	s_delay_alu instid0(VALU_DEP_1) | instskip(SKIP_1) | instid1(VALU_DEP_1)
	v_cmp_ne_u32_e32 vcc_lo, 0, v148
	v_and_b32_e32 v163, 7, v161
	v_or3_b32 v160, v162, v160, v163
	s_delay_alu instid0(VALU_DEP_1)
	v_cndmask_b32_e32 v148, 0, v160, vcc_lo
.LBB4_710:                              ;   in Loop: Header=BB4_142 Depth=2
	s_or_b32 exec_lo, exec_lo, s26
.LBB4_711:                              ;   in Loop: Header=BB4_142 Depth=2
	s_delay_alu instid0(SALU_CYCLE_1) | instskip(SKIP_3) | instid1(VALU_DEP_1)
	s_or_b32 exec_lo, exec_lo, s25
	v_and_b32_e32 v161, 0xff, v145
	s_mov_b32 s11, 0
	s_mov_b32 s26, exec_lo
                                        ; implicit-def: $sgpr25
	v_cmpx_lt_i16_e64 0x7f, v161
	s_xor_b32 s26, exec_lo, s26
	s_cbranch_execnz .LBB4_1261
; %bb.712:                              ;   in Loop: Header=BB4_142 Depth=2
	s_or_saveexec_b32 s26, s26
	v_mov_b32_e32 v160, s25
	s_xor_b32 exec_lo, exec_lo, s26
	s_cbranch_execnz .LBB4_1264
.LBB4_713:                              ;   in Loop: Header=BB4_142 Depth=2
	s_or_b32 exec_lo, exec_lo, s26
	s_and_saveexec_b32 s25, s11
	s_cbranch_execz .LBB4_715
.LBB4_714:                              ;   in Loop: Header=BB4_142 Depth=2
	v_lshlrev_b32_e32 v145, 8, v145
	s_delay_alu instid0(VALU_DEP_1) | instskip(SKIP_1) | instid1(VALU_DEP_2)
	v_and_b32_e32 v160, 0xff00, v145
	v_bfe_u32 v145, v145, 11, 4
	v_bfe_u32 v162, v160, 8, 3
	s_delay_alu instid0(VALU_DEP_2) | instskip(NEXT) | instid1(VALU_DEP_2)
	v_cmp_eq_u32_e32 vcc_lo, 0, v145
	v_clz_i32_u32_e32 v163, v162
	s_delay_alu instid0(VALU_DEP_1) | instskip(NEXT) | instid1(VALU_DEP_1)
	v_min_u32_e32 v163, 32, v163
	v_subrev_nc_u32_e32 v164, 28, v163
	v_sub_nc_u32_e32 v163, 29, v163
	s_delay_alu instid0(VALU_DEP_2) | instskip(NEXT) | instid1(VALU_DEP_2)
	v_lshlrev_b32_e32 v161, v164, v161
	v_cndmask_b32_e32 v145, v145, v163, vcc_lo
	s_delay_alu instid0(VALU_DEP_2) | instskip(SKIP_1) | instid1(VALU_DEP_3)
	v_and_b32_e32 v161, 7, v161
	v_lshlrev_b32_e32 v160, 16, v160
	v_lshl_add_u32 v145, v145, 23, 0x3b800000
	s_delay_alu instid0(VALU_DEP_2) | instskip(NEXT) | instid1(VALU_DEP_1)
	v_dual_cndmask_b32 v161, v162, v161 :: v_dual_and_b32 v160, 0x80000000, v160
	v_lshlrev_b32_e32 v161, 20, v161
	s_delay_alu instid0(VALU_DEP_1)
	v_or3_b32 v160, v160, v145, v161
.LBB4_715:                              ;   in Loop: Header=BB4_142 Depth=2
	s_or_b32 exec_lo, exec_lo, s25
	v_lshrrev_b32_e32 v145, 24, v16
	s_mov_b32 s11, 0
	s_mov_b32 s26, exec_lo
                                        ; implicit-def: $sgpr25
	s_delay_alu instid0(VALU_DEP_1)
	v_cmpx_lt_i16_e64 0x7f, v145
	s_xor_b32 s26, exec_lo, s26
	s_cbranch_execnz .LBB4_1265
; %bb.716:                              ;   in Loop: Header=BB4_142 Depth=2
	s_or_saveexec_b32 s26, s26
	v_mov_b32_e32 v161, s25
	s_xor_b32 exec_lo, exec_lo, s26
	s_cbranch_execnz .LBB4_1268
.LBB4_717:                              ;   in Loop: Header=BB4_142 Depth=2
	s_or_b32 exec_lo, exec_lo, s26
	s_and_saveexec_b32 s25, s11
	s_cbranch_execz .LBB4_719
.LBB4_718:                              ;   in Loop: Header=BB4_142 Depth=2
	v_bfe_u32 v161, v16, 24, 3
	s_delay_alu instid0(VALU_DEP_1) | instskip(NEXT) | instid1(VALU_DEP_1)
	v_clz_i32_u32_e32 v162, v161
	v_min_u32_e32 v162, 32, v162
	s_delay_alu instid0(VALU_DEP_1) | instskip(SKIP_1) | instid1(VALU_DEP_2)
	v_subrev_nc_u32_e32 v163, 28, v162
	v_sub_nc_u32_e32 v162, 29, v162
	v_lshlrev_b32_e32 v145, v163, v145
	v_bfe_u32 v163, v16, 27, 4
	v_and_b32_e32 v16, 0x80000000, v16
	s_delay_alu instid0(VALU_DEP_2) | instskip(NEXT) | instid1(VALU_DEP_4)
	v_cmp_eq_u32_e32 vcc_lo, 0, v163
	v_dual_cndmask_b32 v162, v163, v162 :: v_dual_and_b32 v145, 7, v145
	s_delay_alu instid0(VALU_DEP_1) | instskip(NEXT) | instid1(VALU_DEP_2)
	v_cndmask_b32_e32 v145, v161, v145, vcc_lo
	v_lshl_add_u32 v161, v162, 23, 0x3b800000
	s_delay_alu instid0(VALU_DEP_2) | instskip(NEXT) | instid1(VALU_DEP_1)
	v_lshlrev_b32_e32 v145, 20, v145
	v_or3_b32 v161, v16, v161, v145
.LBB4_719:                              ;   in Loop: Header=BB4_142 Depth=2
	s_or_b32 exec_lo, exec_lo, s25
	s_delay_alu instid0(VALU_DEP_1) | instskip(NEXT) | instid1(VALU_DEP_1)
	v_add_f32_e32 v145, v160, v161
	v_and_b32_e32 v16, 0x7f800000, v145
	s_delay_alu instid0(VALU_DEP_1)
	v_cmp_ne_u32_e32 vcc_lo, 0x7f800000, v16
	v_mov_b32_e32 v16, 0x80
	s_and_saveexec_b32 s25, vcc_lo
	s_cbranch_execz .LBB4_727
; %bb.720:                              ;   in Loop: Header=BB4_142 Depth=2
	v_mov_b32_e32 v16, 0
	s_mov_b32 s26, exec_lo
	v_cmpx_ne_u32_e32 0, v145
	s_cbranch_execz .LBB4_726
; %bb.721:                              ;   in Loop: Header=BB4_142 Depth=2
	v_bfe_u32 v16, v145, 23, 8
	v_and_b32_e32 v160, 0x7fffff, v145
	s_delay_alu instid0(VALU_DEP_2) | instskip(SKIP_1) | instid1(VALU_DEP_3)
	v_sub_nc_u32_e32 v161, 0x78, v16
	v_cmp_gt_u32_e32 vcc_lo, 0x79, v16
	v_or_b32_e32 v162, 0x800000, v160
	s_delay_alu instid0(VALU_DEP_3) | instskip(SKIP_2) | instid1(VALU_DEP_4)
	v_cndmask_b32_e32 v161, 0, v161, vcc_lo
	v_cmp_eq_u32_e32 vcc_lo, 0, v16
	v_add_nc_u32_e32 v16, 0xffffff89, v16
	v_cndmask_b32_e32 v160, v162, v160, vcc_lo
	s_delay_alu instid0(VALU_DEP_4) | instskip(NEXT) | instid1(VALU_DEP_3)
	v_cndmask_b32_e64 v161, v161, 0x77, vcc_lo
	v_cndmask_b32_e64 v16, v16, 0xffffff8a, vcc_lo
	s_delay_alu instid0(VALU_DEP_2) | instskip(SKIP_2) | instid1(VALU_DEP_4)
	v_lshrrev_b32_e32 v163, v161, v160
	v_lshl_add_u32 v162, 0x100000, v161, -1
	v_lshlrev_b32_e64 v165, v161, 0x80000
	v_add_nc_u32_e32 v161, v161, v16
	s_delay_alu instid0(VALU_DEP_4) | instskip(NEXT) | instid1(VALU_DEP_4)
	v_bfe_u32 v164, v163, 20, 1
	v_and_b32_e32 v160, v162, v160
	s_delay_alu instid0(VALU_DEP_2) | instskip(NEXT) | instid1(VALU_DEP_2)
	v_add_nc_u32_e32 v162, -1, v164
	v_cmp_eq_u32_e64 s11, v160, v165
	s_delay_alu instid0(VALU_DEP_1) | instskip(SKIP_2) | instid1(VALU_DEP_2)
	v_cndmask_b32_e64 v160, 0, v162, s11
	v_lshrrev_b32_e32 v162, 23, v163
	s_mov_b32 s11, exec_lo
	v_add_nc_u32_e32 v160, v160, v163
	s_delay_alu instid0(VALU_DEP_2) | instskip(NEXT) | instid1(VALU_DEP_2)
	v_xor_b32_e32 v162, 1, v162
	v_and_b32_e32 v16, 0xfffff, v160
	s_delay_alu instid0(VALU_DEP_1) | instskip(NEXT) | instid1(VALU_DEP_3)
	v_add_nc_u32_e32 v160, v16, v163
                                        ; implicit-def: $vgpr16
	v_cmpx_ne_u32_e64 v161, v162
	s_xor_b32 s11, exec_lo, s11
; %bb.722:                              ;   in Loop: Header=BB4_142 Depth=2
	s_delay_alu instid0(VALU_DEP_2) | instskip(SKIP_2) | instid1(VALU_DEP_2)
	v_cmp_lt_u32_e32 vcc_lo, 0xffffff, v160
	v_sub_nc_u32_e32 v16, v161, v162
	v_cndmask_b32_e64 v161, 0, 1, vcc_lo
	v_add_co_ci_u32_e32 v16, vcc_lo, 0, v16, vcc_lo
	s_delay_alu instid0(VALU_DEP_2)
	v_lshrrev_b32_e32 v160, v161, v160
; %bb.723:                              ;   in Loop: Header=BB4_142 Depth=2
	s_and_not1_saveexec_b32 s11, s11
; %bb.724:                              ;   in Loop: Header=BB4_142 Depth=2
	s_delay_alu instid0(VALU_DEP_1)
	v_bfe_u32 v16, v160, 23, 1
; %bb.725:                              ;   in Loop: Header=BB4_142 Depth=2
	s_or_b32 exec_lo, exec_lo, s11
	v_lshrrev_b32_e32 v160, 20, v160
	s_delay_alu instid0(VALU_DEP_2) | instskip(SKIP_2) | instid1(VALU_DEP_2)
	v_cmp_gt_i32_e32 vcc_lo, 16, v16
	v_lshrrev_b32_e32 v145, 24, v145
	v_min_i32_e32 v161, 15, v16
	v_dual_cndmask_b32 v160, 7, v160 :: v_dual_and_b32 v145, 0x80, v145
	s_delay_alu instid0(VALU_DEP_2) | instskip(NEXT) | instid1(VALU_DEP_2)
	v_lshlrev_b32_e32 v161, 3, v161
	v_and_b32_e32 v162, 7, v160
	v_or_b32_e32 v16, v16, v160
	s_delay_alu instid0(VALU_DEP_2) | instskip(NEXT) | instid1(VALU_DEP_2)
	v_or3_b32 v145, v161, v145, v162
	v_cmp_ne_u32_e32 vcc_lo, 0, v16
	s_delay_alu instid0(VALU_DEP_2)
	v_cndmask_b32_e32 v16, 0, v145, vcc_lo
.LBB4_726:                              ;   in Loop: Header=BB4_142 Depth=2
	s_or_b32 exec_lo, exec_lo, s26
.LBB4_727:                              ;   in Loop: Header=BB4_142 Depth=2
	s_delay_alu instid0(SALU_CYCLE_1) | instskip(SKIP_3) | instid1(VALU_DEP_1)
	s_or_b32 exec_lo, exec_lo, s25
	v_or_b32_e32 v150, v150, v144
	s_mov_b32 s11, 0
	s_mov_b32 s26, exec_lo
                                        ; implicit-def: $sgpr25
	v_and_b32_e32 v145, 0xff, v150
	s_delay_alu instid0(VALU_DEP_1)
	v_cmpx_lt_i16_e64 0x7f, v145
	s_xor_b32 s26, exec_lo, s26
	s_cbranch_execnz .LBB4_1269
; %bb.728:                              ;   in Loop: Header=BB4_142 Depth=2
	s_or_saveexec_b32 s26, s26
	v_mov_b32_e32 v144, s25
	s_xor_b32 exec_lo, exec_lo, s26
	s_cbranch_execnz .LBB4_1272
.LBB4_729:                              ;   in Loop: Header=BB4_142 Depth=2
	s_or_b32 exec_lo, exec_lo, s26
	s_and_saveexec_b32 s25, s11
	s_cbranch_execz .LBB4_731
.LBB4_730:                              ;   in Loop: Header=BB4_142 Depth=2
	v_bfe_u32 v161, v150, 3, 4
	v_lshlrev_b32_e32 v162, 24, v150
	s_delay_alu instid0(VALU_DEP_2) | instskip(SKIP_1) | instid1(VALU_DEP_1)
	v_cmp_eq_u32_e32 vcc_lo, 0, v161
	v_and_b32_e32 v144, 7, v150
	v_clz_i32_u32_e32 v145, v144
	s_delay_alu instid0(VALU_DEP_1) | instskip(NEXT) | instid1(VALU_DEP_1)
	v_min_u32_e32 v145, 32, v145
	v_subrev_nc_u32_e32 v160, 28, v145
	v_sub_nc_u32_e32 v145, 29, v145
	s_delay_alu instid0(VALU_DEP_1) | instskip(NEXT) | instid1(VALU_DEP_1)
	v_dual_cndmask_b32 v145, v161, v145 :: v_dual_lshlrev_b32 v160, v160, v150
	v_and_b32_e32 v160, 7, v160
	s_delay_alu instid0(VALU_DEP_2) | instskip(NEXT) | instid1(VALU_DEP_2)
	v_lshl_add_u32 v145, v145, 23, 0x3b800000
	v_cndmask_b32_e32 v144, v144, v160, vcc_lo
	v_and_b32_e32 v160, 0x80000000, v162
	s_delay_alu instid0(VALU_DEP_2) | instskip(NEXT) | instid1(VALU_DEP_1)
	v_lshlrev_b32_e32 v144, 20, v144
	v_or3_b32 v144, v160, v145, v144
.LBB4_731:                              ;   in Loop: Header=BB4_142 Depth=2
	s_or_b32 exec_lo, exec_lo, s25
	v_and_b32_e32 v160, 0xff, v17
	s_mov_b32 s11, 0
	s_mov_b32 s26, exec_lo
                                        ; implicit-def: $sgpr25
	s_delay_alu instid0(VALU_DEP_1)
	v_cmpx_lt_i16_e64 0x7f, v160
	s_xor_b32 s26, exec_lo, s26
	s_cbranch_execnz .LBB4_1273
; %bb.732:                              ;   in Loop: Header=BB4_142 Depth=2
	s_or_saveexec_b32 s26, s26
	v_mov_b32_e32 v145, s25
	s_xor_b32 exec_lo, exec_lo, s26
	s_cbranch_execnz .LBB4_1276
.LBB4_733:                              ;   in Loop: Header=BB4_142 Depth=2
	s_or_b32 exec_lo, exec_lo, s26
	s_and_saveexec_b32 s25, s11
	s_cbranch_execz .LBB4_735
.LBB4_734:                              ;   in Loop: Header=BB4_142 Depth=2
	v_bfe_u32 v162, v17, 3, 4
	v_lshlrev_b32_e32 v163, 24, v17
	s_delay_alu instid0(VALU_DEP_2) | instskip(SKIP_1) | instid1(VALU_DEP_1)
	v_cmp_eq_u32_e32 vcc_lo, 0, v162
	v_and_b32_e32 v145, 7, v17
	v_clz_i32_u32_e32 v160, v145
	s_delay_alu instid0(VALU_DEP_1) | instskip(NEXT) | instid1(VALU_DEP_1)
	v_min_u32_e32 v160, 32, v160
	v_subrev_nc_u32_e32 v161, 28, v160
	v_sub_nc_u32_e32 v160, 29, v160
	s_delay_alu instid0(VALU_DEP_1) | instskip(NEXT) | instid1(VALU_DEP_1)
	v_dual_cndmask_b32 v160, v162, v160 :: v_dual_lshlrev_b32 v161, v161, v17
	v_and_b32_e32 v161, 7, v161
	s_delay_alu instid0(VALU_DEP_2) | instskip(NEXT) | instid1(VALU_DEP_2)
	v_lshl_add_u32 v160, v160, 23, 0x3b800000
	v_cndmask_b32_e32 v145, v145, v161, vcc_lo
	v_and_b32_e32 v161, 0x80000000, v163
	s_delay_alu instid0(VALU_DEP_2) | instskip(NEXT) | instid1(VALU_DEP_1)
	v_lshlrev_b32_e32 v145, 20, v145
	v_or3_b32 v145, v161, v160, v145
.LBB4_735:                              ;   in Loop: Header=BB4_142 Depth=2
	s_or_b32 exec_lo, exec_lo, s25
	s_delay_alu instid0(VALU_DEP_1) | instskip(NEXT) | instid1(VALU_DEP_1)
	v_add_f32_e32 v145, v144, v145
	v_and_b32_e32 v144, 0x7f800000, v145
	s_delay_alu instid0(VALU_DEP_1)
	v_cmp_ne_u32_e32 vcc_lo, 0x7f800000, v144
	v_mov_b32_e32 v144, 0x80
	s_and_saveexec_b32 s25, vcc_lo
	s_cbranch_execz .LBB4_743
; %bb.736:                              ;   in Loop: Header=BB4_142 Depth=2
	v_mov_b32_e32 v144, 0
	s_mov_b32 s26, exec_lo
	v_cmpx_ne_u32_e32 0, v145
	s_cbranch_execz .LBB4_742
; %bb.737:                              ;   in Loop: Header=BB4_142 Depth=2
	v_bfe_u32 v144, v145, 23, 8
	v_and_b32_e32 v160, 0x7fffff, v145
	s_delay_alu instid0(VALU_DEP_2) | instskip(SKIP_1) | instid1(VALU_DEP_3)
	v_sub_nc_u32_e32 v161, 0x78, v144
	v_cmp_gt_u32_e32 vcc_lo, 0x79, v144
	v_or_b32_e32 v162, 0x800000, v160
	s_delay_alu instid0(VALU_DEP_3) | instskip(SKIP_2) | instid1(VALU_DEP_4)
	v_cndmask_b32_e32 v161, 0, v161, vcc_lo
	v_cmp_eq_u32_e32 vcc_lo, 0, v144
	v_add_nc_u32_e32 v144, 0xffffff89, v144
	v_cndmask_b32_e32 v160, v162, v160, vcc_lo
	s_delay_alu instid0(VALU_DEP_4) | instskip(NEXT) | instid1(VALU_DEP_3)
	v_cndmask_b32_e64 v161, v161, 0x77, vcc_lo
	v_cndmask_b32_e64 v144, v144, 0xffffff8a, vcc_lo
	s_delay_alu instid0(VALU_DEP_2) | instskip(SKIP_2) | instid1(VALU_DEP_4)
	v_lshrrev_b32_e32 v163, v161, v160
	v_lshl_add_u32 v162, 0x100000, v161, -1
	v_lshlrev_b32_e64 v165, v161, 0x80000
	v_add_nc_u32_e32 v161, v161, v144
	s_delay_alu instid0(VALU_DEP_4) | instskip(NEXT) | instid1(VALU_DEP_4)
	v_bfe_u32 v164, v163, 20, 1
	v_and_b32_e32 v160, v162, v160
	s_delay_alu instid0(VALU_DEP_2) | instskip(NEXT) | instid1(VALU_DEP_2)
	v_add_nc_u32_e32 v162, -1, v164
	v_cmp_eq_u32_e64 s11, v160, v165
	s_delay_alu instid0(VALU_DEP_1) | instskip(SKIP_2) | instid1(VALU_DEP_2)
	v_cndmask_b32_e64 v160, 0, v162, s11
	v_lshrrev_b32_e32 v162, 23, v163
	s_mov_b32 s11, exec_lo
	v_add_nc_u32_e32 v160, v160, v163
	s_delay_alu instid0(VALU_DEP_2) | instskip(NEXT) | instid1(VALU_DEP_2)
	v_xor_b32_e32 v162, 1, v162
	v_and_b32_e32 v144, 0xfffff, v160
	s_delay_alu instid0(VALU_DEP_1) | instskip(NEXT) | instid1(VALU_DEP_3)
	v_add_nc_u32_e32 v160, v144, v163
                                        ; implicit-def: $vgpr144
	v_cmpx_ne_u32_e64 v161, v162
	s_xor_b32 s11, exec_lo, s11
; %bb.738:                              ;   in Loop: Header=BB4_142 Depth=2
	s_delay_alu instid0(VALU_DEP_2) | instskip(SKIP_2) | instid1(VALU_DEP_2)
	v_cmp_lt_u32_e32 vcc_lo, 0xffffff, v160
	v_sub_nc_u32_e32 v144, v161, v162
	v_cndmask_b32_e64 v161, 0, 1, vcc_lo
	v_add_co_ci_u32_e32 v144, vcc_lo, 0, v144, vcc_lo
	s_delay_alu instid0(VALU_DEP_2)
	v_lshrrev_b32_e32 v160, v161, v160
; %bb.739:                              ;   in Loop: Header=BB4_142 Depth=2
	s_and_not1_saveexec_b32 s11, s11
; %bb.740:                              ;   in Loop: Header=BB4_142 Depth=2
	s_delay_alu instid0(VALU_DEP_1)
	v_bfe_u32 v144, v160, 23, 1
; %bb.741:                              ;   in Loop: Header=BB4_142 Depth=2
	s_or_b32 exec_lo, exec_lo, s11
	v_lshrrev_b32_e32 v160, 20, v160
	s_delay_alu instid0(VALU_DEP_2) | instskip(SKIP_2) | instid1(VALU_DEP_2)
	v_cmp_gt_i32_e32 vcc_lo, 16, v144
	v_lshrrev_b32_e32 v145, 24, v145
	v_min_i32_e32 v161, 15, v144
	v_dual_cndmask_b32 v160, 7, v160 :: v_dual_and_b32 v145, 0x80, v145
	s_delay_alu instid0(VALU_DEP_2) | instskip(NEXT) | instid1(VALU_DEP_2)
	v_lshlrev_b32_e32 v161, 3, v161
	v_and_b32_e32 v162, 7, v160
	v_or_b32_e32 v144, v144, v160
	s_delay_alu instid0(VALU_DEP_2) | instskip(NEXT) | instid1(VALU_DEP_2)
	v_or3_b32 v145, v161, v145, v162
	v_cmp_ne_u32_e32 vcc_lo, 0, v144
	s_delay_alu instid0(VALU_DEP_2)
	v_cndmask_b32_e32 v144, 0, v145, vcc_lo
.LBB4_742:                              ;   in Loop: Header=BB4_142 Depth=2
	s_or_b32 exec_lo, exec_lo, s26
.LBB4_743:                              ;   in Loop: Header=BB4_142 Depth=2
	s_delay_alu instid0(SALU_CYCLE_1) | instskip(SKIP_3) | instid1(VALU_DEP_1)
	s_or_b32 exec_lo, exec_lo, s25
	v_lshrrev_b16 v160, 8, v150
	s_mov_b32 s11, 0
	s_mov_b32 s26, exec_lo
                                        ; implicit-def: $sgpr25
	v_cmpx_lt_i16_e64 0x7f, v160
	s_xor_b32 s26, exec_lo, s26
	s_cbranch_execnz .LBB4_1277
; %bb.744:                              ;   in Loop: Header=BB4_142 Depth=2
	s_or_saveexec_b32 s26, s26
	v_mov_b32_e32 v145, s25
	s_xor_b32 exec_lo, exec_lo, s26
	s_cbranch_execnz .LBB4_1280
.LBB4_745:                              ;   in Loop: Header=BB4_142 Depth=2
	s_or_b32 exec_lo, exec_lo, s26
	s_and_saveexec_b32 s25, s11
	s_cbranch_execz .LBB4_747
.LBB4_746:                              ;   in Loop: Header=BB4_142 Depth=2
	v_and_b32_e32 v145, 0xffff, v160
	s_delay_alu instid0(VALU_DEP_1) | instskip(NEXT) | instid1(VALU_DEP_1)
	v_and_b32_e32 v161, 7, v145
	v_clz_i32_u32_e32 v162, v161
	s_delay_alu instid0(VALU_DEP_1) | instskip(NEXT) | instid1(VALU_DEP_1)
	v_min_u32_e32 v162, 32, v162
	v_subrev_nc_u32_e32 v163, 28, v162
	v_sub_nc_u32_e32 v162, 29, v162
	s_delay_alu instid0(VALU_DEP_2) | instskip(SKIP_1) | instid1(VALU_DEP_2)
	v_lshlrev_b32_e32 v163, v163, v145
	v_bfe_u32 v145, v145, 3, 4
	v_and_b32_e32 v163, 7, v163
	s_delay_alu instid0(VALU_DEP_2) | instskip(SKIP_1) | instid1(VALU_DEP_1)
	v_cmp_eq_u32_e32 vcc_lo, 0, v145
	v_dual_cndmask_b32 v145, v145, v162 :: v_dual_lshlrev_b32 v160, 24, v160
	v_dual_cndmask_b32 v161, v161, v163 :: v_dual_and_b32 v160, 0x80000000, v160
	s_delay_alu instid0(VALU_DEP_2) | instskip(NEXT) | instid1(VALU_DEP_2)
	v_lshl_add_u32 v145, v145, 23, 0x3b800000
	v_lshlrev_b32_e32 v161, 20, v161
	s_delay_alu instid0(VALU_DEP_1)
	v_or3_b32 v145, v160, v145, v161
.LBB4_747:                              ;   in Loop: Header=BB4_142 Depth=2
	s_or_b32 exec_lo, exec_lo, s25
	v_lshrrev_b16 v160, 8, v17
	s_mov_b32 s11, 0
	s_mov_b32 s26, exec_lo
                                        ; implicit-def: $sgpr25
	s_delay_alu instid0(VALU_DEP_1)
	v_cmpx_lt_i16_e64 0x7f, v160
	s_xor_b32 s26, exec_lo, s26
	s_cbranch_execnz .LBB4_1281
; %bb.748:                              ;   in Loop: Header=BB4_142 Depth=2
	s_or_saveexec_b32 s26, s26
	v_mov_b32_e32 v161, s25
	s_xor_b32 exec_lo, exec_lo, s26
	s_cbranch_execnz .LBB4_1284
.LBB4_749:                              ;   in Loop: Header=BB4_142 Depth=2
	s_or_b32 exec_lo, exec_lo, s26
	s_and_saveexec_b32 s25, s11
	s_cbranch_execz .LBB4_751
.LBB4_750:                              ;   in Loop: Header=BB4_142 Depth=2
	v_and_b32_e32 v161, 0xffff, v160
	v_lshlrev_b32_e32 v160, 24, v160
	s_delay_alu instid0(VALU_DEP_2) | instskip(NEXT) | instid1(VALU_DEP_2)
	v_and_b32_e32 v162, 7, v161
	v_and_b32_e32 v160, 0x80000000, v160
	s_delay_alu instid0(VALU_DEP_2) | instskip(NEXT) | instid1(VALU_DEP_1)
	v_clz_i32_u32_e32 v163, v162
	v_min_u32_e32 v163, 32, v163
	s_delay_alu instid0(VALU_DEP_1) | instskip(SKIP_1) | instid1(VALU_DEP_2)
	v_subrev_nc_u32_e32 v164, 28, v163
	v_sub_nc_u32_e32 v163, 29, v163
	v_lshlrev_b32_e32 v164, v164, v161
	v_bfe_u32 v161, v161, 3, 4
	s_delay_alu instid0(VALU_DEP_2) | instskip(NEXT) | instid1(VALU_DEP_2)
	v_and_b32_e32 v164, 7, v164
	v_cmp_eq_u32_e32 vcc_lo, 0, v161
	s_delay_alu instid0(VALU_DEP_2) | instskip(NEXT) | instid1(VALU_DEP_1)
	v_dual_cndmask_b32 v161, v161, v163 :: v_dual_cndmask_b32 v162, v162, v164
	v_lshl_add_u32 v161, v161, 23, 0x3b800000
	s_delay_alu instid0(VALU_DEP_2) | instskip(NEXT) | instid1(VALU_DEP_1)
	v_lshlrev_b32_e32 v162, 20, v162
	v_or3_b32 v161, v160, v161, v162
.LBB4_751:                              ;   in Loop: Header=BB4_142 Depth=2
	s_or_b32 exec_lo, exec_lo, s25
	s_delay_alu instid0(VALU_DEP_1) | instskip(NEXT) | instid1(VALU_DEP_1)
	v_add_f32_e32 v160, v145, v161
	v_and_b32_e32 v145, 0x7f800000, v160
	s_delay_alu instid0(VALU_DEP_1)
	v_cmp_ne_u32_e32 vcc_lo, 0x7f800000, v145
	v_mov_b32_e32 v145, 0x8000
	s_and_saveexec_b32 s25, vcc_lo
	s_cbranch_execz .LBB4_759
; %bb.752:                              ;   in Loop: Header=BB4_142 Depth=2
	v_mov_b32_e32 v145, 0
	s_mov_b32 s26, exec_lo
	v_cmpx_ne_u32_e32 0, v160
	s_cbranch_execz .LBB4_758
; %bb.753:                              ;   in Loop: Header=BB4_142 Depth=2
	v_bfe_u32 v145, v160, 23, 8
	s_delay_alu instid0(VALU_DEP_1) | instskip(SKIP_1) | instid1(VALU_DEP_2)
	v_sub_nc_u32_e32 v162, 0x78, v145
	v_cmp_gt_u32_e32 vcc_lo, 0x79, v145
	v_dual_cndmask_b32 v162, 0, v162 :: v_dual_and_b32 v161, 0x7fffff, v160
	s_delay_alu instid0(VALU_DEP_1) | instskip(SKIP_2) | instid1(VALU_DEP_4)
	v_or_b32_e32 v163, 0x800000, v161
	v_cmp_eq_u32_e32 vcc_lo, 0, v145
	v_add_nc_u32_e32 v145, 0xffffff89, v145
	v_cndmask_b32_e64 v162, v162, 0x77, vcc_lo
	s_delay_alu instid0(VALU_DEP_4) | instskip(NEXT) | instid1(VALU_DEP_3)
	v_cndmask_b32_e32 v161, v163, v161, vcc_lo
	v_cndmask_b32_e64 v145, v145, 0xffffff8a, vcc_lo
	s_delay_alu instid0(VALU_DEP_3) | instskip(NEXT) | instid1(VALU_DEP_3)
	v_lshl_add_u32 v163, 0x100000, v162, -1
	v_lshrrev_b32_e32 v164, v162, v161
	v_lshlrev_b32_e64 v166, v162, 0x80000
	s_delay_alu instid0(VALU_DEP_4) | instskip(NEXT) | instid1(VALU_DEP_4)
	v_add_nc_u32_e32 v162, v162, v145
	v_and_b32_e32 v161, v163, v161
	s_delay_alu instid0(VALU_DEP_4) | instskip(NEXT) | instid1(VALU_DEP_2)
	v_bfe_u32 v165, v164, 20, 1
	v_cmp_eq_u32_e64 s11, v161, v166
	s_delay_alu instid0(VALU_DEP_2) | instskip(NEXT) | instid1(VALU_DEP_1)
	v_add_nc_u32_e32 v163, -1, v165
	v_cndmask_b32_e64 v161, 0, v163, s11
	v_lshrrev_b32_e32 v163, 23, v164
	s_mov_b32 s11, exec_lo
	s_delay_alu instid0(VALU_DEP_2) | instskip(NEXT) | instid1(VALU_DEP_2)
	v_add_nc_u32_e32 v161, v161, v164
	v_xor_b32_e32 v163, 1, v163
	s_delay_alu instid0(VALU_DEP_2) | instskip(NEXT) | instid1(VALU_DEP_1)
	v_and_b32_e32 v145, 0xfffff, v161
	v_add_nc_u32_e32 v161, v145, v164
                                        ; implicit-def: $vgpr145
	s_delay_alu instid0(VALU_DEP_3)
	v_cmpx_ne_u32_e64 v162, v163
	s_xor_b32 s11, exec_lo, s11
; %bb.754:                              ;   in Loop: Header=BB4_142 Depth=2
	s_delay_alu instid0(VALU_DEP_2) | instskip(SKIP_2) | instid1(VALU_DEP_2)
	v_cmp_lt_u32_e32 vcc_lo, 0xffffff, v161
	v_sub_nc_u32_e32 v145, v162, v163
	v_cndmask_b32_e64 v162, 0, 1, vcc_lo
	v_add_co_ci_u32_e32 v145, vcc_lo, 0, v145, vcc_lo
	s_delay_alu instid0(VALU_DEP_2)
	v_lshrrev_b32_e32 v161, v162, v161
; %bb.755:                              ;   in Loop: Header=BB4_142 Depth=2
	s_and_not1_saveexec_b32 s11, s11
; %bb.756:                              ;   in Loop: Header=BB4_142 Depth=2
	s_delay_alu instid0(VALU_DEP_1)
	v_bfe_u32 v145, v161, 23, 1
; %bb.757:                              ;   in Loop: Header=BB4_142 Depth=2
	s_or_b32 exec_lo, exec_lo, s11
	v_lshrrev_b32_e32 v161, 20, v161
	s_delay_alu instid0(VALU_DEP_2) | instskip(SKIP_2) | instid1(VALU_DEP_2)
	v_cmp_gt_i32_e32 vcc_lo, 16, v145
	v_min_i32_e32 v162, 15, v145
	v_lshrrev_b32_e32 v160, 24, v160
	v_dual_cndmask_b32 v161, 7, v161 :: v_dual_lshlrev_b32 v162, 3, v162
	s_delay_alu instid0(VALU_DEP_2) | instskip(NEXT) | instid1(VALU_DEP_2)
	v_and_b32_e32 v160, 0x80, v160
	v_or_b32_e32 v145, v145, v161
	v_and_b32_e32 v163, 7, v161
	s_delay_alu instid0(VALU_DEP_2) | instskip(SKIP_1) | instid1(VALU_DEP_1)
	v_cmp_ne_u32_e32 vcc_lo, 0, v145
	v_and_b32_e32 v162, 0xf8, v162
	v_or3_b32 v160, v160, v162, v163
	s_delay_alu instid0(VALU_DEP_1) | instskip(NEXT) | instid1(VALU_DEP_1)
	v_lshlrev_b32_e32 v160, 8, v160
	v_cndmask_b32_e32 v145, 0, v160, vcc_lo
.LBB4_758:                              ;   in Loop: Header=BB4_142 Depth=2
	s_or_b32 exec_lo, exec_lo, s26
.LBB4_759:                              ;   in Loop: Header=BB4_142 Depth=2
	s_delay_alu instid0(SALU_CYCLE_1) | instskip(SKIP_3) | instid1(VALU_DEP_1)
	s_or_b32 exec_lo, exec_lo, s25
	v_or_b32_e32 v146, v146, v135
	s_mov_b32 s11, 0
	s_mov_b32 s26, exec_lo
                                        ; implicit-def: $sgpr25
	v_and_b32_e32 v160, 0xff, v146
	s_delay_alu instid0(VALU_DEP_1)
	v_cmpx_lt_i16_e64 0x7f, v160
	s_xor_b32 s26, exec_lo, s26
	s_cbranch_execnz .LBB4_1285
; %bb.760:                              ;   in Loop: Header=BB4_142 Depth=2
	s_or_saveexec_b32 s26, s26
	v_mov_b32_e32 v135, s25
	s_xor_b32 exec_lo, exec_lo, s26
	s_cbranch_execnz .LBB4_1288
.LBB4_761:                              ;   in Loop: Header=BB4_142 Depth=2
	s_or_b32 exec_lo, exec_lo, s26
	v_lshl_or_b32 v146, v146, 16, v150
	s_and_saveexec_b32 s25, s11
	s_cbranch_execz .LBB4_763
.LBB4_762:                              ;   in Loop: Header=BB4_142 Depth=2
	s_delay_alu instid0(VALU_DEP_1) | instskip(SKIP_1) | instid1(VALU_DEP_2)
	v_bfe_u32 v135, v146, 16, 3
	v_lshrrev_b32_e32 v160, 16, v146
	v_clz_i32_u32_e32 v150, v135
	s_delay_alu instid0(VALU_DEP_1) | instskip(NEXT) | instid1(VALU_DEP_1)
	v_min_u32_e32 v150, 32, v150
	v_subrev_nc_u32_e32 v161, 28, v150
	v_sub_nc_u32_e32 v150, 29, v150
	s_delay_alu instid0(VALU_DEP_2) | instskip(SKIP_1) | instid1(VALU_DEP_2)
	v_lshlrev_b32_e32 v160, v161, v160
	v_bfe_u32 v161, v146, 19, 4
	v_and_b32_e32 v160, 7, v160
	s_delay_alu instid0(VALU_DEP_2) | instskip(NEXT) | instid1(VALU_DEP_2)
	v_cmp_eq_u32_e32 vcc_lo, 0, v161
	v_dual_cndmask_b32 v135, v135, v160 :: v_dual_lshlrev_b32 v162, 8, v146
	v_cndmask_b32_e32 v150, v161, v150, vcc_lo
	s_delay_alu instid0(VALU_DEP_2) | instskip(NEXT) | instid1(VALU_DEP_3)
	v_and_b32_e32 v160, 0x80000000, v162
	v_lshlrev_b32_e32 v135, 20, v135
	s_delay_alu instid0(VALU_DEP_3) | instskip(NEXT) | instid1(VALU_DEP_1)
	v_lshl_add_u32 v150, v150, 23, 0x3b800000
	v_or3_b32 v135, v160, v150, v135
.LBB4_763:                              ;   in Loop: Header=BB4_142 Depth=2
	s_or_b32 exec_lo, exec_lo, s25
	v_lshrrev_b32_e32 v150, 16, v17
	s_mov_b32 s11, 0
	s_mov_b32 s26, exec_lo
                                        ; implicit-def: $sgpr25
	s_delay_alu instid0(VALU_DEP_1) | instskip(NEXT) | instid1(VALU_DEP_1)
	v_and_b32_e32 v161, 0xff, v150
	v_cmpx_lt_i16_e64 0x7f, v161
	s_xor_b32 s26, exec_lo, s26
	s_cbranch_execnz .LBB4_1289
; %bb.764:                              ;   in Loop: Header=BB4_142 Depth=2
	s_or_saveexec_b32 s26, s26
	v_mov_b32_e32 v160, s25
	s_xor_b32 exec_lo, exec_lo, s26
	s_cbranch_execnz .LBB4_1292
.LBB4_765:                              ;   in Loop: Header=BB4_142 Depth=2
	s_or_b32 exec_lo, exec_lo, s26
	s_and_saveexec_b32 s25, s11
	s_cbranch_execz .LBB4_767
.LBB4_766:                              ;   in Loop: Header=BB4_142 Depth=2
	v_bfe_u32 v160, v17, 16, 3
	s_delay_alu instid0(VALU_DEP_1) | instskip(NEXT) | instid1(VALU_DEP_1)
	v_clz_i32_u32_e32 v161, v160
	v_min_u32_e32 v161, 32, v161
	s_delay_alu instid0(VALU_DEP_1) | instskip(SKIP_1) | instid1(VALU_DEP_2)
	v_subrev_nc_u32_e32 v162, 28, v161
	v_sub_nc_u32_e32 v161, 29, v161
	v_lshlrev_b32_e32 v150, v162, v150
	v_bfe_u32 v162, v17, 19, 4
	s_delay_alu instid0(VALU_DEP_1) | instskip(NEXT) | instid1(VALU_DEP_3)
	v_cmp_eq_u32_e32 vcc_lo, 0, v162
	v_dual_cndmask_b32 v161, v162, v161 :: v_dual_and_b32 v150, 7, v150
	s_delay_alu instid0(VALU_DEP_1) | instskip(NEXT) | instid1(VALU_DEP_2)
	v_dual_cndmask_b32 v150, v160, v150 :: v_dual_lshlrev_b32 v163, 8, v17
	v_lshl_add_u32 v161, v161, 23, 0x3b800000
	s_delay_alu instid0(VALU_DEP_2) | instskip(NEXT) | instid1(VALU_DEP_3)
	v_and_b32_e32 v160, 0x80000000, v163
	v_lshlrev_b32_e32 v150, 20, v150
	s_delay_alu instid0(VALU_DEP_1)
	v_or3_b32 v160, v160, v161, v150
.LBB4_767:                              ;   in Loop: Header=BB4_142 Depth=2
	s_or_b32 exec_lo, exec_lo, s25
	s_delay_alu instid0(VALU_DEP_1) | instskip(NEXT) | instid1(VALU_DEP_1)
	v_add_f32_e32 v150, v135, v160
	v_and_b32_e32 v135, 0x7f800000, v150
	s_delay_alu instid0(VALU_DEP_1)
	v_cmp_ne_u32_e32 vcc_lo, 0x7f800000, v135
	v_mov_b32_e32 v135, 0x80
	s_and_saveexec_b32 s25, vcc_lo
	s_cbranch_execz .LBB4_775
; %bb.768:                              ;   in Loop: Header=BB4_142 Depth=2
	v_mov_b32_e32 v135, 0
	s_mov_b32 s26, exec_lo
	v_cmpx_ne_u32_e32 0, v150
	s_cbranch_execz .LBB4_774
; %bb.769:                              ;   in Loop: Header=BB4_142 Depth=2
	v_bfe_u32 v135, v150, 23, 8
	s_delay_alu instid0(VALU_DEP_1) | instskip(SKIP_1) | instid1(VALU_DEP_2)
	v_sub_nc_u32_e32 v161, 0x78, v135
	v_cmp_gt_u32_e32 vcc_lo, 0x79, v135
	v_dual_cndmask_b32 v161, 0, v161 :: v_dual_and_b32 v160, 0x7fffff, v150
	s_delay_alu instid0(VALU_DEP_1) | instskip(SKIP_2) | instid1(VALU_DEP_4)
	v_or_b32_e32 v162, 0x800000, v160
	v_cmp_eq_u32_e32 vcc_lo, 0, v135
	v_add_nc_u32_e32 v135, 0xffffff89, v135
	v_cndmask_b32_e64 v161, v161, 0x77, vcc_lo
	s_delay_alu instid0(VALU_DEP_4) | instskip(NEXT) | instid1(VALU_DEP_3)
	v_cndmask_b32_e32 v160, v162, v160, vcc_lo
	v_cndmask_b32_e64 v135, v135, 0xffffff8a, vcc_lo
	s_delay_alu instid0(VALU_DEP_3) | instskip(NEXT) | instid1(VALU_DEP_3)
	v_lshl_add_u32 v162, 0x100000, v161, -1
	v_lshrrev_b32_e32 v163, v161, v160
	v_lshlrev_b32_e64 v165, v161, 0x80000
	s_delay_alu instid0(VALU_DEP_4) | instskip(NEXT) | instid1(VALU_DEP_4)
	v_add_nc_u32_e32 v161, v161, v135
	v_and_b32_e32 v160, v162, v160
	s_delay_alu instid0(VALU_DEP_4) | instskip(NEXT) | instid1(VALU_DEP_2)
	v_bfe_u32 v164, v163, 20, 1
	v_cmp_eq_u32_e64 s11, v160, v165
	s_delay_alu instid0(VALU_DEP_2) | instskip(NEXT) | instid1(VALU_DEP_1)
	v_add_nc_u32_e32 v162, -1, v164
	v_cndmask_b32_e64 v160, 0, v162, s11
	v_lshrrev_b32_e32 v162, 23, v163
	s_mov_b32 s11, exec_lo
	s_delay_alu instid0(VALU_DEP_2) | instskip(NEXT) | instid1(VALU_DEP_2)
	v_add_nc_u32_e32 v160, v160, v163
	v_xor_b32_e32 v162, 1, v162
	s_delay_alu instid0(VALU_DEP_2) | instskip(NEXT) | instid1(VALU_DEP_1)
	v_and_b32_e32 v135, 0xfffff, v160
	v_add_nc_u32_e32 v160, v135, v163
                                        ; implicit-def: $vgpr135
	s_delay_alu instid0(VALU_DEP_3)
	v_cmpx_ne_u32_e64 v161, v162
	s_xor_b32 s11, exec_lo, s11
; %bb.770:                              ;   in Loop: Header=BB4_142 Depth=2
	s_delay_alu instid0(VALU_DEP_2) | instskip(SKIP_2) | instid1(VALU_DEP_2)
	v_cmp_lt_u32_e32 vcc_lo, 0xffffff, v160
	v_sub_nc_u32_e32 v135, v161, v162
	v_cndmask_b32_e64 v161, 0, 1, vcc_lo
	v_add_co_ci_u32_e32 v135, vcc_lo, 0, v135, vcc_lo
	s_delay_alu instid0(VALU_DEP_2)
	v_lshrrev_b32_e32 v160, v161, v160
; %bb.771:                              ;   in Loop: Header=BB4_142 Depth=2
	s_and_not1_saveexec_b32 s11, s11
; %bb.772:                              ;   in Loop: Header=BB4_142 Depth=2
	s_delay_alu instid0(VALU_DEP_1)
	v_bfe_u32 v135, v160, 23, 1
; %bb.773:                              ;   in Loop: Header=BB4_142 Depth=2
	s_or_b32 exec_lo, exec_lo, s11
	v_lshrrev_b32_e32 v160, 20, v160
	s_delay_alu instid0(VALU_DEP_2) | instskip(SKIP_2) | instid1(VALU_DEP_2)
	v_cmp_gt_i32_e32 vcc_lo, 16, v135
	v_min_i32_e32 v161, 15, v135
	v_lshrrev_b32_e32 v150, 24, v150
	v_dual_cndmask_b32 v160, 7, v160 :: v_dual_lshlrev_b32 v161, 3, v161
	s_delay_alu instid0(VALU_DEP_2) | instskip(NEXT) | instid1(VALU_DEP_2)
	v_and_b32_e32 v150, 0x80, v150
	v_or_b32_e32 v135, v135, v160
	s_delay_alu instid0(VALU_DEP_3) | instskip(NEXT) | instid1(VALU_DEP_2)
	v_and_b32_e32 v161, 0xf8, v161
	v_cmp_ne_u32_e32 vcc_lo, 0, v135
	v_and_b32_e32 v162, 7, v160
	s_delay_alu instid0(VALU_DEP_1) | instskip(NEXT) | instid1(VALU_DEP_1)
	v_or3_b32 v150, v161, v150, v162
	v_cndmask_b32_e32 v135, 0, v150, vcc_lo
.LBB4_774:                              ;   in Loop: Header=BB4_142 Depth=2
	s_or_b32 exec_lo, exec_lo, s26
.LBB4_775:                              ;   in Loop: Header=BB4_142 Depth=2
	s_delay_alu instid0(SALU_CYCLE_1) | instskip(SKIP_3) | instid1(VALU_DEP_1)
	s_or_b32 exec_lo, exec_lo, s25
	v_lshrrev_b32_e32 v160, 24, v146
	s_mov_b32 s11, 0
	s_mov_b32 s26, exec_lo
                                        ; implicit-def: $sgpr25
	v_cmpx_lt_i16_e64 0x7f, v160
	s_xor_b32 s26, exec_lo, s26
	s_cbranch_execnz .LBB4_1293
; %bb.776:                              ;   in Loop: Header=BB4_142 Depth=2
	s_or_saveexec_b32 s26, s26
	v_mov_b32_e32 v150, s25
	s_xor_b32 exec_lo, exec_lo, s26
	s_cbranch_execnz .LBB4_1296
.LBB4_777:                              ;   in Loop: Header=BB4_142 Depth=2
	s_or_b32 exec_lo, exec_lo, s26
	s_and_saveexec_b32 s25, s11
	s_cbranch_execz .LBB4_779
.LBB4_778:                              ;   in Loop: Header=BB4_142 Depth=2
	v_bfe_u32 v150, v146, 24, 3
	s_delay_alu instid0(VALU_DEP_1) | instskip(NEXT) | instid1(VALU_DEP_1)
	v_clz_i32_u32_e32 v161, v150
	v_min_u32_e32 v161, 32, v161
	s_delay_alu instid0(VALU_DEP_1) | instskip(SKIP_1) | instid1(VALU_DEP_2)
	v_subrev_nc_u32_e32 v162, 28, v161
	v_sub_nc_u32_e32 v161, 29, v161
	v_lshlrev_b32_e32 v160, v162, v160
	v_bfe_u32 v162, v146, 27, 4
	v_and_b32_e32 v146, 0x80000000, v146
	s_delay_alu instid0(VALU_DEP_2) | instskip(NEXT) | instid1(VALU_DEP_4)
	v_cmp_eq_u32_e32 vcc_lo, 0, v162
	v_dual_cndmask_b32 v161, v162, v161 :: v_dual_and_b32 v160, 7, v160
	s_delay_alu instid0(VALU_DEP_1) | instskip(NEXT) | instid1(VALU_DEP_2)
	v_cndmask_b32_e32 v150, v150, v160, vcc_lo
	v_lshl_add_u32 v160, v161, 23, 0x3b800000
	s_delay_alu instid0(VALU_DEP_2) | instskip(NEXT) | instid1(VALU_DEP_1)
	v_lshlrev_b32_e32 v150, 20, v150
	v_or3_b32 v150, v146, v160, v150
.LBB4_779:                              ;   in Loop: Header=BB4_142 Depth=2
	s_or_b32 exec_lo, exec_lo, s25
	v_lshrrev_b32_e32 v146, 24, v17
	s_mov_b32 s11, 0
	s_mov_b32 s26, exec_lo
                                        ; implicit-def: $sgpr25
	s_delay_alu instid0(VALU_DEP_1)
	v_cmpx_lt_i16_e64 0x7f, v146
	s_xor_b32 s26, exec_lo, s26
	s_cbranch_execnz .LBB4_1297
; %bb.780:                              ;   in Loop: Header=BB4_142 Depth=2
	s_or_saveexec_b32 s26, s26
	v_mov_b32_e32 v160, s25
	s_xor_b32 exec_lo, exec_lo, s26
	s_cbranch_execnz .LBB4_1300
.LBB4_781:                              ;   in Loop: Header=BB4_142 Depth=2
	s_or_b32 exec_lo, exec_lo, s26
	s_and_saveexec_b32 s25, s11
	s_cbranch_execz .LBB4_783
.LBB4_782:                              ;   in Loop: Header=BB4_142 Depth=2
	v_bfe_u32 v160, v17, 24, 3
	s_delay_alu instid0(VALU_DEP_1) | instskip(NEXT) | instid1(VALU_DEP_1)
	v_clz_i32_u32_e32 v161, v160
	v_min_u32_e32 v161, 32, v161
	s_delay_alu instid0(VALU_DEP_1) | instskip(SKIP_1) | instid1(VALU_DEP_2)
	v_subrev_nc_u32_e32 v162, 28, v161
	v_sub_nc_u32_e32 v161, 29, v161
	v_lshlrev_b32_e32 v146, v162, v146
	v_bfe_u32 v162, v17, 27, 4
	v_and_b32_e32 v17, 0x80000000, v17
	s_delay_alu instid0(VALU_DEP_2) | instskip(NEXT) | instid1(VALU_DEP_4)
	v_cmp_eq_u32_e32 vcc_lo, 0, v162
	v_dual_cndmask_b32 v161, v162, v161 :: v_dual_and_b32 v146, 7, v146
	s_delay_alu instid0(VALU_DEP_1) | instskip(NEXT) | instid1(VALU_DEP_2)
	v_cndmask_b32_e32 v146, v160, v146, vcc_lo
	v_lshl_add_u32 v160, v161, 23, 0x3b800000
	s_delay_alu instid0(VALU_DEP_2) | instskip(NEXT) | instid1(VALU_DEP_1)
	v_lshlrev_b32_e32 v146, 20, v146
	v_or3_b32 v160, v17, v160, v146
.LBB4_783:                              ;   in Loop: Header=BB4_142 Depth=2
	s_or_b32 exec_lo, exec_lo, s25
	s_delay_alu instid0(VALU_DEP_1) | instskip(NEXT) | instid1(VALU_DEP_1)
	v_add_f32_e32 v146, v150, v160
	v_and_b32_e32 v17, 0x7f800000, v146
	s_delay_alu instid0(VALU_DEP_1)
	v_cmp_ne_u32_e32 vcc_lo, 0x7f800000, v17
	v_mov_b32_e32 v17, 0x8000
	s_and_saveexec_b32 s25, vcc_lo
	s_cbranch_execz .LBB4_791
; %bb.784:                              ;   in Loop: Header=BB4_142 Depth=2
	v_mov_b32_e32 v17, 0
	s_mov_b32 s26, exec_lo
	v_cmpx_ne_u32_e32 0, v146
	s_cbranch_execz .LBB4_790
; %bb.785:                              ;   in Loop: Header=BB4_142 Depth=2
	v_bfe_u32 v17, v146, 23, 8
	v_and_b32_e32 v150, 0x7fffff, v146
	s_delay_alu instid0(VALU_DEP_2) | instskip(SKIP_1) | instid1(VALU_DEP_3)
	v_sub_nc_u32_e32 v160, 0x78, v17
	v_cmp_gt_u32_e32 vcc_lo, 0x79, v17
	v_or_b32_e32 v161, 0x800000, v150
	s_delay_alu instid0(VALU_DEP_3) | instskip(SKIP_2) | instid1(VALU_DEP_3)
	v_cndmask_b32_e32 v160, 0, v160, vcc_lo
	v_cmp_eq_u32_e32 vcc_lo, 0, v17
	v_add_nc_u32_e32 v17, 0xffffff89, v17
	v_cndmask_b32_e64 v160, v160, 0x77, vcc_lo
	v_cndmask_b32_e32 v150, v161, v150, vcc_lo
	s_delay_alu instid0(VALU_DEP_3) | instskip(NEXT) | instid1(VALU_DEP_3)
	v_cndmask_b32_e64 v17, v17, 0xffffff8a, vcc_lo
	v_lshl_add_u32 v161, 0x100000, v160, -1
	s_delay_alu instid0(VALU_DEP_3) | instskip(SKIP_1) | instid1(VALU_DEP_4)
	v_lshrrev_b32_e32 v162, v160, v150
	v_lshlrev_b32_e64 v164, v160, 0x80000
	v_add_nc_u32_e32 v160, v160, v17
	s_delay_alu instid0(VALU_DEP_4) | instskip(NEXT) | instid1(VALU_DEP_4)
	v_and_b32_e32 v150, v161, v150
	v_bfe_u32 v163, v162, 20, 1
	s_delay_alu instid0(VALU_DEP_2) | instskip(NEXT) | instid1(VALU_DEP_2)
	v_cmp_eq_u32_e64 s11, v150, v164
	v_add_nc_u32_e32 v161, -1, v163
	s_delay_alu instid0(VALU_DEP_1) | instskip(SKIP_2) | instid1(VALU_DEP_2)
	v_cndmask_b32_e64 v150, 0, v161, s11
	v_lshrrev_b32_e32 v161, 23, v162
	s_mov_b32 s11, exec_lo
	v_add_nc_u32_e32 v150, v150, v162
	s_delay_alu instid0(VALU_DEP_2) | instskip(NEXT) | instid1(VALU_DEP_2)
	v_xor_b32_e32 v161, 1, v161
	v_and_b32_e32 v17, 0xfffff, v150
	s_delay_alu instid0(VALU_DEP_1) | instskip(NEXT) | instid1(VALU_DEP_3)
	v_add_nc_u32_e32 v150, v17, v162
                                        ; implicit-def: $vgpr17
	v_cmpx_ne_u32_e64 v160, v161
	s_xor_b32 s11, exec_lo, s11
; %bb.786:                              ;   in Loop: Header=BB4_142 Depth=2
	s_delay_alu instid0(VALU_DEP_2) | instskip(SKIP_2) | instid1(VALU_DEP_2)
	v_cmp_lt_u32_e32 vcc_lo, 0xffffff, v150
	v_sub_nc_u32_e32 v17, v160, v161
	v_cndmask_b32_e64 v160, 0, 1, vcc_lo
	v_add_co_ci_u32_e32 v17, vcc_lo, 0, v17, vcc_lo
	s_delay_alu instid0(VALU_DEP_2)
	v_lshrrev_b32_e32 v150, v160, v150
; %bb.787:                              ;   in Loop: Header=BB4_142 Depth=2
	s_and_not1_saveexec_b32 s11, s11
; %bb.788:                              ;   in Loop: Header=BB4_142 Depth=2
	s_delay_alu instid0(VALU_DEP_1)
	v_bfe_u32 v17, v150, 23, 1
; %bb.789:                              ;   in Loop: Header=BB4_142 Depth=2
	s_or_b32 exec_lo, exec_lo, s11
	v_lshrrev_b32_e32 v150, 20, v150
	s_delay_alu instid0(VALU_DEP_2) | instskip(SKIP_2) | instid1(VALU_DEP_4)
	v_cmp_gt_i32_e32 vcc_lo, 16, v17
	v_min_i32_e32 v160, 15, v17
	v_lshrrev_b32_e32 v146, 24, v146
	v_cndmask_b32_e32 v150, 7, v150, vcc_lo
	s_delay_alu instid0(VALU_DEP_2) | instskip(NEXT) | instid1(VALU_DEP_2)
	v_and_b32_e32 v146, 0x80, v146
	v_or_b32_e32 v17, v17, v150
	v_and_b32_e32 v161, 7, v150
	s_delay_alu instid0(VALU_DEP_2) | instskip(SKIP_1) | instid1(VALU_DEP_1)
	v_cmp_ne_u32_e32 vcc_lo, 0, v17
	v_lshlrev_b32_e32 v160, 3, v160
	v_and_b32_e32 v160, 0xf8, v160
	s_delay_alu instid0(VALU_DEP_1) | instskip(NEXT) | instid1(VALU_DEP_1)
	v_or3_b32 v146, v146, v160, v161
	v_lshlrev_b32_e32 v146, 8, v146
	s_delay_alu instid0(VALU_DEP_1)
	v_cndmask_b32_e32 v17, 0, v146, vcc_lo
.LBB4_790:                              ;   in Loop: Header=BB4_142 Depth=2
	s_or_b32 exec_lo, exec_lo, s26
.LBB4_791:                              ;   in Loop: Header=BB4_142 Depth=2
	s_delay_alu instid0(SALU_CYCLE_1) | instskip(SKIP_3) | instid1(VALU_DEP_1)
	s_or_b32 exec_lo, exec_lo, s25
	v_and_b32_e32 v150, 0xff, v133
	s_mov_b32 s11, 0
	s_mov_b32 s26, exec_lo
                                        ; implicit-def: $sgpr25
	v_cmpx_lt_i16_e64 0x7f, v150
	s_xor_b32 s26, exec_lo, s26
	s_cbranch_execnz .LBB4_1301
; %bb.792:                              ;   in Loop: Header=BB4_142 Depth=2
	s_or_saveexec_b32 s26, s26
	v_mov_b32_e32 v146, s25
	s_xor_b32 exec_lo, exec_lo, s26
	s_cbranch_execnz .LBB4_1304
.LBB4_793:                              ;   in Loop: Header=BB4_142 Depth=2
	s_or_b32 exec_lo, exec_lo, s26
	s_and_saveexec_b32 s25, s11
	s_cbranch_execz .LBB4_795
.LBB4_794:                              ;   in Loop: Header=BB4_142 Depth=2
	v_and_b32_e32 v146, 7, v133
	v_bfe_u32 v161, v133, 3, 4
	s_delay_alu instid0(VALU_DEP_2) | instskip(NEXT) | instid1(VALU_DEP_2)
	v_clz_i32_u32_e32 v150, v146
	v_cmp_eq_u32_e32 vcc_lo, 0, v161
	s_delay_alu instid0(VALU_DEP_2) | instskip(NEXT) | instid1(VALU_DEP_1)
	v_min_u32_e32 v150, 32, v150
	v_subrev_nc_u32_e32 v160, 28, v150
	v_sub_nc_u32_e32 v150, 29, v150
	s_delay_alu instid0(VALU_DEP_2) | instskip(NEXT) | instid1(VALU_DEP_2)
	v_lshlrev_b32_e32 v160, v160, v133
	v_dual_cndmask_b32 v150, v161, v150 :: v_dual_lshlrev_b32 v133, 24, v133
	s_delay_alu instid0(VALU_DEP_2) | instskip(NEXT) | instid1(VALU_DEP_2)
	v_and_b32_e32 v160, 7, v160
	v_and_b32_e32 v133, 0x80000000, v133
	s_delay_alu instid0(VALU_DEP_3) | instskip(NEXT) | instid1(VALU_DEP_3)
	v_lshl_add_u32 v150, v150, 23, 0x3b800000
	v_cndmask_b32_e32 v146, v146, v160, vcc_lo
	s_delay_alu instid0(VALU_DEP_1) | instskip(NEXT) | instid1(VALU_DEP_1)
	v_lshlrev_b32_e32 v146, 20, v146
	v_or3_b32 v146, v133, v150, v146
.LBB4_795:                              ;   in Loop: Header=BB4_142 Depth=2
	s_or_b32 exec_lo, exec_lo, s25
	s_waitcnt vmcnt(0)
	v_and_b32_e32 v150, 0xff, v10
	s_mov_b32 s11, 0
	s_mov_b32 s26, exec_lo
                                        ; implicit-def: $sgpr25
	s_delay_alu instid0(VALU_DEP_1)
	v_cmpx_lt_i16_e64 0x7f, v150
	s_xor_b32 s26, exec_lo, s26
	s_cbranch_execnz .LBB4_1305
; %bb.796:                              ;   in Loop: Header=BB4_142 Depth=2
	s_or_saveexec_b32 s26, s26
	v_mov_b32_e32 v133, s25
	s_xor_b32 exec_lo, exec_lo, s26
	s_cbranch_execnz .LBB4_1308
.LBB4_797:                              ;   in Loop: Header=BB4_142 Depth=2
	s_or_b32 exec_lo, exec_lo, s26
	s_and_saveexec_b32 s25, s11
	s_cbranch_execz .LBB4_799
.LBB4_798:                              ;   in Loop: Header=BB4_142 Depth=2
	v_and_b32_e32 v133, 7, v10
	v_bfe_u32 v161, v10, 3, 4
	s_delay_alu instid0(VALU_DEP_2) | instskip(NEXT) | instid1(VALU_DEP_2)
	v_clz_i32_u32_e32 v150, v133
	v_cmp_eq_u32_e32 vcc_lo, 0, v161
	s_delay_alu instid0(VALU_DEP_2) | instskip(NEXT) | instid1(VALU_DEP_1)
	v_min_u32_e32 v150, 32, v150
	v_subrev_nc_u32_e32 v160, 28, v150
	v_sub_nc_u32_e32 v150, 29, v150
	s_delay_alu instid0(VALU_DEP_2) | instskip(NEXT) | instid1(VALU_DEP_1)
	v_lshlrev_b32_e32 v160, v160, v10
	v_and_b32_e32 v160, 7, v160
	s_delay_alu instid0(VALU_DEP_1) | instskip(NEXT) | instid1(VALU_DEP_4)
	v_dual_cndmask_b32 v133, v133, v160 :: v_dual_lshlrev_b32 v162, 24, v10
	v_cndmask_b32_e32 v150, v161, v150, vcc_lo
	s_delay_alu instid0(VALU_DEP_2) | instskip(NEXT) | instid1(VALU_DEP_3)
	v_and_b32_e32 v160, 0x80000000, v162
	v_lshlrev_b32_e32 v133, 20, v133
	s_delay_alu instid0(VALU_DEP_3) | instskip(NEXT) | instid1(VALU_DEP_1)
	v_lshl_add_u32 v150, v150, 23, 0x3b800000
	v_or3_b32 v133, v160, v150, v133
.LBB4_799:                              ;   in Loop: Header=BB4_142 Depth=2
	s_or_b32 exec_lo, exec_lo, s25
	s_delay_alu instid0(VALU_DEP_1) | instskip(NEXT) | instid1(VALU_DEP_1)
	v_add_f32_e32 v146, v146, v133
	v_and_b32_e32 v133, 0x7f800000, v146
	s_delay_alu instid0(VALU_DEP_1)
	v_cmp_ne_u32_e32 vcc_lo, 0x7f800000, v133
	v_mov_b32_e32 v133, 0x80
	s_and_saveexec_b32 s25, vcc_lo
	s_cbranch_execz .LBB4_807
; %bb.800:                              ;   in Loop: Header=BB4_142 Depth=2
	v_mov_b32_e32 v133, 0
	s_mov_b32 s26, exec_lo
	v_cmpx_ne_u32_e32 0, v146
	s_cbranch_execz .LBB4_806
; %bb.801:                              ;   in Loop: Header=BB4_142 Depth=2
	v_bfe_u32 v133, v146, 23, 8
	v_and_b32_e32 v150, 0x7fffff, v146
	s_delay_alu instid0(VALU_DEP_2) | instskip(SKIP_1) | instid1(VALU_DEP_3)
	v_sub_nc_u32_e32 v160, 0x78, v133
	v_cmp_gt_u32_e32 vcc_lo, 0x79, v133
	v_or_b32_e32 v161, 0x800000, v150
	s_delay_alu instid0(VALU_DEP_3) | instskip(SKIP_2) | instid1(VALU_DEP_3)
	v_cndmask_b32_e32 v160, 0, v160, vcc_lo
	v_cmp_eq_u32_e32 vcc_lo, 0, v133
	v_add_nc_u32_e32 v133, 0xffffff89, v133
	v_cndmask_b32_e64 v160, v160, 0x77, vcc_lo
	v_cndmask_b32_e32 v150, v161, v150, vcc_lo
	s_delay_alu instid0(VALU_DEP_3) | instskip(NEXT) | instid1(VALU_DEP_3)
	v_cndmask_b32_e64 v133, v133, 0xffffff8a, vcc_lo
	v_lshl_add_u32 v161, 0x100000, v160, -1
	s_delay_alu instid0(VALU_DEP_3) | instskip(SKIP_1) | instid1(VALU_DEP_4)
	v_lshrrev_b32_e32 v162, v160, v150
	v_lshlrev_b32_e64 v164, v160, 0x80000
	v_add_nc_u32_e32 v160, v160, v133
	s_delay_alu instid0(VALU_DEP_4) | instskip(NEXT) | instid1(VALU_DEP_4)
	v_and_b32_e32 v150, v161, v150
	v_bfe_u32 v163, v162, 20, 1
	s_delay_alu instid0(VALU_DEP_2) | instskip(NEXT) | instid1(VALU_DEP_2)
	v_cmp_eq_u32_e64 s11, v150, v164
	v_add_nc_u32_e32 v161, -1, v163
	s_delay_alu instid0(VALU_DEP_1) | instskip(SKIP_2) | instid1(VALU_DEP_2)
	v_cndmask_b32_e64 v150, 0, v161, s11
	v_lshrrev_b32_e32 v161, 23, v162
	s_mov_b32 s11, exec_lo
	v_add_nc_u32_e32 v150, v150, v162
	s_delay_alu instid0(VALU_DEP_2) | instskip(NEXT) | instid1(VALU_DEP_2)
	v_xor_b32_e32 v161, 1, v161
	v_and_b32_e32 v133, 0xfffff, v150
	s_delay_alu instid0(VALU_DEP_1) | instskip(NEXT) | instid1(VALU_DEP_3)
	v_add_nc_u32_e32 v150, v133, v162
                                        ; implicit-def: $vgpr133
	v_cmpx_ne_u32_e64 v160, v161
	s_xor_b32 s11, exec_lo, s11
; %bb.802:                              ;   in Loop: Header=BB4_142 Depth=2
	s_delay_alu instid0(VALU_DEP_2) | instskip(SKIP_2) | instid1(VALU_DEP_2)
	v_cmp_lt_u32_e32 vcc_lo, 0xffffff, v150
	v_sub_nc_u32_e32 v133, v160, v161
	v_cndmask_b32_e64 v160, 0, 1, vcc_lo
	v_add_co_ci_u32_e32 v133, vcc_lo, 0, v133, vcc_lo
	s_delay_alu instid0(VALU_DEP_2)
	v_lshrrev_b32_e32 v150, v160, v150
; %bb.803:                              ;   in Loop: Header=BB4_142 Depth=2
	s_and_not1_saveexec_b32 s11, s11
; %bb.804:                              ;   in Loop: Header=BB4_142 Depth=2
	s_delay_alu instid0(VALU_DEP_1)
	v_bfe_u32 v133, v150, 23, 1
; %bb.805:                              ;   in Loop: Header=BB4_142 Depth=2
	s_or_b32 exec_lo, exec_lo, s11
	v_lshrrev_b32_e32 v150, 20, v150
	s_delay_alu instid0(VALU_DEP_2) | instskip(SKIP_2) | instid1(VALU_DEP_4)
	v_cmp_gt_i32_e32 vcc_lo, 16, v133
	v_lshrrev_b32_e32 v146, 24, v146
	v_min_i32_e32 v160, 15, v133
	v_cndmask_b32_e32 v150, 7, v150, vcc_lo
	s_delay_alu instid0(VALU_DEP_3) | instskip(NEXT) | instid1(VALU_DEP_2)
	v_and_b32_e32 v146, 0x80, v146
	v_or_b32_e32 v133, v133, v150
	v_and_b32_e32 v161, 7, v150
	s_delay_alu instid0(VALU_DEP_2) | instskip(SKIP_1) | instid1(VALU_DEP_1)
	v_cmp_ne_u32_e32 vcc_lo, 0, v133
	v_lshlrev_b32_e32 v160, 3, v160
	v_or3_b32 v146, v160, v146, v161
	s_delay_alu instid0(VALU_DEP_1)
	v_cndmask_b32_e32 v133, 0, v146, vcc_lo
.LBB4_806:                              ;   in Loop: Header=BB4_142 Depth=2
	s_or_b32 exec_lo, exec_lo, s26
.LBB4_807:                              ;   in Loop: Header=BB4_142 Depth=2
	s_delay_alu instid0(SALU_CYCLE_1) | instskip(SKIP_3) | instid1(VALU_DEP_1)
	s_or_b32 exec_lo, exec_lo, s25
	v_and_b32_e32 v150, 0xff, v130
	s_mov_b32 s11, 0
	s_mov_b32 s26, exec_lo
                                        ; implicit-def: $sgpr25
	v_cmpx_lt_i16_e64 0x7f, v150
	s_xor_b32 s26, exec_lo, s26
	s_cbranch_execnz .LBB4_1309
; %bb.808:                              ;   in Loop: Header=BB4_142 Depth=2
	s_or_saveexec_b32 s26, s26
	v_mov_b32_e32 v146, s25
	s_xor_b32 exec_lo, exec_lo, s26
	s_cbranch_execnz .LBB4_1312
.LBB4_809:                              ;   in Loop: Header=BB4_142 Depth=2
	s_or_b32 exec_lo, exec_lo, s26
	s_and_saveexec_b32 s25, s11
	s_cbranch_execz .LBB4_811
.LBB4_810:                              ;   in Loop: Header=BB4_142 Depth=2
	v_and_b32_e32 v146, 7, v130
	v_bfe_u32 v161, v130, 3, 4
	s_delay_alu instid0(VALU_DEP_2) | instskip(NEXT) | instid1(VALU_DEP_2)
	v_clz_i32_u32_e32 v150, v146
	v_cmp_eq_u32_e32 vcc_lo, 0, v161
	s_delay_alu instid0(VALU_DEP_2) | instskip(NEXT) | instid1(VALU_DEP_1)
	v_min_u32_e32 v150, 32, v150
	v_subrev_nc_u32_e32 v160, 28, v150
	v_sub_nc_u32_e32 v150, 29, v150
	s_delay_alu instid0(VALU_DEP_2) | instskip(SKIP_1) | instid1(VALU_DEP_3)
	v_lshlrev_b32_e32 v160, v160, v130
	v_lshlrev_b32_e32 v130, 24, v130
	v_cndmask_b32_e32 v150, v161, v150, vcc_lo
	s_delay_alu instid0(VALU_DEP_3) | instskip(NEXT) | instid1(VALU_DEP_3)
	v_and_b32_e32 v160, 7, v160
	v_and_b32_e32 v130, 0x80000000, v130
	s_delay_alu instid0(VALU_DEP_3) | instskip(NEXT) | instid1(VALU_DEP_3)
	v_lshl_add_u32 v150, v150, 23, 0x3b800000
	v_cndmask_b32_e32 v146, v146, v160, vcc_lo
	s_delay_alu instid0(VALU_DEP_1) | instskip(NEXT) | instid1(VALU_DEP_1)
	v_lshlrev_b32_e32 v146, 20, v146
	v_or3_b32 v146, v130, v150, v146
.LBB4_811:                              ;   in Loop: Header=BB4_142 Depth=2
	s_or_b32 exec_lo, exec_lo, s25
	v_lshrrev_b16 v130, 8, v10
	s_mov_b32 s11, 0
	s_mov_b32 s26, exec_lo
                                        ; implicit-def: $sgpr25
	s_delay_alu instid0(VALU_DEP_1)
	v_cmpx_lt_i16_e64 0x7f, v130
	s_xor_b32 s26, exec_lo, s26
	s_cbranch_execnz .LBB4_1313
; %bb.812:                              ;   in Loop: Header=BB4_142 Depth=2
	s_or_saveexec_b32 s26, s26
	v_mov_b32_e32 v150, s25
	s_xor_b32 exec_lo, exec_lo, s26
	s_cbranch_execnz .LBB4_1316
.LBB4_813:                              ;   in Loop: Header=BB4_142 Depth=2
	s_or_b32 exec_lo, exec_lo, s26
	s_and_saveexec_b32 s25, s11
	s_cbranch_execz .LBB4_815
.LBB4_814:                              ;   in Loop: Header=BB4_142 Depth=2
	v_and_b32_e32 v150, 0xffff, v130
	v_lshlrev_b32_e32 v130, 24, v130
	s_delay_alu instid0(VALU_DEP_2) | instskip(NEXT) | instid1(VALU_DEP_2)
	v_and_b32_e32 v160, 7, v150
	v_and_b32_e32 v130, 0x80000000, v130
	s_delay_alu instid0(VALU_DEP_2) | instskip(NEXT) | instid1(VALU_DEP_1)
	v_clz_i32_u32_e32 v161, v160
	v_min_u32_e32 v161, 32, v161
	s_delay_alu instid0(VALU_DEP_1) | instskip(SKIP_1) | instid1(VALU_DEP_2)
	v_subrev_nc_u32_e32 v162, 28, v161
	v_sub_nc_u32_e32 v161, 29, v161
	v_lshlrev_b32_e32 v162, v162, v150
	v_bfe_u32 v150, v150, 3, 4
	s_delay_alu instid0(VALU_DEP_2) | instskip(NEXT) | instid1(VALU_DEP_2)
	v_and_b32_e32 v162, 7, v162
	v_cmp_eq_u32_e32 vcc_lo, 0, v150
	v_cndmask_b32_e32 v150, v150, v161, vcc_lo
	s_delay_alu instid0(VALU_DEP_3) | instskip(NEXT) | instid1(VALU_DEP_2)
	v_cndmask_b32_e32 v160, v160, v162, vcc_lo
	v_lshl_add_u32 v150, v150, 23, 0x3b800000
	s_delay_alu instid0(VALU_DEP_2) | instskip(NEXT) | instid1(VALU_DEP_1)
	v_lshlrev_b32_e32 v160, 20, v160
	v_or3_b32 v150, v130, v150, v160
.LBB4_815:                              ;   in Loop: Header=BB4_142 Depth=2
	s_or_b32 exec_lo, exec_lo, s25
	s_delay_alu instid0(VALU_DEP_1) | instskip(NEXT) | instid1(VALU_DEP_1)
	v_add_f32_e32 v146, v146, v150
	v_and_b32_e32 v130, 0x7f800000, v146
	s_delay_alu instid0(VALU_DEP_1)
	v_cmp_ne_u32_e32 vcc_lo, 0x7f800000, v130
	v_mov_b32_e32 v130, 0x80
	s_and_saveexec_b32 s25, vcc_lo
	s_cbranch_execz .LBB4_823
; %bb.816:                              ;   in Loop: Header=BB4_142 Depth=2
	v_mov_b32_e32 v130, 0
	s_mov_b32 s26, exec_lo
	v_cmpx_ne_u32_e32 0, v146
	s_cbranch_execz .LBB4_822
; %bb.817:                              ;   in Loop: Header=BB4_142 Depth=2
	v_bfe_u32 v130, v146, 23, 8
	v_and_b32_e32 v150, 0x7fffff, v146
	s_delay_alu instid0(VALU_DEP_2) | instskip(SKIP_1) | instid1(VALU_DEP_3)
	v_sub_nc_u32_e32 v160, 0x78, v130
	v_cmp_gt_u32_e32 vcc_lo, 0x79, v130
	v_or_b32_e32 v161, 0x800000, v150
	s_delay_alu instid0(VALU_DEP_3) | instskip(SKIP_2) | instid1(VALU_DEP_3)
	v_cndmask_b32_e32 v160, 0, v160, vcc_lo
	v_cmp_eq_u32_e32 vcc_lo, 0, v130
	v_add_nc_u32_e32 v130, 0xffffff89, v130
	v_cndmask_b32_e64 v160, v160, 0x77, vcc_lo
	v_cndmask_b32_e32 v150, v161, v150, vcc_lo
	s_delay_alu instid0(VALU_DEP_3) | instskip(NEXT) | instid1(VALU_DEP_3)
	v_cndmask_b32_e64 v130, v130, 0xffffff8a, vcc_lo
	v_lshl_add_u32 v161, 0x100000, v160, -1
	s_delay_alu instid0(VALU_DEP_3) | instskip(SKIP_1) | instid1(VALU_DEP_4)
	v_lshrrev_b32_e32 v162, v160, v150
	v_lshlrev_b32_e64 v164, v160, 0x80000
	v_add_nc_u32_e32 v160, v160, v130
	s_delay_alu instid0(VALU_DEP_4) | instskip(NEXT) | instid1(VALU_DEP_4)
	v_and_b32_e32 v150, v161, v150
	v_bfe_u32 v163, v162, 20, 1
	s_delay_alu instid0(VALU_DEP_2) | instskip(NEXT) | instid1(VALU_DEP_2)
	v_cmp_eq_u32_e64 s11, v150, v164
	v_add_nc_u32_e32 v161, -1, v163
	s_delay_alu instid0(VALU_DEP_1) | instskip(SKIP_2) | instid1(VALU_DEP_2)
	v_cndmask_b32_e64 v150, 0, v161, s11
	v_lshrrev_b32_e32 v161, 23, v162
	s_mov_b32 s11, exec_lo
	v_add_nc_u32_e32 v150, v150, v162
	s_delay_alu instid0(VALU_DEP_2) | instskip(NEXT) | instid1(VALU_DEP_2)
	v_xor_b32_e32 v161, 1, v161
	v_and_b32_e32 v130, 0xfffff, v150
	s_delay_alu instid0(VALU_DEP_1) | instskip(NEXT) | instid1(VALU_DEP_3)
	v_add_nc_u32_e32 v150, v130, v162
                                        ; implicit-def: $vgpr130
	v_cmpx_ne_u32_e64 v160, v161
	s_xor_b32 s11, exec_lo, s11
; %bb.818:                              ;   in Loop: Header=BB4_142 Depth=2
	s_delay_alu instid0(VALU_DEP_2) | instskip(SKIP_2) | instid1(VALU_DEP_2)
	v_cmp_lt_u32_e32 vcc_lo, 0xffffff, v150
	v_sub_nc_u32_e32 v130, v160, v161
	v_cndmask_b32_e64 v160, 0, 1, vcc_lo
	v_add_co_ci_u32_e32 v130, vcc_lo, 0, v130, vcc_lo
	s_delay_alu instid0(VALU_DEP_2)
	v_lshrrev_b32_e32 v150, v160, v150
; %bb.819:                              ;   in Loop: Header=BB4_142 Depth=2
	s_and_not1_saveexec_b32 s11, s11
; %bb.820:                              ;   in Loop: Header=BB4_142 Depth=2
	s_delay_alu instid0(VALU_DEP_1)
	v_bfe_u32 v130, v150, 23, 1
; %bb.821:                              ;   in Loop: Header=BB4_142 Depth=2
	s_or_b32 exec_lo, exec_lo, s11
	v_lshrrev_b32_e32 v150, 20, v150
	s_delay_alu instid0(VALU_DEP_2) | instskip(SKIP_2) | instid1(VALU_DEP_4)
	v_cmp_gt_i32_e32 vcc_lo, 16, v130
	v_lshrrev_b32_e32 v146, 24, v146
	v_min_i32_e32 v160, 15, v130
	v_cndmask_b32_e32 v150, 7, v150, vcc_lo
	s_delay_alu instid0(VALU_DEP_3) | instskip(NEXT) | instid1(VALU_DEP_3)
	v_and_b32_e32 v146, 0x80, v146
	v_lshlrev_b32_e32 v160, 3, v160
	s_delay_alu instid0(VALU_DEP_3) | instskip(SKIP_1) | instid1(VALU_DEP_2)
	v_and_b32_e32 v161, 7, v150
	v_or_b32_e32 v130, v130, v150
	v_or3_b32 v146, v160, v146, v161
	s_delay_alu instid0(VALU_DEP_2) | instskip(NEXT) | instid1(VALU_DEP_2)
	v_cmp_ne_u32_e32 vcc_lo, 0, v130
	v_cndmask_b32_e32 v130, 0, v146, vcc_lo
.LBB4_822:                              ;   in Loop: Header=BB4_142 Depth=2
	s_or_b32 exec_lo, exec_lo, s26
.LBB4_823:                              ;   in Loop: Header=BB4_142 Depth=2
	s_delay_alu instid0(SALU_CYCLE_1) | instskip(SKIP_3) | instid1(VALU_DEP_1)
	s_or_b32 exec_lo, exec_lo, s25
	v_and_b32_e32 v150, 0xff, v129
	s_mov_b32 s11, 0
	s_mov_b32 s26, exec_lo
                                        ; implicit-def: $sgpr25
	v_cmpx_lt_i16_e64 0x7f, v150
	s_xor_b32 s26, exec_lo, s26
	s_cbranch_execnz .LBB4_1317
; %bb.824:                              ;   in Loop: Header=BB4_142 Depth=2
	s_or_saveexec_b32 s26, s26
	v_mov_b32_e32 v146, s25
	s_xor_b32 exec_lo, exec_lo, s26
	s_cbranch_execnz .LBB4_1320
.LBB4_825:                              ;   in Loop: Header=BB4_142 Depth=2
	s_or_b32 exec_lo, exec_lo, s26
	s_and_saveexec_b32 s25, s11
	s_cbranch_execz .LBB4_827
.LBB4_826:                              ;   in Loop: Header=BB4_142 Depth=2
	v_and_b32_e32 v146, 7, v129
	v_bfe_u32 v161, v129, 3, 4
	s_delay_alu instid0(VALU_DEP_2) | instskip(NEXT) | instid1(VALU_DEP_2)
	v_clz_i32_u32_e32 v150, v146
	v_cmp_eq_u32_e32 vcc_lo, 0, v161
	s_delay_alu instid0(VALU_DEP_2) | instskip(NEXT) | instid1(VALU_DEP_1)
	v_min_u32_e32 v150, 32, v150
	v_subrev_nc_u32_e32 v160, 28, v150
	v_sub_nc_u32_e32 v150, 29, v150
	s_delay_alu instid0(VALU_DEP_2) | instskip(NEXT) | instid1(VALU_DEP_2)
	v_lshlrev_b32_e32 v160, v160, v129
	v_dual_cndmask_b32 v150, v161, v150 :: v_dual_lshlrev_b32 v129, 24, v129
	s_delay_alu instid0(VALU_DEP_2) | instskip(NEXT) | instid1(VALU_DEP_2)
	v_and_b32_e32 v160, 7, v160
	v_and_b32_e32 v129, 0x80000000, v129
	s_delay_alu instid0(VALU_DEP_3) | instskip(NEXT) | instid1(VALU_DEP_3)
	v_lshl_add_u32 v150, v150, 23, 0x3b800000
	v_cndmask_b32_e32 v146, v146, v160, vcc_lo
	s_delay_alu instid0(VALU_DEP_1) | instskip(NEXT) | instid1(VALU_DEP_1)
	v_lshlrev_b32_e32 v146, 20, v146
	v_or3_b32 v146, v129, v150, v146
.LBB4_827:                              ;   in Loop: Header=BB4_142 Depth=2
	s_or_b32 exec_lo, exec_lo, s25
	v_lshrrev_b32_e32 v129, 16, v10
	s_mov_b32 s11, 0
	s_mov_b32 s26, exec_lo
                                        ; implicit-def: $sgpr25
	s_delay_alu instid0(VALU_DEP_1) | instskip(NEXT) | instid1(VALU_DEP_1)
	v_and_b32_e32 v160, 0xff, v129
	v_cmpx_lt_i16_e64 0x7f, v160
	s_xor_b32 s26, exec_lo, s26
	s_cbranch_execnz .LBB4_1321
; %bb.828:                              ;   in Loop: Header=BB4_142 Depth=2
	s_or_saveexec_b32 s26, s26
	v_mov_b32_e32 v150, s25
	s_xor_b32 exec_lo, exec_lo, s26
	s_cbranch_execnz .LBB4_1324
.LBB4_829:                              ;   in Loop: Header=BB4_142 Depth=2
	s_or_b32 exec_lo, exec_lo, s26
	s_and_saveexec_b32 s25, s11
	s_cbranch_execz .LBB4_831
.LBB4_830:                              ;   in Loop: Header=BB4_142 Depth=2
	v_bfe_u32 v150, v10, 16, 3
	s_delay_alu instid0(VALU_DEP_1) | instskip(NEXT) | instid1(VALU_DEP_1)
	v_clz_i32_u32_e32 v160, v150
	v_min_u32_e32 v160, 32, v160
	s_delay_alu instid0(VALU_DEP_1) | instskip(SKIP_1) | instid1(VALU_DEP_2)
	v_subrev_nc_u32_e32 v161, 28, v160
	v_sub_nc_u32_e32 v160, 29, v160
	v_lshlrev_b32_e32 v129, v161, v129
	v_bfe_u32 v161, v10, 19, 4
	s_delay_alu instid0(VALU_DEP_1) | instskip(NEXT) | instid1(VALU_DEP_3)
	v_cmp_eq_u32_e32 vcc_lo, 0, v161
	v_dual_cndmask_b32 v160, v161, v160 :: v_dual_and_b32 v129, 7, v129
	s_delay_alu instid0(VALU_DEP_1) | instskip(NEXT) | instid1(VALU_DEP_2)
	v_dual_cndmask_b32 v129, v150, v129 :: v_dual_lshlrev_b32 v162, 8, v10
	v_lshl_add_u32 v160, v160, 23, 0x3b800000
	s_delay_alu instid0(VALU_DEP_2) | instskip(NEXT) | instid1(VALU_DEP_3)
	v_and_b32_e32 v150, 0x80000000, v162
	v_lshlrev_b32_e32 v129, 20, v129
	s_delay_alu instid0(VALU_DEP_1)
	v_or3_b32 v150, v150, v160, v129
.LBB4_831:                              ;   in Loop: Header=BB4_142 Depth=2
	s_or_b32 exec_lo, exec_lo, s25
	s_delay_alu instid0(VALU_DEP_1) | instskip(NEXT) | instid1(VALU_DEP_1)
	v_add_f32_e32 v146, v146, v150
	v_and_b32_e32 v129, 0x7f800000, v146
	s_delay_alu instid0(VALU_DEP_1)
	v_cmp_ne_u32_e32 vcc_lo, 0x7f800000, v129
	v_mov_b32_e32 v129, 0x80
	s_and_saveexec_b32 s25, vcc_lo
	s_cbranch_execz .LBB4_839
; %bb.832:                              ;   in Loop: Header=BB4_142 Depth=2
	v_mov_b32_e32 v129, 0
	s_mov_b32 s26, exec_lo
	v_cmpx_ne_u32_e32 0, v146
	s_cbranch_execz .LBB4_838
; %bb.833:                              ;   in Loop: Header=BB4_142 Depth=2
	v_bfe_u32 v129, v146, 23, 8
	v_and_b32_e32 v150, 0x7fffff, v146
	s_delay_alu instid0(VALU_DEP_2) | instskip(SKIP_1) | instid1(VALU_DEP_3)
	v_sub_nc_u32_e32 v160, 0x78, v129
	v_cmp_gt_u32_e32 vcc_lo, 0x79, v129
	v_or_b32_e32 v161, 0x800000, v150
	s_delay_alu instid0(VALU_DEP_3) | instskip(SKIP_2) | instid1(VALU_DEP_3)
	v_cndmask_b32_e32 v160, 0, v160, vcc_lo
	v_cmp_eq_u32_e32 vcc_lo, 0, v129
	v_add_nc_u32_e32 v129, 0xffffff89, v129
	v_cndmask_b32_e64 v160, v160, 0x77, vcc_lo
	v_cndmask_b32_e32 v150, v161, v150, vcc_lo
	s_delay_alu instid0(VALU_DEP_3) | instskip(NEXT) | instid1(VALU_DEP_3)
	v_cndmask_b32_e64 v129, v129, 0xffffff8a, vcc_lo
	v_lshl_add_u32 v161, 0x100000, v160, -1
	s_delay_alu instid0(VALU_DEP_3) | instskip(SKIP_1) | instid1(VALU_DEP_4)
	v_lshrrev_b32_e32 v162, v160, v150
	v_lshlrev_b32_e64 v164, v160, 0x80000
	v_add_nc_u32_e32 v160, v160, v129
	s_delay_alu instid0(VALU_DEP_4) | instskip(NEXT) | instid1(VALU_DEP_4)
	v_and_b32_e32 v150, v161, v150
	v_bfe_u32 v163, v162, 20, 1
	s_delay_alu instid0(VALU_DEP_2) | instskip(NEXT) | instid1(VALU_DEP_2)
	v_cmp_eq_u32_e64 s11, v150, v164
	v_add_nc_u32_e32 v161, -1, v163
	s_delay_alu instid0(VALU_DEP_1) | instskip(SKIP_2) | instid1(VALU_DEP_2)
	v_cndmask_b32_e64 v150, 0, v161, s11
	v_lshrrev_b32_e32 v161, 23, v162
	s_mov_b32 s11, exec_lo
	v_add_nc_u32_e32 v150, v150, v162
	s_delay_alu instid0(VALU_DEP_2) | instskip(NEXT) | instid1(VALU_DEP_2)
	v_xor_b32_e32 v161, 1, v161
	v_and_b32_e32 v129, 0xfffff, v150
	s_delay_alu instid0(VALU_DEP_1) | instskip(NEXT) | instid1(VALU_DEP_3)
	v_add_nc_u32_e32 v150, v129, v162
                                        ; implicit-def: $vgpr129
	v_cmpx_ne_u32_e64 v160, v161
	s_xor_b32 s11, exec_lo, s11
; %bb.834:                              ;   in Loop: Header=BB4_142 Depth=2
	s_delay_alu instid0(VALU_DEP_2) | instskip(SKIP_2) | instid1(VALU_DEP_2)
	v_cmp_lt_u32_e32 vcc_lo, 0xffffff, v150
	v_sub_nc_u32_e32 v129, v160, v161
	v_cndmask_b32_e64 v160, 0, 1, vcc_lo
	v_add_co_ci_u32_e32 v129, vcc_lo, 0, v129, vcc_lo
	s_delay_alu instid0(VALU_DEP_2)
	v_lshrrev_b32_e32 v150, v160, v150
; %bb.835:                              ;   in Loop: Header=BB4_142 Depth=2
	s_and_not1_saveexec_b32 s11, s11
; %bb.836:                              ;   in Loop: Header=BB4_142 Depth=2
	s_delay_alu instid0(VALU_DEP_1)
	v_bfe_u32 v129, v150, 23, 1
; %bb.837:                              ;   in Loop: Header=BB4_142 Depth=2
	s_or_b32 exec_lo, exec_lo, s11
	v_lshrrev_b32_e32 v150, 20, v150
	s_delay_alu instid0(VALU_DEP_2) | instskip(SKIP_2) | instid1(VALU_DEP_4)
	v_cmp_gt_i32_e32 vcc_lo, 16, v129
	v_lshrrev_b32_e32 v146, 24, v146
	v_min_i32_e32 v160, 15, v129
	v_cndmask_b32_e32 v150, 7, v150, vcc_lo
	s_delay_alu instid0(VALU_DEP_3) | instskip(NEXT) | instid1(VALU_DEP_2)
	v_and_b32_e32 v146, 0x80, v146
	v_or_b32_e32 v129, v129, v150
	v_and_b32_e32 v161, 7, v150
	s_delay_alu instid0(VALU_DEP_2) | instskip(SKIP_1) | instid1(VALU_DEP_1)
	v_cmp_ne_u32_e32 vcc_lo, 0, v129
	v_lshlrev_b32_e32 v160, 3, v160
	v_or3_b32 v146, v160, v146, v161
	s_delay_alu instid0(VALU_DEP_1)
	v_cndmask_b32_e32 v129, 0, v146, vcc_lo
.LBB4_838:                              ;   in Loop: Header=BB4_142 Depth=2
	s_or_b32 exec_lo, exec_lo, s26
.LBB4_839:                              ;   in Loop: Header=BB4_142 Depth=2
	s_delay_alu instid0(SALU_CYCLE_1) | instskip(SKIP_3) | instid1(VALU_DEP_1)
	s_or_b32 exec_lo, exec_lo, s25
	v_and_b32_e32 v150, 0xff, v119
	s_mov_b32 s11, 0
	s_mov_b32 s26, exec_lo
                                        ; implicit-def: $sgpr25
	v_cmpx_lt_i16_e64 0x7f, v150
	s_xor_b32 s26, exec_lo, s26
	s_cbranch_execnz .LBB4_1325
; %bb.840:                              ;   in Loop: Header=BB4_142 Depth=2
	s_or_saveexec_b32 s26, s26
	v_mov_b32_e32 v146, s25
	s_xor_b32 exec_lo, exec_lo, s26
	s_cbranch_execnz .LBB4_1328
.LBB4_841:                              ;   in Loop: Header=BB4_142 Depth=2
	s_or_b32 exec_lo, exec_lo, s26
	s_and_saveexec_b32 s25, s11
	s_cbranch_execz .LBB4_843
.LBB4_842:                              ;   in Loop: Header=BB4_142 Depth=2
	v_lshlrev_b32_e32 v119, 8, v119
	s_delay_alu instid0(VALU_DEP_1) | instskip(SKIP_1) | instid1(VALU_DEP_2)
	v_and_b32_e32 v146, 0xff00, v119
	v_bfe_u32 v119, v119, 11, 4
	v_bfe_u32 v160, v146, 8, 3
	s_delay_alu instid0(VALU_DEP_2) | instskip(NEXT) | instid1(VALU_DEP_2)
	v_cmp_eq_u32_e32 vcc_lo, 0, v119
	v_clz_i32_u32_e32 v161, v160
	s_delay_alu instid0(VALU_DEP_1) | instskip(NEXT) | instid1(VALU_DEP_1)
	v_min_u32_e32 v161, 32, v161
	v_subrev_nc_u32_e32 v162, 28, v161
	v_sub_nc_u32_e32 v161, 29, v161
	s_delay_alu instid0(VALU_DEP_1) | instskip(SKIP_1) | instid1(VALU_DEP_2)
	v_dual_cndmask_b32 v119, v119, v161 :: v_dual_lshlrev_b32 v150, v162, v150
	v_lshlrev_b32_e32 v146, 16, v146
	v_and_b32_e32 v150, 7, v150
	s_delay_alu instid0(VALU_DEP_3) | instskip(NEXT) | instid1(VALU_DEP_3)
	v_lshl_add_u32 v119, v119, 23, 0x3b800000
	v_and_b32_e32 v146, 0x80000000, v146
	s_delay_alu instid0(VALU_DEP_3) | instskip(NEXT) | instid1(VALU_DEP_1)
	v_cndmask_b32_e32 v150, v160, v150, vcc_lo
	v_lshlrev_b32_e32 v150, 20, v150
	s_delay_alu instid0(VALU_DEP_1)
	v_or3_b32 v146, v146, v119, v150
.LBB4_843:                              ;   in Loop: Header=BB4_142 Depth=2
	s_or_b32 exec_lo, exec_lo, s25
	v_lshrrev_b32_e32 v119, 24, v10
	s_mov_b32 s11, 0
	s_mov_b32 s26, exec_lo
                                        ; implicit-def: $sgpr25
	s_delay_alu instid0(VALU_DEP_1)
	v_cmpx_lt_i16_e32 0x7f, v119
	s_xor_b32 s26, exec_lo, s26
	s_cbranch_execnz .LBB4_1329
; %bb.844:                              ;   in Loop: Header=BB4_142 Depth=2
	s_or_saveexec_b32 s26, s26
	v_mov_b32_e32 v150, s25
	s_xor_b32 exec_lo, exec_lo, s26
	s_cbranch_execnz .LBB4_1332
.LBB4_845:                              ;   in Loop: Header=BB4_142 Depth=2
	s_or_b32 exec_lo, exec_lo, s26
	s_and_saveexec_b32 s25, s11
	s_cbranch_execz .LBB4_847
.LBB4_846:                              ;   in Loop: Header=BB4_142 Depth=2
	v_bfe_u32 v150, v10, 24, 3
	s_delay_alu instid0(VALU_DEP_1) | instskip(NEXT) | instid1(VALU_DEP_1)
	v_clz_i32_u32_e32 v160, v150
	v_min_u32_e32 v160, 32, v160
	s_delay_alu instid0(VALU_DEP_1) | instskip(SKIP_1) | instid1(VALU_DEP_2)
	v_subrev_nc_u32_e32 v161, 28, v160
	v_sub_nc_u32_e32 v160, 29, v160
	v_lshlrev_b32_e32 v119, v161, v119
	v_bfe_u32 v161, v10, 27, 4
	v_and_b32_e32 v10, 0x80000000, v10
	s_delay_alu instid0(VALU_DEP_2) | instskip(NEXT) | instid1(VALU_DEP_4)
	v_cmp_eq_u32_e32 vcc_lo, 0, v161
	v_dual_cndmask_b32 v160, v161, v160 :: v_dual_and_b32 v119, 7, v119
	s_delay_alu instid0(VALU_DEP_1) | instskip(NEXT) | instid1(VALU_DEP_2)
	v_cndmask_b32_e32 v119, v150, v119, vcc_lo
	v_lshl_add_u32 v150, v160, 23, 0x3b800000
	s_delay_alu instid0(VALU_DEP_2) | instskip(NEXT) | instid1(VALU_DEP_1)
	v_lshlrev_b32_e32 v119, 20, v119
	v_or3_b32 v150, v10, v150, v119
.LBB4_847:                              ;   in Loop: Header=BB4_142 Depth=2
	s_or_b32 exec_lo, exec_lo, s25
	s_delay_alu instid0(VALU_DEP_1) | instskip(NEXT) | instid1(VALU_DEP_1)
	v_add_f32_e32 v119, v146, v150
	v_and_b32_e32 v10, 0x7f800000, v119
	s_delay_alu instid0(VALU_DEP_1)
	v_cmp_ne_u32_e32 vcc_lo, 0x7f800000, v10
	v_mov_b32_e32 v10, 0x80
	s_and_saveexec_b32 s25, vcc_lo
	s_cbranch_execz .LBB4_855
; %bb.848:                              ;   in Loop: Header=BB4_142 Depth=2
	v_mov_b32_e32 v10, 0
	s_mov_b32 s26, exec_lo
	v_cmpx_ne_u32_e32 0, v119
	s_cbranch_execz .LBB4_854
; %bb.849:                              ;   in Loop: Header=BB4_142 Depth=2
	v_bfe_u32 v10, v119, 23, 8
	v_and_b32_e32 v146, 0x7fffff, v119
	s_delay_alu instid0(VALU_DEP_2) | instskip(SKIP_1) | instid1(VALU_DEP_3)
	v_sub_nc_u32_e32 v150, 0x78, v10
	v_cmp_gt_u32_e32 vcc_lo, 0x79, v10
	v_or_b32_e32 v160, 0x800000, v146
	s_delay_alu instid0(VALU_DEP_3) | instskip(SKIP_2) | instid1(VALU_DEP_3)
	v_cndmask_b32_e32 v150, 0, v150, vcc_lo
	v_cmp_eq_u32_e32 vcc_lo, 0, v10
	v_add_nc_u32_e32 v10, 0xffffff89, v10
	v_cndmask_b32_e64 v150, v150, 0x77, vcc_lo
	v_cndmask_b32_e32 v146, v160, v146, vcc_lo
	s_delay_alu instid0(VALU_DEP_3) | instskip(NEXT) | instid1(VALU_DEP_3)
	v_cndmask_b32_e64 v10, v10, 0xffffff8a, vcc_lo
	v_lshl_add_u32 v160, 0x100000, v150, -1
	s_delay_alu instid0(VALU_DEP_3) | instskip(SKIP_1) | instid1(VALU_DEP_4)
	v_lshrrev_b32_e32 v161, v150, v146
	v_lshlrev_b32_e64 v163, v150, 0x80000
	v_add_nc_u32_e32 v150, v150, v10
	s_delay_alu instid0(VALU_DEP_4) | instskip(NEXT) | instid1(VALU_DEP_4)
	v_and_b32_e32 v146, v160, v146
	v_bfe_u32 v162, v161, 20, 1
	s_delay_alu instid0(VALU_DEP_2) | instskip(NEXT) | instid1(VALU_DEP_2)
	v_cmp_eq_u32_e64 s11, v146, v163
	v_add_nc_u32_e32 v160, -1, v162
	s_delay_alu instid0(VALU_DEP_1) | instskip(SKIP_2) | instid1(VALU_DEP_2)
	v_cndmask_b32_e64 v146, 0, v160, s11
	v_lshrrev_b32_e32 v160, 23, v161
	s_mov_b32 s11, exec_lo
	v_add_nc_u32_e32 v146, v146, v161
	s_delay_alu instid0(VALU_DEP_2) | instskip(NEXT) | instid1(VALU_DEP_2)
	v_xor_b32_e32 v160, 1, v160
	v_and_b32_e32 v10, 0xfffff, v146
	s_delay_alu instid0(VALU_DEP_1) | instskip(NEXT) | instid1(VALU_DEP_3)
	v_add_nc_u32_e32 v146, v10, v161
                                        ; implicit-def: $vgpr10
	v_cmpx_ne_u32_e64 v150, v160
	s_xor_b32 s11, exec_lo, s11
; %bb.850:                              ;   in Loop: Header=BB4_142 Depth=2
	s_delay_alu instid0(VALU_DEP_2) | instskip(SKIP_2) | instid1(VALU_DEP_2)
	v_cmp_lt_u32_e32 vcc_lo, 0xffffff, v146
	v_sub_nc_u32_e32 v10, v150, v160
	v_cndmask_b32_e64 v150, 0, 1, vcc_lo
	v_add_co_ci_u32_e32 v10, vcc_lo, 0, v10, vcc_lo
	s_delay_alu instid0(VALU_DEP_2)
	v_lshrrev_b32_e32 v146, v150, v146
; %bb.851:                              ;   in Loop: Header=BB4_142 Depth=2
	s_and_not1_saveexec_b32 s11, s11
; %bb.852:                              ;   in Loop: Header=BB4_142 Depth=2
	s_delay_alu instid0(VALU_DEP_1)
	v_bfe_u32 v10, v146, 23, 1
; %bb.853:                              ;   in Loop: Header=BB4_142 Depth=2
	s_or_b32 exec_lo, exec_lo, s11
	v_lshrrev_b32_e32 v146, 20, v146
	s_delay_alu instid0(VALU_DEP_2) | instskip(SKIP_2) | instid1(VALU_DEP_2)
	v_cmp_gt_i32_e32 vcc_lo, 16, v10
	v_lshrrev_b32_e32 v119, 24, v119
	v_min_i32_e32 v150, 15, v10
	v_dual_cndmask_b32 v146, 7, v146 :: v_dual_and_b32 v119, 0x80, v119
	s_delay_alu instid0(VALU_DEP_2) | instskip(NEXT) | instid1(VALU_DEP_2)
	v_lshlrev_b32_e32 v150, 3, v150
	v_and_b32_e32 v160, 7, v146
	v_or_b32_e32 v10, v10, v146
	s_delay_alu instid0(VALU_DEP_2) | instskip(NEXT) | instid1(VALU_DEP_2)
	v_or3_b32 v119, v150, v119, v160
	v_cmp_ne_u32_e32 vcc_lo, 0, v10
	s_delay_alu instid0(VALU_DEP_2)
	v_cndmask_b32_e32 v10, 0, v119, vcc_lo
.LBB4_854:                              ;   in Loop: Header=BB4_142 Depth=2
	s_or_b32 exec_lo, exec_lo, s26
.LBB4_855:                              ;   in Loop: Header=BB4_142 Depth=2
	s_delay_alu instid0(SALU_CYCLE_1) | instskip(SKIP_3) | instid1(VALU_DEP_1)
	s_or_b32 exec_lo, exec_lo, s25
	v_or_b32_e32 v132, v132, v118
	s_mov_b32 s11, 0
	s_mov_b32 s26, exec_lo
                                        ; implicit-def: $sgpr25
	v_and_b32_e32 v119, 0xff, v132
	s_delay_alu instid0(VALU_DEP_1)
	v_cmpx_lt_i16_e32 0x7f, v119
	s_xor_b32 s26, exec_lo, s26
	s_cbranch_execnz .LBB4_1333
; %bb.856:                              ;   in Loop: Header=BB4_142 Depth=2
	s_or_saveexec_b32 s26, s26
	v_mov_b32_e32 v118, s25
	s_xor_b32 exec_lo, exec_lo, s26
	s_cbranch_execnz .LBB4_1336
.LBB4_857:                              ;   in Loop: Header=BB4_142 Depth=2
	s_or_b32 exec_lo, exec_lo, s26
	s_and_saveexec_b32 s25, s11
	s_cbranch_execz .LBB4_859
.LBB4_858:                              ;   in Loop: Header=BB4_142 Depth=2
	v_bfe_u32 v150, v132, 3, 4
	v_lshlrev_b32_e32 v160, 24, v132
	s_delay_alu instid0(VALU_DEP_2) | instskip(SKIP_1) | instid1(VALU_DEP_1)
	v_cmp_eq_u32_e32 vcc_lo, 0, v150
	v_and_b32_e32 v118, 7, v132
	v_clz_i32_u32_e32 v119, v118
	s_delay_alu instid0(VALU_DEP_1) | instskip(NEXT) | instid1(VALU_DEP_1)
	v_min_u32_e32 v119, 32, v119
	v_subrev_nc_u32_e32 v146, 28, v119
	v_sub_nc_u32_e32 v119, 29, v119
	s_delay_alu instid0(VALU_DEP_2) | instskip(NEXT) | instid1(VALU_DEP_1)
	v_lshlrev_b32_e32 v146, v146, v132
	v_dual_cndmask_b32 v119, v150, v119 :: v_dual_and_b32 v146, 7, v146
	s_delay_alu instid0(VALU_DEP_1) | instskip(NEXT) | instid1(VALU_DEP_2)
	v_lshl_add_u32 v119, v119, 23, 0x3b800000
	v_cndmask_b32_e32 v118, v118, v146, vcc_lo
	v_and_b32_e32 v146, 0x80000000, v160
	s_delay_alu instid0(VALU_DEP_2) | instskip(NEXT) | instid1(VALU_DEP_1)
	v_lshlrev_b32_e32 v118, 20, v118
	v_or3_b32 v118, v146, v119, v118
.LBB4_859:                              ;   in Loop: Header=BB4_142 Depth=2
	s_or_b32 exec_lo, exec_lo, s25
	v_and_b32_e32 v146, 0xff, v11
	s_mov_b32 s11, 0
	s_mov_b32 s26, exec_lo
                                        ; implicit-def: $sgpr25
	s_delay_alu instid0(VALU_DEP_1)
	v_cmpx_lt_i16_e64 0x7f, v146
	s_xor_b32 s26, exec_lo, s26
	s_cbranch_execnz .LBB4_1337
; %bb.860:                              ;   in Loop: Header=BB4_142 Depth=2
	s_or_saveexec_b32 s26, s26
	v_mov_b32_e32 v119, s25
	s_xor_b32 exec_lo, exec_lo, s26
	s_cbranch_execnz .LBB4_1340
.LBB4_861:                              ;   in Loop: Header=BB4_142 Depth=2
	s_or_b32 exec_lo, exec_lo, s26
	s_and_saveexec_b32 s25, s11
	s_cbranch_execz .LBB4_863
.LBB4_862:                              ;   in Loop: Header=BB4_142 Depth=2
	v_bfe_u32 v160, v11, 3, 4
	v_lshlrev_b32_e32 v161, 24, v11
	s_delay_alu instid0(VALU_DEP_2) | instskip(SKIP_1) | instid1(VALU_DEP_1)
	v_cmp_eq_u32_e32 vcc_lo, 0, v160
	v_and_b32_e32 v119, 7, v11
	v_clz_i32_u32_e32 v146, v119
	s_delay_alu instid0(VALU_DEP_1) | instskip(NEXT) | instid1(VALU_DEP_1)
	v_min_u32_e32 v146, 32, v146
	v_subrev_nc_u32_e32 v150, 28, v146
	v_sub_nc_u32_e32 v146, 29, v146
	s_delay_alu instid0(VALU_DEP_2) | instskip(NEXT) | instid1(VALU_DEP_2)
	v_lshlrev_b32_e32 v150, v150, v11
	v_cndmask_b32_e32 v146, v160, v146, vcc_lo
	s_delay_alu instid0(VALU_DEP_2) | instskip(NEXT) | instid1(VALU_DEP_2)
	v_and_b32_e32 v150, 7, v150
	v_lshl_add_u32 v146, v146, 23, 0x3b800000
	s_delay_alu instid0(VALU_DEP_2) | instskip(NEXT) | instid1(VALU_DEP_1)
	v_dual_cndmask_b32 v119, v119, v150 :: v_dual_and_b32 v150, 0x80000000, v161
	v_lshlrev_b32_e32 v119, 20, v119
	s_delay_alu instid0(VALU_DEP_1)
	v_or3_b32 v119, v150, v146, v119
.LBB4_863:                              ;   in Loop: Header=BB4_142 Depth=2
	s_or_b32 exec_lo, exec_lo, s25
	s_delay_alu instid0(VALU_DEP_1) | instskip(NEXT) | instid1(VALU_DEP_1)
	v_add_f32_e32 v119, v118, v119
	v_and_b32_e32 v118, 0x7f800000, v119
	s_delay_alu instid0(VALU_DEP_1)
	v_cmp_ne_u32_e32 vcc_lo, 0x7f800000, v118
	v_mov_b32_e32 v118, 0x80
	s_and_saveexec_b32 s25, vcc_lo
	s_cbranch_execz .LBB4_871
; %bb.864:                              ;   in Loop: Header=BB4_142 Depth=2
	v_mov_b32_e32 v118, 0
	s_mov_b32 s26, exec_lo
	v_cmpx_ne_u32_e32 0, v119
	s_cbranch_execz .LBB4_870
; %bb.865:                              ;   in Loop: Header=BB4_142 Depth=2
	v_bfe_u32 v118, v119, 23, 8
	v_and_b32_e32 v146, 0x7fffff, v119
	s_delay_alu instid0(VALU_DEP_2) | instskip(SKIP_1) | instid1(VALU_DEP_3)
	v_sub_nc_u32_e32 v150, 0x78, v118
	v_cmp_gt_u32_e32 vcc_lo, 0x79, v118
	v_or_b32_e32 v160, 0x800000, v146
	s_delay_alu instid0(VALU_DEP_3) | instskip(SKIP_2) | instid1(VALU_DEP_3)
	v_cndmask_b32_e32 v150, 0, v150, vcc_lo
	v_cmp_eq_u32_e32 vcc_lo, 0, v118
	v_add_nc_u32_e32 v118, 0xffffff89, v118
	v_cndmask_b32_e64 v150, v150, 0x77, vcc_lo
	v_cndmask_b32_e32 v146, v160, v146, vcc_lo
	s_delay_alu instid0(VALU_DEP_3) | instskip(NEXT) | instid1(VALU_DEP_3)
	v_cndmask_b32_e64 v118, v118, 0xffffff8a, vcc_lo
	v_lshl_add_u32 v160, 0x100000, v150, -1
	s_delay_alu instid0(VALU_DEP_3) | instskip(SKIP_1) | instid1(VALU_DEP_4)
	v_lshrrev_b32_e32 v161, v150, v146
	v_lshlrev_b32_e64 v163, v150, 0x80000
	v_add_nc_u32_e32 v150, v150, v118
	s_delay_alu instid0(VALU_DEP_4) | instskip(NEXT) | instid1(VALU_DEP_4)
	v_and_b32_e32 v146, v160, v146
	v_bfe_u32 v162, v161, 20, 1
	s_delay_alu instid0(VALU_DEP_2) | instskip(NEXT) | instid1(VALU_DEP_2)
	v_cmp_eq_u32_e64 s11, v146, v163
	v_add_nc_u32_e32 v160, -1, v162
	s_delay_alu instid0(VALU_DEP_1) | instskip(SKIP_2) | instid1(VALU_DEP_2)
	v_cndmask_b32_e64 v146, 0, v160, s11
	v_lshrrev_b32_e32 v160, 23, v161
	s_mov_b32 s11, exec_lo
	v_add_nc_u32_e32 v146, v146, v161
	s_delay_alu instid0(VALU_DEP_2) | instskip(NEXT) | instid1(VALU_DEP_2)
	v_xor_b32_e32 v160, 1, v160
	v_and_b32_e32 v118, 0xfffff, v146
	s_delay_alu instid0(VALU_DEP_1) | instskip(NEXT) | instid1(VALU_DEP_3)
	v_add_nc_u32_e32 v146, v118, v161
                                        ; implicit-def: $vgpr118
	v_cmpx_ne_u32_e64 v150, v160
	s_xor_b32 s11, exec_lo, s11
; %bb.866:                              ;   in Loop: Header=BB4_142 Depth=2
	s_delay_alu instid0(VALU_DEP_2) | instskip(SKIP_2) | instid1(VALU_DEP_2)
	v_cmp_lt_u32_e32 vcc_lo, 0xffffff, v146
	v_sub_nc_u32_e32 v118, v150, v160
	v_cndmask_b32_e64 v150, 0, 1, vcc_lo
	v_add_co_ci_u32_e32 v118, vcc_lo, 0, v118, vcc_lo
	s_delay_alu instid0(VALU_DEP_2)
	v_lshrrev_b32_e32 v146, v150, v146
; %bb.867:                              ;   in Loop: Header=BB4_142 Depth=2
	s_and_not1_saveexec_b32 s11, s11
; %bb.868:                              ;   in Loop: Header=BB4_142 Depth=2
	s_delay_alu instid0(VALU_DEP_1)
	v_bfe_u32 v118, v146, 23, 1
; %bb.869:                              ;   in Loop: Header=BB4_142 Depth=2
	s_or_b32 exec_lo, exec_lo, s11
	v_lshrrev_b32_e32 v146, 20, v146
	s_delay_alu instid0(VALU_DEP_2) | instskip(SKIP_2) | instid1(VALU_DEP_2)
	v_cmp_gt_i32_e32 vcc_lo, 16, v118
	v_lshrrev_b32_e32 v119, 24, v119
	v_min_i32_e32 v150, 15, v118
	v_dual_cndmask_b32 v146, 7, v146 :: v_dual_and_b32 v119, 0x80, v119
	s_delay_alu instid0(VALU_DEP_2) | instskip(NEXT) | instid1(VALU_DEP_2)
	v_lshlrev_b32_e32 v150, 3, v150
	v_and_b32_e32 v160, 7, v146
	v_or_b32_e32 v118, v118, v146
	s_delay_alu instid0(VALU_DEP_2) | instskip(NEXT) | instid1(VALU_DEP_2)
	v_or3_b32 v119, v150, v119, v160
	v_cmp_ne_u32_e32 vcc_lo, 0, v118
	s_delay_alu instid0(VALU_DEP_2)
	v_cndmask_b32_e32 v118, 0, v119, vcc_lo
.LBB4_870:                              ;   in Loop: Header=BB4_142 Depth=2
	s_or_b32 exec_lo, exec_lo, s26
.LBB4_871:                              ;   in Loop: Header=BB4_142 Depth=2
	s_delay_alu instid0(SALU_CYCLE_1) | instskip(SKIP_3) | instid1(VALU_DEP_1)
	s_or_b32 exec_lo, exec_lo, s25
	v_lshrrev_b16 v146, 8, v132
	s_mov_b32 s11, 0
	s_mov_b32 s26, exec_lo
                                        ; implicit-def: $sgpr25
	v_cmpx_lt_i16_e64 0x7f, v146
	s_xor_b32 s26, exec_lo, s26
	s_cbranch_execnz .LBB4_1341
; %bb.872:                              ;   in Loop: Header=BB4_142 Depth=2
	s_or_saveexec_b32 s26, s26
	v_mov_b32_e32 v119, s25
	s_xor_b32 exec_lo, exec_lo, s26
	s_cbranch_execnz .LBB4_1344
.LBB4_873:                              ;   in Loop: Header=BB4_142 Depth=2
	s_or_b32 exec_lo, exec_lo, s26
	s_and_saveexec_b32 s25, s11
	s_cbranch_execz .LBB4_875
.LBB4_874:                              ;   in Loop: Header=BB4_142 Depth=2
	v_and_b32_e32 v119, 0xffff, v146
	v_lshlrev_b32_e32 v146, 24, v146
	s_delay_alu instid0(VALU_DEP_2) | instskip(NEXT) | instid1(VALU_DEP_2)
	v_and_b32_e32 v150, 7, v119
	v_and_b32_e32 v146, 0x80000000, v146
	s_delay_alu instid0(VALU_DEP_2) | instskip(NEXT) | instid1(VALU_DEP_1)
	v_clz_i32_u32_e32 v160, v150
	v_min_u32_e32 v160, 32, v160
	s_delay_alu instid0(VALU_DEP_1) | instskip(SKIP_1) | instid1(VALU_DEP_2)
	v_subrev_nc_u32_e32 v161, 28, v160
	v_sub_nc_u32_e32 v160, 29, v160
	v_lshlrev_b32_e32 v161, v161, v119
	v_bfe_u32 v119, v119, 3, 4
	s_delay_alu instid0(VALU_DEP_2) | instskip(NEXT) | instid1(VALU_DEP_2)
	v_and_b32_e32 v161, 7, v161
	v_cmp_eq_u32_e32 vcc_lo, 0, v119
	s_delay_alu instid0(VALU_DEP_2) | instskip(NEXT) | instid1(VALU_DEP_1)
	v_dual_cndmask_b32 v119, v119, v160 :: v_dual_cndmask_b32 v150, v150, v161
	v_lshl_add_u32 v119, v119, 23, 0x3b800000
	s_delay_alu instid0(VALU_DEP_2) | instskip(NEXT) | instid1(VALU_DEP_1)
	v_lshlrev_b32_e32 v150, 20, v150
	v_or3_b32 v119, v146, v119, v150
.LBB4_875:                              ;   in Loop: Header=BB4_142 Depth=2
	s_or_b32 exec_lo, exec_lo, s25
	v_lshrrev_b16 v146, 8, v11
	s_mov_b32 s11, 0
	s_mov_b32 s26, exec_lo
                                        ; implicit-def: $sgpr25
	s_delay_alu instid0(VALU_DEP_1)
	v_cmpx_lt_i16_e64 0x7f, v146
	s_xor_b32 s26, exec_lo, s26
	s_cbranch_execnz .LBB4_1345
; %bb.876:                              ;   in Loop: Header=BB4_142 Depth=2
	s_or_saveexec_b32 s26, s26
	v_mov_b32_e32 v150, s25
	s_xor_b32 exec_lo, exec_lo, s26
	s_cbranch_execnz .LBB4_1348
.LBB4_877:                              ;   in Loop: Header=BB4_142 Depth=2
	s_or_b32 exec_lo, exec_lo, s26
	s_and_saveexec_b32 s25, s11
	s_cbranch_execz .LBB4_879
.LBB4_878:                              ;   in Loop: Header=BB4_142 Depth=2
	v_and_b32_e32 v150, 0xffff, v146
	v_lshlrev_b32_e32 v146, 24, v146
	s_delay_alu instid0(VALU_DEP_2) | instskip(NEXT) | instid1(VALU_DEP_2)
	v_and_b32_e32 v160, 7, v150
	v_and_b32_e32 v146, 0x80000000, v146
	s_delay_alu instid0(VALU_DEP_2) | instskip(NEXT) | instid1(VALU_DEP_1)
	v_clz_i32_u32_e32 v161, v160
	v_min_u32_e32 v161, 32, v161
	s_delay_alu instid0(VALU_DEP_1) | instskip(SKIP_1) | instid1(VALU_DEP_2)
	v_subrev_nc_u32_e32 v162, 28, v161
	v_sub_nc_u32_e32 v161, 29, v161
	v_lshlrev_b32_e32 v162, v162, v150
	v_bfe_u32 v150, v150, 3, 4
	s_delay_alu instid0(VALU_DEP_2) | instskip(NEXT) | instid1(VALU_DEP_2)
	v_and_b32_e32 v162, 7, v162
	v_cmp_eq_u32_e32 vcc_lo, 0, v150
	v_cndmask_b32_e32 v150, v150, v161, vcc_lo
	s_delay_alu instid0(VALU_DEP_3) | instskip(NEXT) | instid1(VALU_DEP_2)
	v_cndmask_b32_e32 v160, v160, v162, vcc_lo
	v_lshl_add_u32 v150, v150, 23, 0x3b800000
	s_delay_alu instid0(VALU_DEP_2) | instskip(NEXT) | instid1(VALU_DEP_1)
	v_lshlrev_b32_e32 v160, 20, v160
	v_or3_b32 v150, v146, v150, v160
.LBB4_879:                              ;   in Loop: Header=BB4_142 Depth=2
	s_or_b32 exec_lo, exec_lo, s25
	s_delay_alu instid0(VALU_DEP_1) | instskip(NEXT) | instid1(VALU_DEP_1)
	v_add_f32_e32 v146, v119, v150
	v_and_b32_e32 v119, 0x7f800000, v146
	s_delay_alu instid0(VALU_DEP_1)
	v_cmp_ne_u32_e32 vcc_lo, 0x7f800000, v119
	v_mov_b32_e32 v119, 0x8000
	s_and_saveexec_b32 s25, vcc_lo
	s_cbranch_execz .LBB4_887
; %bb.880:                              ;   in Loop: Header=BB4_142 Depth=2
	v_mov_b32_e32 v119, 0
	s_mov_b32 s26, exec_lo
	v_cmpx_ne_u32_e32 0, v146
	s_cbranch_execz .LBB4_886
; %bb.881:                              ;   in Loop: Header=BB4_142 Depth=2
	v_bfe_u32 v119, v146, 23, 8
	v_and_b32_e32 v150, 0x7fffff, v146
	s_delay_alu instid0(VALU_DEP_2) | instskip(SKIP_1) | instid1(VALU_DEP_3)
	v_sub_nc_u32_e32 v160, 0x78, v119
	v_cmp_gt_u32_e32 vcc_lo, 0x79, v119
	v_or_b32_e32 v161, 0x800000, v150
	s_delay_alu instid0(VALU_DEP_3) | instskip(SKIP_2) | instid1(VALU_DEP_3)
	v_cndmask_b32_e32 v160, 0, v160, vcc_lo
	v_cmp_eq_u32_e32 vcc_lo, 0, v119
	v_add_nc_u32_e32 v119, 0xffffff89, v119
	v_cndmask_b32_e64 v160, v160, 0x77, vcc_lo
	v_cndmask_b32_e32 v150, v161, v150, vcc_lo
	s_delay_alu instid0(VALU_DEP_3) | instskip(NEXT) | instid1(VALU_DEP_3)
	v_cndmask_b32_e64 v119, v119, 0xffffff8a, vcc_lo
	v_lshl_add_u32 v161, 0x100000, v160, -1
	s_delay_alu instid0(VALU_DEP_3) | instskip(SKIP_1) | instid1(VALU_DEP_4)
	v_lshrrev_b32_e32 v162, v160, v150
	v_lshlrev_b32_e64 v164, v160, 0x80000
	v_add_nc_u32_e32 v160, v160, v119
	s_delay_alu instid0(VALU_DEP_4) | instskip(NEXT) | instid1(VALU_DEP_4)
	v_and_b32_e32 v150, v161, v150
	v_bfe_u32 v163, v162, 20, 1
	s_delay_alu instid0(VALU_DEP_2) | instskip(NEXT) | instid1(VALU_DEP_2)
	v_cmp_eq_u32_e64 s11, v150, v164
	v_add_nc_u32_e32 v161, -1, v163
	s_delay_alu instid0(VALU_DEP_1) | instskip(SKIP_2) | instid1(VALU_DEP_2)
	v_cndmask_b32_e64 v150, 0, v161, s11
	v_lshrrev_b32_e32 v161, 23, v162
	s_mov_b32 s11, exec_lo
	v_add_nc_u32_e32 v150, v150, v162
	s_delay_alu instid0(VALU_DEP_2) | instskip(NEXT) | instid1(VALU_DEP_2)
	v_xor_b32_e32 v161, 1, v161
	v_and_b32_e32 v119, 0xfffff, v150
	s_delay_alu instid0(VALU_DEP_1) | instskip(NEXT) | instid1(VALU_DEP_3)
	v_add_nc_u32_e32 v150, v119, v162
                                        ; implicit-def: $vgpr119
	v_cmpx_ne_u32_e64 v160, v161
	s_xor_b32 s11, exec_lo, s11
; %bb.882:                              ;   in Loop: Header=BB4_142 Depth=2
	s_delay_alu instid0(VALU_DEP_2) | instskip(SKIP_2) | instid1(VALU_DEP_2)
	v_cmp_lt_u32_e32 vcc_lo, 0xffffff, v150
	v_sub_nc_u32_e32 v119, v160, v161
	v_cndmask_b32_e64 v160, 0, 1, vcc_lo
	v_add_co_ci_u32_e32 v119, vcc_lo, 0, v119, vcc_lo
	s_delay_alu instid0(VALU_DEP_2)
	v_lshrrev_b32_e32 v150, v160, v150
; %bb.883:                              ;   in Loop: Header=BB4_142 Depth=2
	s_and_not1_saveexec_b32 s11, s11
; %bb.884:                              ;   in Loop: Header=BB4_142 Depth=2
	s_delay_alu instid0(VALU_DEP_1)
	v_bfe_u32 v119, v150, 23, 1
; %bb.885:                              ;   in Loop: Header=BB4_142 Depth=2
	s_or_b32 exec_lo, exec_lo, s11
	v_lshrrev_b32_e32 v150, 20, v150
	s_delay_alu instid0(VALU_DEP_2) | instskip(SKIP_2) | instid1(VALU_DEP_4)
	v_cmp_gt_i32_e32 vcc_lo, 16, v119
	v_min_i32_e32 v160, 15, v119
	v_lshrrev_b32_e32 v146, 24, v146
	v_cndmask_b32_e32 v150, 7, v150, vcc_lo
	s_delay_alu instid0(VALU_DEP_2) | instskip(NEXT) | instid1(VALU_DEP_2)
	v_and_b32_e32 v146, 0x80, v146
	v_or_b32_e32 v119, v119, v150
	v_and_b32_e32 v161, 7, v150
	s_delay_alu instid0(VALU_DEP_2) | instskip(SKIP_1) | instid1(VALU_DEP_1)
	v_cmp_ne_u32_e32 vcc_lo, 0, v119
	v_lshlrev_b32_e32 v160, 3, v160
	v_and_b32_e32 v160, 0xf8, v160
	s_delay_alu instid0(VALU_DEP_1) | instskip(NEXT) | instid1(VALU_DEP_1)
	v_or3_b32 v146, v146, v160, v161
	v_lshlrev_b32_e32 v146, 8, v146
	s_delay_alu instid0(VALU_DEP_1)
	v_cndmask_b32_e32 v119, 0, v146, vcc_lo
.LBB4_886:                              ;   in Loop: Header=BB4_142 Depth=2
	s_or_b32 exec_lo, exec_lo, s26
.LBB4_887:                              ;   in Loop: Header=BB4_142 Depth=2
	s_delay_alu instid0(SALU_CYCLE_1) | instskip(SKIP_3) | instid1(VALU_DEP_1)
	s_or_b32 exec_lo, exec_lo, s25
	v_or_b32_e32 v128, v128, v117
	s_mov_b32 s11, 0
	s_mov_b32 s26, exec_lo
                                        ; implicit-def: $sgpr25
	v_and_b32_e32 v146, 0xff, v128
	s_delay_alu instid0(VALU_DEP_1)
	v_cmpx_lt_i16_e64 0x7f, v146
	s_xor_b32 s26, exec_lo, s26
	s_cbranch_execnz .LBB4_1349
; %bb.888:                              ;   in Loop: Header=BB4_142 Depth=2
	s_or_saveexec_b32 s26, s26
	v_mov_b32_e32 v117, s25
	s_xor_b32 exec_lo, exec_lo, s26
	s_cbranch_execnz .LBB4_1352
.LBB4_889:                              ;   in Loop: Header=BB4_142 Depth=2
	s_or_b32 exec_lo, exec_lo, s26
	v_lshl_or_b32 v128, v128, 16, v132
	s_and_saveexec_b32 s25, s11
	s_cbranch_execz .LBB4_891
.LBB4_890:                              ;   in Loop: Header=BB4_142 Depth=2
	s_delay_alu instid0(VALU_DEP_1) | instskip(SKIP_1) | instid1(VALU_DEP_2)
	v_bfe_u32 v117, v128, 16, 3
	v_lshrrev_b32_e32 v146, 16, v128
	v_clz_i32_u32_e32 v132, v117
	s_delay_alu instid0(VALU_DEP_1) | instskip(NEXT) | instid1(VALU_DEP_1)
	v_min_u32_e32 v132, 32, v132
	v_subrev_nc_u32_e32 v150, 28, v132
	v_sub_nc_u32_e32 v132, 29, v132
	s_delay_alu instid0(VALU_DEP_2) | instskip(SKIP_1) | instid1(VALU_DEP_2)
	v_lshlrev_b32_e32 v146, v150, v146
	v_bfe_u32 v150, v128, 19, 4
	v_and_b32_e32 v146, 7, v146
	s_delay_alu instid0(VALU_DEP_2) | instskip(NEXT) | instid1(VALU_DEP_2)
	v_cmp_eq_u32_e32 vcc_lo, 0, v150
	v_dual_cndmask_b32 v117, v117, v146 :: v_dual_lshlrev_b32 v160, 8, v128
	v_cndmask_b32_e32 v132, v150, v132, vcc_lo
	s_delay_alu instid0(VALU_DEP_2) | instskip(NEXT) | instid1(VALU_DEP_3)
	v_and_b32_e32 v146, 0x80000000, v160
	v_lshlrev_b32_e32 v117, 20, v117
	s_delay_alu instid0(VALU_DEP_3) | instskip(NEXT) | instid1(VALU_DEP_1)
	v_lshl_add_u32 v132, v132, 23, 0x3b800000
	v_or3_b32 v117, v146, v132, v117
.LBB4_891:                              ;   in Loop: Header=BB4_142 Depth=2
	s_or_b32 exec_lo, exec_lo, s25
	v_lshrrev_b32_e32 v132, 16, v11
	s_mov_b32 s11, 0
	s_mov_b32 s26, exec_lo
                                        ; implicit-def: $sgpr25
	s_delay_alu instid0(VALU_DEP_1) | instskip(NEXT) | instid1(VALU_DEP_1)
	v_and_b32_e32 v150, 0xff, v132
	v_cmpx_lt_i16_e64 0x7f, v150
	s_xor_b32 s26, exec_lo, s26
	s_cbranch_execnz .LBB4_1353
; %bb.892:                              ;   in Loop: Header=BB4_142 Depth=2
	s_or_saveexec_b32 s26, s26
	v_mov_b32_e32 v146, s25
	s_xor_b32 exec_lo, exec_lo, s26
	s_cbranch_execnz .LBB4_1356
.LBB4_893:                              ;   in Loop: Header=BB4_142 Depth=2
	s_or_b32 exec_lo, exec_lo, s26
	s_and_saveexec_b32 s25, s11
	s_cbranch_execz .LBB4_895
.LBB4_894:                              ;   in Loop: Header=BB4_142 Depth=2
	v_bfe_u32 v146, v11, 16, 3
	s_delay_alu instid0(VALU_DEP_1) | instskip(NEXT) | instid1(VALU_DEP_1)
	v_clz_i32_u32_e32 v150, v146
	v_min_u32_e32 v150, 32, v150
	s_delay_alu instid0(VALU_DEP_1) | instskip(SKIP_1) | instid1(VALU_DEP_2)
	v_subrev_nc_u32_e32 v160, 28, v150
	v_sub_nc_u32_e32 v150, 29, v150
	v_lshlrev_b32_e32 v132, v160, v132
	v_bfe_u32 v160, v11, 19, 4
	s_delay_alu instid0(VALU_DEP_2) | instskip(NEXT) | instid1(VALU_DEP_2)
	v_and_b32_e32 v132, 7, v132
	v_cmp_eq_u32_e32 vcc_lo, 0, v160
	v_dual_cndmask_b32 v150, v160, v150 :: v_dual_lshlrev_b32 v161, 8, v11
	s_delay_alu instid0(VALU_DEP_3) | instskip(NEXT) | instid1(VALU_DEP_2)
	v_cndmask_b32_e32 v132, v146, v132, vcc_lo
	v_and_b32_e32 v146, 0x80000000, v161
	s_delay_alu instid0(VALU_DEP_3) | instskip(NEXT) | instid1(VALU_DEP_3)
	v_lshl_add_u32 v150, v150, 23, 0x3b800000
	v_lshlrev_b32_e32 v132, 20, v132
	s_delay_alu instid0(VALU_DEP_1)
	v_or3_b32 v146, v146, v150, v132
.LBB4_895:                              ;   in Loop: Header=BB4_142 Depth=2
	s_or_b32 exec_lo, exec_lo, s25
	s_delay_alu instid0(VALU_DEP_1) | instskip(NEXT) | instid1(VALU_DEP_1)
	v_add_f32_e32 v132, v117, v146
	v_and_b32_e32 v117, 0x7f800000, v132
	s_delay_alu instid0(VALU_DEP_1)
	v_cmp_ne_u32_e32 vcc_lo, 0x7f800000, v117
	v_mov_b32_e32 v117, 0x80
	s_and_saveexec_b32 s25, vcc_lo
	s_cbranch_execz .LBB4_903
; %bb.896:                              ;   in Loop: Header=BB4_142 Depth=2
	v_mov_b32_e32 v117, 0
	s_mov_b32 s26, exec_lo
	v_cmpx_ne_u32_e32 0, v132
	s_cbranch_execz .LBB4_902
; %bb.897:                              ;   in Loop: Header=BB4_142 Depth=2
	v_bfe_u32 v117, v132, 23, 8
	v_and_b32_e32 v146, 0x7fffff, v132
	s_delay_alu instid0(VALU_DEP_2) | instskip(SKIP_1) | instid1(VALU_DEP_3)
	v_sub_nc_u32_e32 v150, 0x78, v117
	v_cmp_gt_u32_e32 vcc_lo, 0x79, v117
	v_or_b32_e32 v160, 0x800000, v146
	s_delay_alu instid0(VALU_DEP_3) | instskip(SKIP_2) | instid1(VALU_DEP_3)
	v_cndmask_b32_e32 v150, 0, v150, vcc_lo
	v_cmp_eq_u32_e32 vcc_lo, 0, v117
	v_add_nc_u32_e32 v117, 0xffffff89, v117
	v_cndmask_b32_e64 v150, v150, 0x77, vcc_lo
	v_cndmask_b32_e32 v146, v160, v146, vcc_lo
	s_delay_alu instid0(VALU_DEP_3) | instskip(NEXT) | instid1(VALU_DEP_3)
	v_cndmask_b32_e64 v117, v117, 0xffffff8a, vcc_lo
	v_lshl_add_u32 v160, 0x100000, v150, -1
	s_delay_alu instid0(VALU_DEP_3) | instskip(SKIP_1) | instid1(VALU_DEP_4)
	v_lshrrev_b32_e32 v161, v150, v146
	v_lshlrev_b32_e64 v163, v150, 0x80000
	v_add_nc_u32_e32 v150, v150, v117
	s_delay_alu instid0(VALU_DEP_4) | instskip(NEXT) | instid1(VALU_DEP_4)
	v_and_b32_e32 v146, v160, v146
	v_bfe_u32 v162, v161, 20, 1
	s_delay_alu instid0(VALU_DEP_2) | instskip(NEXT) | instid1(VALU_DEP_2)
	v_cmp_eq_u32_e64 s11, v146, v163
	v_add_nc_u32_e32 v160, -1, v162
	s_delay_alu instid0(VALU_DEP_1) | instskip(SKIP_2) | instid1(VALU_DEP_2)
	v_cndmask_b32_e64 v146, 0, v160, s11
	v_lshrrev_b32_e32 v160, 23, v161
	s_mov_b32 s11, exec_lo
	v_add_nc_u32_e32 v146, v146, v161
	s_delay_alu instid0(VALU_DEP_2) | instskip(NEXT) | instid1(VALU_DEP_2)
	v_xor_b32_e32 v160, 1, v160
	v_and_b32_e32 v117, 0xfffff, v146
	s_delay_alu instid0(VALU_DEP_1) | instskip(NEXT) | instid1(VALU_DEP_3)
	v_add_nc_u32_e32 v146, v117, v161
                                        ; implicit-def: $vgpr117
	v_cmpx_ne_u32_e64 v150, v160
	s_xor_b32 s11, exec_lo, s11
; %bb.898:                              ;   in Loop: Header=BB4_142 Depth=2
	s_delay_alu instid0(VALU_DEP_2) | instskip(SKIP_2) | instid1(VALU_DEP_2)
	v_cmp_lt_u32_e32 vcc_lo, 0xffffff, v146
	v_sub_nc_u32_e32 v117, v150, v160
	v_cndmask_b32_e64 v150, 0, 1, vcc_lo
	v_add_co_ci_u32_e32 v117, vcc_lo, 0, v117, vcc_lo
	s_delay_alu instid0(VALU_DEP_2)
	v_lshrrev_b32_e32 v146, v150, v146
; %bb.899:                              ;   in Loop: Header=BB4_142 Depth=2
	s_and_not1_saveexec_b32 s11, s11
; %bb.900:                              ;   in Loop: Header=BB4_142 Depth=2
	s_delay_alu instid0(VALU_DEP_1)
	v_bfe_u32 v117, v146, 23, 1
; %bb.901:                              ;   in Loop: Header=BB4_142 Depth=2
	s_or_b32 exec_lo, exec_lo, s11
	v_lshrrev_b32_e32 v146, 20, v146
	s_delay_alu instid0(VALU_DEP_2) | instskip(SKIP_2) | instid1(VALU_DEP_3)
	v_min_i32_e32 v150, 15, v117
	v_cmp_gt_i32_e32 vcc_lo, 16, v117
	v_lshrrev_b32_e32 v132, 24, v132
	v_lshlrev_b32_e32 v150, 3, v150
	v_cndmask_b32_e32 v146, 7, v146, vcc_lo
	s_delay_alu instid0(VALU_DEP_3) | instskip(NEXT) | instid1(VALU_DEP_3)
	v_and_b32_e32 v132, 0x80, v132
	v_and_b32_e32 v150, 0xf8, v150
	s_delay_alu instid0(VALU_DEP_3) | instskip(SKIP_1) | instid1(VALU_DEP_2)
	v_and_b32_e32 v160, 7, v146
	v_or_b32_e32 v117, v117, v146
	v_or3_b32 v132, v150, v132, v160
	s_delay_alu instid0(VALU_DEP_2) | instskip(NEXT) | instid1(VALU_DEP_2)
	v_cmp_ne_u32_e32 vcc_lo, 0, v117
	v_cndmask_b32_e32 v117, 0, v132, vcc_lo
.LBB4_902:                              ;   in Loop: Header=BB4_142 Depth=2
	s_or_b32 exec_lo, exec_lo, s26
.LBB4_903:                              ;   in Loop: Header=BB4_142 Depth=2
	s_delay_alu instid0(SALU_CYCLE_1) | instskip(SKIP_3) | instid1(VALU_DEP_1)
	s_or_b32 exec_lo, exec_lo, s25
	v_lshrrev_b32_e32 v146, 24, v128
	s_mov_b32 s11, 0
	s_mov_b32 s26, exec_lo
                                        ; implicit-def: $sgpr25
	v_cmpx_lt_i16_e64 0x7f, v146
	s_xor_b32 s26, exec_lo, s26
	s_cbranch_execnz .LBB4_1357
; %bb.904:                              ;   in Loop: Header=BB4_142 Depth=2
	s_or_saveexec_b32 s26, s26
	v_mov_b32_e32 v132, s25
	s_xor_b32 exec_lo, exec_lo, s26
	s_cbranch_execnz .LBB4_1360
.LBB4_905:                              ;   in Loop: Header=BB4_142 Depth=2
	s_or_b32 exec_lo, exec_lo, s26
	s_and_saveexec_b32 s25, s11
	s_cbranch_execz .LBB4_907
.LBB4_906:                              ;   in Loop: Header=BB4_142 Depth=2
	v_bfe_u32 v132, v128, 24, 3
	s_delay_alu instid0(VALU_DEP_1) | instskip(NEXT) | instid1(VALU_DEP_1)
	v_clz_i32_u32_e32 v150, v132
	v_min_u32_e32 v150, 32, v150
	s_delay_alu instid0(VALU_DEP_1) | instskip(SKIP_1) | instid1(VALU_DEP_2)
	v_subrev_nc_u32_e32 v160, 28, v150
	v_sub_nc_u32_e32 v150, 29, v150
	v_lshlrev_b32_e32 v146, v160, v146
	v_bfe_u32 v160, v128, 27, 4
	v_and_b32_e32 v128, 0x80000000, v128
	s_delay_alu instid0(VALU_DEP_3) | instskip(NEXT) | instid1(VALU_DEP_3)
	v_and_b32_e32 v146, 7, v146
	v_cmp_eq_u32_e32 vcc_lo, 0, v160
	v_cndmask_b32_e32 v150, v160, v150, vcc_lo
	s_delay_alu instid0(VALU_DEP_3) | instskip(NEXT) | instid1(VALU_DEP_2)
	v_cndmask_b32_e32 v132, v132, v146, vcc_lo
	v_lshl_add_u32 v146, v150, 23, 0x3b800000
	s_delay_alu instid0(VALU_DEP_2) | instskip(NEXT) | instid1(VALU_DEP_1)
	v_lshlrev_b32_e32 v132, 20, v132
	v_or3_b32 v132, v128, v146, v132
.LBB4_907:                              ;   in Loop: Header=BB4_142 Depth=2
	s_or_b32 exec_lo, exec_lo, s25
	v_lshrrev_b32_e32 v128, 24, v11
	s_mov_b32 s11, 0
	s_mov_b32 s26, exec_lo
                                        ; implicit-def: $sgpr25
	s_delay_alu instid0(VALU_DEP_1)
	v_cmpx_lt_i16_e64 0x7f, v128
	s_xor_b32 s26, exec_lo, s26
	s_cbranch_execnz .LBB4_1361
; %bb.908:                              ;   in Loop: Header=BB4_142 Depth=2
	s_or_saveexec_b32 s26, s26
	v_mov_b32_e32 v146, s25
	s_xor_b32 exec_lo, exec_lo, s26
	s_cbranch_execnz .LBB4_1364
.LBB4_909:                              ;   in Loop: Header=BB4_142 Depth=2
	s_or_b32 exec_lo, exec_lo, s26
	s_and_saveexec_b32 s25, s11
	s_cbranch_execz .LBB4_911
.LBB4_910:                              ;   in Loop: Header=BB4_142 Depth=2
	v_bfe_u32 v146, v11, 24, 3
	s_delay_alu instid0(VALU_DEP_1) | instskip(NEXT) | instid1(VALU_DEP_1)
	v_clz_i32_u32_e32 v150, v146
	v_min_u32_e32 v150, 32, v150
	s_delay_alu instid0(VALU_DEP_1) | instskip(SKIP_1) | instid1(VALU_DEP_2)
	v_subrev_nc_u32_e32 v160, 28, v150
	v_sub_nc_u32_e32 v150, 29, v150
	v_lshlrev_b32_e32 v128, v160, v128
	v_bfe_u32 v160, v11, 27, 4
	v_and_b32_e32 v11, 0x80000000, v11
	s_delay_alu instid0(VALU_DEP_3) | instskip(NEXT) | instid1(VALU_DEP_3)
	v_and_b32_e32 v128, 7, v128
	v_cmp_eq_u32_e32 vcc_lo, 0, v160
	v_cndmask_b32_e32 v150, v160, v150, vcc_lo
	s_delay_alu instid0(VALU_DEP_3) | instskip(NEXT) | instid1(VALU_DEP_2)
	v_cndmask_b32_e32 v128, v146, v128, vcc_lo
	v_lshl_add_u32 v146, v150, 23, 0x3b800000
	s_delay_alu instid0(VALU_DEP_2) | instskip(NEXT) | instid1(VALU_DEP_1)
	v_lshlrev_b32_e32 v128, 20, v128
	v_or3_b32 v146, v11, v146, v128
.LBB4_911:                              ;   in Loop: Header=BB4_142 Depth=2
	s_or_b32 exec_lo, exec_lo, s25
	s_delay_alu instid0(VALU_DEP_1) | instskip(NEXT) | instid1(VALU_DEP_1)
	v_add_f32_e32 v128, v132, v146
	v_and_b32_e32 v11, 0x7f800000, v128
	s_delay_alu instid0(VALU_DEP_1)
	v_cmp_ne_u32_e32 vcc_lo, 0x7f800000, v11
	v_mov_b32_e32 v11, 0x8000
	s_and_saveexec_b32 s25, vcc_lo
	s_cbranch_execz .LBB4_919
; %bb.912:                              ;   in Loop: Header=BB4_142 Depth=2
	v_mov_b32_e32 v11, 0
	s_mov_b32 s26, exec_lo
	v_cmpx_ne_u32_e32 0, v128
	s_cbranch_execz .LBB4_918
; %bb.913:                              ;   in Loop: Header=BB4_142 Depth=2
	v_bfe_u32 v11, v128, 23, 8
	v_and_b32_e32 v132, 0x7fffff, v128
	s_delay_alu instid0(VALU_DEP_2) | instskip(SKIP_1) | instid1(VALU_DEP_3)
	v_sub_nc_u32_e32 v146, 0x78, v11
	v_cmp_gt_u32_e32 vcc_lo, 0x79, v11
	v_or_b32_e32 v150, 0x800000, v132
	s_delay_alu instid0(VALU_DEP_3) | instskip(SKIP_2) | instid1(VALU_DEP_3)
	v_cndmask_b32_e32 v146, 0, v146, vcc_lo
	v_cmp_eq_u32_e32 vcc_lo, 0, v11
	v_add_nc_u32_e32 v11, 0xffffff89, v11
	v_cndmask_b32_e64 v146, v146, 0x77, vcc_lo
	v_cndmask_b32_e32 v132, v150, v132, vcc_lo
	s_delay_alu instid0(VALU_DEP_3) | instskip(NEXT) | instid1(VALU_DEP_3)
	v_cndmask_b32_e64 v11, v11, 0xffffff8a, vcc_lo
	v_lshl_add_u32 v150, 0x100000, v146, -1
	s_delay_alu instid0(VALU_DEP_3) | instskip(SKIP_1) | instid1(VALU_DEP_4)
	v_lshrrev_b32_e32 v160, v146, v132
	v_lshlrev_b32_e64 v162, v146, 0x80000
	v_add_nc_u32_e32 v146, v146, v11
	s_delay_alu instid0(VALU_DEP_4) | instskip(NEXT) | instid1(VALU_DEP_4)
	v_and_b32_e32 v132, v150, v132
	v_bfe_u32 v161, v160, 20, 1
	s_delay_alu instid0(VALU_DEP_2) | instskip(NEXT) | instid1(VALU_DEP_2)
	v_cmp_eq_u32_e64 s11, v132, v162
	v_add_nc_u32_e32 v150, -1, v161
	s_delay_alu instid0(VALU_DEP_1) | instskip(SKIP_2) | instid1(VALU_DEP_2)
	v_cndmask_b32_e64 v132, 0, v150, s11
	v_lshrrev_b32_e32 v150, 23, v160
	s_mov_b32 s11, exec_lo
	v_add_nc_u32_e32 v132, v132, v160
	s_delay_alu instid0(VALU_DEP_2) | instskip(NEXT) | instid1(VALU_DEP_2)
	v_xor_b32_e32 v150, 1, v150
	v_and_b32_e32 v11, 0xfffff, v132
	s_delay_alu instid0(VALU_DEP_1) | instskip(NEXT) | instid1(VALU_DEP_3)
	v_add_nc_u32_e32 v132, v11, v160
                                        ; implicit-def: $vgpr11
	v_cmpx_ne_u32_e64 v146, v150
	s_xor_b32 s11, exec_lo, s11
; %bb.914:                              ;   in Loop: Header=BB4_142 Depth=2
	s_delay_alu instid0(VALU_DEP_2) | instskip(SKIP_2) | instid1(VALU_DEP_2)
	v_cmp_lt_u32_e32 vcc_lo, 0xffffff, v132
	v_sub_nc_u32_e32 v11, v146, v150
	v_cndmask_b32_e64 v146, 0, 1, vcc_lo
	v_add_co_ci_u32_e32 v11, vcc_lo, 0, v11, vcc_lo
	s_delay_alu instid0(VALU_DEP_2)
	v_lshrrev_b32_e32 v132, v146, v132
; %bb.915:                              ;   in Loop: Header=BB4_142 Depth=2
	s_and_not1_saveexec_b32 s11, s11
; %bb.916:                              ;   in Loop: Header=BB4_142 Depth=2
	s_delay_alu instid0(VALU_DEP_1)
	v_bfe_u32 v11, v132, 23, 1
; %bb.917:                              ;   in Loop: Header=BB4_142 Depth=2
	s_or_b32 exec_lo, exec_lo, s11
	v_lshrrev_b32_e32 v132, 20, v132
	s_delay_alu instid0(VALU_DEP_2) | instskip(SKIP_2) | instid1(VALU_DEP_4)
	v_cmp_gt_i32_e32 vcc_lo, 16, v11
	v_min_i32_e32 v146, 15, v11
	v_lshrrev_b32_e32 v128, 24, v128
	v_cndmask_b32_e32 v132, 7, v132, vcc_lo
	s_delay_alu instid0(VALU_DEP_2) | instskip(NEXT) | instid1(VALU_DEP_2)
	v_and_b32_e32 v128, 0x80, v128
	v_or_b32_e32 v11, v11, v132
	v_and_b32_e32 v150, 7, v132
	s_delay_alu instid0(VALU_DEP_2) | instskip(SKIP_1) | instid1(VALU_DEP_1)
	v_cmp_ne_u32_e32 vcc_lo, 0, v11
	v_lshlrev_b32_e32 v146, 3, v146
	v_and_b32_e32 v146, 0xf8, v146
	s_delay_alu instid0(VALU_DEP_1) | instskip(NEXT) | instid1(VALU_DEP_1)
	v_or3_b32 v128, v128, v146, v150
	v_lshlrev_b32_e32 v128, 8, v128
	s_delay_alu instid0(VALU_DEP_1)
	v_cndmask_b32_e32 v11, 0, v128, vcc_lo
.LBB4_918:                              ;   in Loop: Header=BB4_142 Depth=2
	s_or_b32 exec_lo, exec_lo, s26
.LBB4_919:                              ;   in Loop: Header=BB4_142 Depth=2
	s_delay_alu instid0(SALU_CYCLE_1) | instskip(SKIP_3) | instid1(VALU_DEP_1)
	s_or_b32 exec_lo, exec_lo, s25
	v_and_b32_e32 v132, 0xff, v115
	s_mov_b32 s11, 0
	s_mov_b32 s26, exec_lo
                                        ; implicit-def: $sgpr25
	v_cmpx_lt_i16_e64 0x7f, v132
	s_xor_b32 s26, exec_lo, s26
	s_cbranch_execnz .LBB4_1365
; %bb.920:                              ;   in Loop: Header=BB4_142 Depth=2
	s_or_saveexec_b32 s26, s26
	v_mov_b32_e32 v128, s25
	s_xor_b32 exec_lo, exec_lo, s26
	s_cbranch_execnz .LBB4_1368
.LBB4_921:                              ;   in Loop: Header=BB4_142 Depth=2
	s_or_b32 exec_lo, exec_lo, s26
	s_and_saveexec_b32 s25, s11
	s_cbranch_execz .LBB4_923
.LBB4_922:                              ;   in Loop: Header=BB4_142 Depth=2
	v_and_b32_e32 v128, 7, v115
	v_bfe_u32 v150, v115, 3, 4
	s_delay_alu instid0(VALU_DEP_2) | instskip(NEXT) | instid1(VALU_DEP_2)
	v_clz_i32_u32_e32 v132, v128
	v_cmp_eq_u32_e32 vcc_lo, 0, v150
	s_delay_alu instid0(VALU_DEP_2) | instskip(NEXT) | instid1(VALU_DEP_1)
	v_min_u32_e32 v132, 32, v132
	v_subrev_nc_u32_e32 v146, 28, v132
	v_sub_nc_u32_e32 v132, 29, v132
	s_delay_alu instid0(VALU_DEP_2) | instskip(NEXT) | instid1(VALU_DEP_2)
	v_lshlrev_b32_e32 v146, v146, v115
	v_dual_cndmask_b32 v132, v150, v132 :: v_dual_lshlrev_b32 v115, 24, v115
	s_delay_alu instid0(VALU_DEP_2) | instskip(NEXT) | instid1(VALU_DEP_2)
	v_and_b32_e32 v146, 7, v146
	v_and_b32_e32 v115, 0x80000000, v115
	s_delay_alu instid0(VALU_DEP_3) | instskip(NEXT) | instid1(VALU_DEP_3)
	v_lshl_add_u32 v132, v132, 23, 0x3b800000
	v_cndmask_b32_e32 v128, v128, v146, vcc_lo
	s_delay_alu instid0(VALU_DEP_1) | instskip(NEXT) | instid1(VALU_DEP_1)
	v_lshlrev_b32_e32 v128, 20, v128
	v_or3_b32 v128, v115, v132, v128
.LBB4_923:                              ;   in Loop: Header=BB4_142 Depth=2
	s_or_b32 exec_lo, exec_lo, s25
	v_and_b32_e32 v132, 0xff, v12
	s_mov_b32 s11, 0
	s_mov_b32 s26, exec_lo
                                        ; implicit-def: $sgpr25
	s_delay_alu instid0(VALU_DEP_1)
	v_cmpx_lt_i16_e64 0x7f, v132
	s_xor_b32 s26, exec_lo, s26
	s_cbranch_execnz .LBB4_1369
; %bb.924:                              ;   in Loop: Header=BB4_142 Depth=2
	s_or_saveexec_b32 s26, s26
	v_mov_b32_e32 v115, s25
	s_xor_b32 exec_lo, exec_lo, s26
	s_cbranch_execnz .LBB4_1372
.LBB4_925:                              ;   in Loop: Header=BB4_142 Depth=2
	s_or_b32 exec_lo, exec_lo, s26
	s_and_saveexec_b32 s25, s11
	s_cbranch_execz .LBB4_927
.LBB4_926:                              ;   in Loop: Header=BB4_142 Depth=2
	v_and_b32_e32 v115, 7, v12
	v_bfe_u32 v150, v12, 3, 4
	s_delay_alu instid0(VALU_DEP_2) | instskip(NEXT) | instid1(VALU_DEP_2)
	v_clz_i32_u32_e32 v132, v115
	v_cmp_eq_u32_e32 vcc_lo, 0, v150
	s_delay_alu instid0(VALU_DEP_2) | instskip(NEXT) | instid1(VALU_DEP_1)
	v_min_u32_e32 v132, 32, v132
	v_subrev_nc_u32_e32 v146, 28, v132
	v_sub_nc_u32_e32 v132, 29, v132
	s_delay_alu instid0(VALU_DEP_2) | instskip(NEXT) | instid1(VALU_DEP_1)
	v_lshlrev_b32_e32 v146, v146, v12
	v_and_b32_e32 v146, 7, v146
	s_delay_alu instid0(VALU_DEP_1) | instskip(NEXT) | instid1(VALU_DEP_4)
	v_dual_cndmask_b32 v115, v115, v146 :: v_dual_lshlrev_b32 v160, 24, v12
	v_cndmask_b32_e32 v132, v150, v132, vcc_lo
	s_delay_alu instid0(VALU_DEP_2) | instskip(NEXT) | instid1(VALU_DEP_3)
	v_and_b32_e32 v146, 0x80000000, v160
	v_lshlrev_b32_e32 v115, 20, v115
	s_delay_alu instid0(VALU_DEP_3) | instskip(NEXT) | instid1(VALU_DEP_1)
	v_lshl_add_u32 v132, v132, 23, 0x3b800000
	v_or3_b32 v115, v146, v132, v115
.LBB4_927:                              ;   in Loop: Header=BB4_142 Depth=2
	s_or_b32 exec_lo, exec_lo, s25
	s_delay_alu instid0(VALU_DEP_1) | instskip(NEXT) | instid1(VALU_DEP_1)
	v_add_f32_e32 v128, v128, v115
	v_and_b32_e32 v115, 0x7f800000, v128
	s_delay_alu instid0(VALU_DEP_1)
	v_cmp_ne_u32_e32 vcc_lo, 0x7f800000, v115
	v_mov_b32_e32 v115, 0x80
	s_and_saveexec_b32 s25, vcc_lo
	s_cbranch_execz .LBB4_935
; %bb.928:                              ;   in Loop: Header=BB4_142 Depth=2
	v_mov_b32_e32 v115, 0
	s_mov_b32 s26, exec_lo
	v_cmpx_ne_u32_e32 0, v128
	s_cbranch_execz .LBB4_934
; %bb.929:                              ;   in Loop: Header=BB4_142 Depth=2
	v_bfe_u32 v115, v128, 23, 8
	v_and_b32_e32 v132, 0x7fffff, v128
	s_delay_alu instid0(VALU_DEP_2) | instskip(SKIP_1) | instid1(VALU_DEP_3)
	v_sub_nc_u32_e32 v146, 0x78, v115
	v_cmp_gt_u32_e32 vcc_lo, 0x79, v115
	v_or_b32_e32 v150, 0x800000, v132
	s_delay_alu instid0(VALU_DEP_3) | instskip(SKIP_2) | instid1(VALU_DEP_3)
	v_cndmask_b32_e32 v146, 0, v146, vcc_lo
	v_cmp_eq_u32_e32 vcc_lo, 0, v115
	v_add_nc_u32_e32 v115, 0xffffff89, v115
	v_cndmask_b32_e64 v146, v146, 0x77, vcc_lo
	v_cndmask_b32_e32 v132, v150, v132, vcc_lo
	s_delay_alu instid0(VALU_DEP_3) | instskip(NEXT) | instid1(VALU_DEP_3)
	v_cndmask_b32_e64 v115, v115, 0xffffff8a, vcc_lo
	v_lshl_add_u32 v150, 0x100000, v146, -1
	s_delay_alu instid0(VALU_DEP_3) | instskip(SKIP_1) | instid1(VALU_DEP_4)
	v_lshrrev_b32_e32 v160, v146, v132
	v_lshlrev_b32_e64 v162, v146, 0x80000
	v_add_nc_u32_e32 v146, v146, v115
	s_delay_alu instid0(VALU_DEP_4) | instskip(NEXT) | instid1(VALU_DEP_4)
	v_and_b32_e32 v132, v150, v132
	v_bfe_u32 v161, v160, 20, 1
	s_delay_alu instid0(VALU_DEP_2) | instskip(NEXT) | instid1(VALU_DEP_2)
	v_cmp_eq_u32_e64 s11, v132, v162
	v_add_nc_u32_e32 v150, -1, v161
	s_delay_alu instid0(VALU_DEP_1) | instskip(SKIP_2) | instid1(VALU_DEP_2)
	v_cndmask_b32_e64 v132, 0, v150, s11
	v_lshrrev_b32_e32 v150, 23, v160
	s_mov_b32 s11, exec_lo
	v_add_nc_u32_e32 v132, v132, v160
	s_delay_alu instid0(VALU_DEP_2) | instskip(NEXT) | instid1(VALU_DEP_2)
	v_xor_b32_e32 v150, 1, v150
	v_and_b32_e32 v115, 0xfffff, v132
	s_delay_alu instid0(VALU_DEP_1) | instskip(NEXT) | instid1(VALU_DEP_3)
	v_add_nc_u32_e32 v132, v115, v160
                                        ; implicit-def: $vgpr115
	v_cmpx_ne_u32_e64 v146, v150
	s_xor_b32 s11, exec_lo, s11
; %bb.930:                              ;   in Loop: Header=BB4_142 Depth=2
	s_delay_alu instid0(VALU_DEP_2) | instskip(SKIP_2) | instid1(VALU_DEP_2)
	v_cmp_lt_u32_e32 vcc_lo, 0xffffff, v132
	v_sub_nc_u32_e32 v115, v146, v150
	v_cndmask_b32_e64 v146, 0, 1, vcc_lo
	v_add_co_ci_u32_e32 v115, vcc_lo, 0, v115, vcc_lo
	s_delay_alu instid0(VALU_DEP_2)
	v_lshrrev_b32_e32 v132, v146, v132
; %bb.931:                              ;   in Loop: Header=BB4_142 Depth=2
	s_and_not1_saveexec_b32 s11, s11
; %bb.932:                              ;   in Loop: Header=BB4_142 Depth=2
	s_delay_alu instid0(VALU_DEP_1)
	v_bfe_u32 v115, v132, 23, 1
; %bb.933:                              ;   in Loop: Header=BB4_142 Depth=2
	s_or_b32 exec_lo, exec_lo, s11
	v_lshrrev_b32_e32 v132, 20, v132
	s_delay_alu instid0(VALU_DEP_2) | instskip(SKIP_2) | instid1(VALU_DEP_4)
	v_cmp_gt_i32_e32 vcc_lo, 16, v115
	v_lshrrev_b32_e32 v128, 24, v128
	v_min_i32_e32 v146, 15, v115
	v_cndmask_b32_e32 v132, 7, v132, vcc_lo
	s_delay_alu instid0(VALU_DEP_3) | instskip(NEXT) | instid1(VALU_DEP_2)
	v_and_b32_e32 v128, 0x80, v128
	v_or_b32_e32 v115, v115, v132
	v_and_b32_e32 v150, 7, v132
	s_delay_alu instid0(VALU_DEP_2) | instskip(SKIP_1) | instid1(VALU_DEP_1)
	v_cmp_ne_u32_e32 vcc_lo, 0, v115
	v_lshlrev_b32_e32 v146, 3, v146
	v_or3_b32 v128, v146, v128, v150
	s_delay_alu instid0(VALU_DEP_1)
	v_cndmask_b32_e32 v115, 0, v128, vcc_lo
.LBB4_934:                              ;   in Loop: Header=BB4_142 Depth=2
	s_or_b32 exec_lo, exec_lo, s26
.LBB4_935:                              ;   in Loop: Header=BB4_142 Depth=2
	s_delay_alu instid0(SALU_CYCLE_1) | instskip(SKIP_3) | instid1(VALU_DEP_1)
	s_or_b32 exec_lo, exec_lo, s25
	v_and_b32_e32 v132, 0xff, v113
	s_mov_b32 s11, 0
	s_mov_b32 s26, exec_lo
                                        ; implicit-def: $sgpr25
	v_cmpx_lt_i16_e64 0x7f, v132
	s_xor_b32 s26, exec_lo, s26
	s_cbranch_execnz .LBB4_1373
; %bb.936:                              ;   in Loop: Header=BB4_142 Depth=2
	s_or_saveexec_b32 s26, s26
	v_mov_b32_e32 v128, s25
	s_xor_b32 exec_lo, exec_lo, s26
	s_cbranch_execnz .LBB4_1376
.LBB4_937:                              ;   in Loop: Header=BB4_142 Depth=2
	s_or_b32 exec_lo, exec_lo, s26
	s_and_saveexec_b32 s25, s11
	s_cbranch_execz .LBB4_939
.LBB4_938:                              ;   in Loop: Header=BB4_142 Depth=2
	v_and_b32_e32 v128, 7, v113
	v_bfe_u32 v150, v113, 3, 4
	s_delay_alu instid0(VALU_DEP_2) | instskip(NEXT) | instid1(VALU_DEP_2)
	v_clz_i32_u32_e32 v132, v128
	v_cmp_eq_u32_e32 vcc_lo, 0, v150
	s_delay_alu instid0(VALU_DEP_2) | instskip(NEXT) | instid1(VALU_DEP_1)
	v_min_u32_e32 v132, 32, v132
	v_subrev_nc_u32_e32 v146, 28, v132
	v_sub_nc_u32_e32 v132, 29, v132
	s_delay_alu instid0(VALU_DEP_2) | instskip(NEXT) | instid1(VALU_DEP_2)
	v_lshlrev_b32_e32 v146, v146, v113
	v_dual_cndmask_b32 v132, v150, v132 :: v_dual_lshlrev_b32 v113, 24, v113
	s_delay_alu instid0(VALU_DEP_2) | instskip(NEXT) | instid1(VALU_DEP_2)
	v_and_b32_e32 v146, 7, v146
	v_and_b32_e32 v113, 0x80000000, v113
	s_delay_alu instid0(VALU_DEP_3) | instskip(NEXT) | instid1(VALU_DEP_3)
	v_lshl_add_u32 v132, v132, 23, 0x3b800000
	v_cndmask_b32_e32 v128, v128, v146, vcc_lo
	s_delay_alu instid0(VALU_DEP_1) | instskip(NEXT) | instid1(VALU_DEP_1)
	v_lshlrev_b32_e32 v128, 20, v128
	v_or3_b32 v128, v113, v132, v128
.LBB4_939:                              ;   in Loop: Header=BB4_142 Depth=2
	s_or_b32 exec_lo, exec_lo, s25
	v_lshrrev_b16 v113, 8, v12
	s_mov_b32 s11, 0
	s_mov_b32 s26, exec_lo
                                        ; implicit-def: $sgpr25
	s_delay_alu instid0(VALU_DEP_1)
	v_cmpx_lt_i16_e32 0x7f, v113
	s_xor_b32 s26, exec_lo, s26
	s_cbranch_execnz .LBB4_1377
; %bb.940:                              ;   in Loop: Header=BB4_142 Depth=2
	s_or_saveexec_b32 s26, s26
	v_mov_b32_e32 v132, s25
	s_xor_b32 exec_lo, exec_lo, s26
	s_cbranch_execnz .LBB4_1380
.LBB4_941:                              ;   in Loop: Header=BB4_142 Depth=2
	s_or_b32 exec_lo, exec_lo, s26
	s_and_saveexec_b32 s25, s11
	s_cbranch_execz .LBB4_943
.LBB4_942:                              ;   in Loop: Header=BB4_142 Depth=2
	v_and_b32_e32 v132, 0xffff, v113
	s_delay_alu instid0(VALU_DEP_1) | instskip(NEXT) | instid1(VALU_DEP_1)
	v_and_b32_e32 v146, 7, v132
	v_clz_i32_u32_e32 v150, v146
	s_delay_alu instid0(VALU_DEP_1) | instskip(NEXT) | instid1(VALU_DEP_1)
	v_min_u32_e32 v150, 32, v150
	v_subrev_nc_u32_e32 v160, 28, v150
	v_sub_nc_u32_e32 v150, 29, v150
	s_delay_alu instid0(VALU_DEP_2) | instskip(SKIP_1) | instid1(VALU_DEP_2)
	v_lshlrev_b32_e32 v160, v160, v132
	v_bfe_u32 v132, v132, 3, 4
	v_and_b32_e32 v160, 7, v160
	s_delay_alu instid0(VALU_DEP_2) | instskip(SKIP_1) | instid1(VALU_DEP_1)
	v_cmp_eq_u32_e32 vcc_lo, 0, v132
	v_dual_cndmask_b32 v132, v132, v150 :: v_dual_lshlrev_b32 v113, 24, v113
	v_dual_cndmask_b32 v146, v146, v160 :: v_dual_and_b32 v113, 0x80000000, v113
	s_delay_alu instid0(VALU_DEP_2) | instskip(NEXT) | instid1(VALU_DEP_2)
	v_lshl_add_u32 v132, v132, 23, 0x3b800000
	v_lshlrev_b32_e32 v146, 20, v146
	s_delay_alu instid0(VALU_DEP_1)
	v_or3_b32 v132, v113, v132, v146
.LBB4_943:                              ;   in Loop: Header=BB4_142 Depth=2
	s_or_b32 exec_lo, exec_lo, s25
	s_delay_alu instid0(VALU_DEP_1) | instskip(NEXT) | instid1(VALU_DEP_1)
	v_add_f32_e32 v128, v128, v132
	v_and_b32_e32 v113, 0x7f800000, v128
	s_delay_alu instid0(VALU_DEP_1)
	v_cmp_ne_u32_e32 vcc_lo, 0x7f800000, v113
	v_mov_b32_e32 v113, 0x80
	s_and_saveexec_b32 s25, vcc_lo
	s_cbranch_execz .LBB4_951
; %bb.944:                              ;   in Loop: Header=BB4_142 Depth=2
	v_mov_b32_e32 v113, 0
	s_mov_b32 s26, exec_lo
	v_cmpx_ne_u32_e32 0, v128
	s_cbranch_execz .LBB4_950
; %bb.945:                              ;   in Loop: Header=BB4_142 Depth=2
	v_bfe_u32 v113, v128, 23, 8
	v_and_b32_e32 v132, 0x7fffff, v128
	s_delay_alu instid0(VALU_DEP_2) | instskip(SKIP_1) | instid1(VALU_DEP_3)
	v_sub_nc_u32_e32 v146, 0x78, v113
	v_cmp_gt_u32_e32 vcc_lo, 0x79, v113
	v_or_b32_e32 v150, 0x800000, v132
	s_delay_alu instid0(VALU_DEP_3) | instskip(SKIP_2) | instid1(VALU_DEP_3)
	v_cndmask_b32_e32 v146, 0, v146, vcc_lo
	v_cmp_eq_u32_e32 vcc_lo, 0, v113
	v_add_nc_u32_e32 v113, 0xffffff89, v113
	v_cndmask_b32_e64 v146, v146, 0x77, vcc_lo
	v_cndmask_b32_e32 v132, v150, v132, vcc_lo
	s_delay_alu instid0(VALU_DEP_3) | instskip(NEXT) | instid1(VALU_DEP_3)
	v_cndmask_b32_e64 v113, v113, 0xffffff8a, vcc_lo
	v_lshl_add_u32 v150, 0x100000, v146, -1
	s_delay_alu instid0(VALU_DEP_3) | instskip(SKIP_1) | instid1(VALU_DEP_4)
	v_lshrrev_b32_e32 v160, v146, v132
	v_lshlrev_b32_e64 v162, v146, 0x80000
	v_add_nc_u32_e32 v146, v146, v113
	s_delay_alu instid0(VALU_DEP_4) | instskip(NEXT) | instid1(VALU_DEP_4)
	v_and_b32_e32 v132, v150, v132
	v_bfe_u32 v161, v160, 20, 1
	s_delay_alu instid0(VALU_DEP_2) | instskip(NEXT) | instid1(VALU_DEP_2)
	v_cmp_eq_u32_e64 s11, v132, v162
	v_add_nc_u32_e32 v150, -1, v161
	s_delay_alu instid0(VALU_DEP_1) | instskip(SKIP_2) | instid1(VALU_DEP_2)
	v_cndmask_b32_e64 v132, 0, v150, s11
	v_lshrrev_b32_e32 v150, 23, v160
	s_mov_b32 s11, exec_lo
	v_add_nc_u32_e32 v132, v132, v160
	s_delay_alu instid0(VALU_DEP_2) | instskip(NEXT) | instid1(VALU_DEP_2)
	v_xor_b32_e32 v150, 1, v150
	v_and_b32_e32 v113, 0xfffff, v132
	s_delay_alu instid0(VALU_DEP_1) | instskip(NEXT) | instid1(VALU_DEP_3)
	v_add_nc_u32_e32 v132, v113, v160
                                        ; implicit-def: $vgpr113
	v_cmpx_ne_u32_e64 v146, v150
	s_xor_b32 s11, exec_lo, s11
; %bb.946:                              ;   in Loop: Header=BB4_142 Depth=2
	s_delay_alu instid0(VALU_DEP_2) | instskip(SKIP_2) | instid1(VALU_DEP_2)
	v_cmp_lt_u32_e32 vcc_lo, 0xffffff, v132
	v_sub_nc_u32_e32 v113, v146, v150
	v_cndmask_b32_e64 v146, 0, 1, vcc_lo
	v_add_co_ci_u32_e32 v113, vcc_lo, 0, v113, vcc_lo
	s_delay_alu instid0(VALU_DEP_2)
	v_lshrrev_b32_e32 v132, v146, v132
; %bb.947:                              ;   in Loop: Header=BB4_142 Depth=2
	s_and_not1_saveexec_b32 s11, s11
; %bb.948:                              ;   in Loop: Header=BB4_142 Depth=2
	s_delay_alu instid0(VALU_DEP_1)
	v_bfe_u32 v113, v132, 23, 1
; %bb.949:                              ;   in Loop: Header=BB4_142 Depth=2
	s_or_b32 exec_lo, exec_lo, s11
	v_lshrrev_b32_e32 v132, 20, v132
	s_delay_alu instid0(VALU_DEP_2) | instskip(SKIP_2) | instid1(VALU_DEP_4)
	v_cmp_gt_i32_e32 vcc_lo, 16, v113
	v_lshrrev_b32_e32 v128, 24, v128
	v_min_i32_e32 v146, 15, v113
	v_cndmask_b32_e32 v132, 7, v132, vcc_lo
	s_delay_alu instid0(VALU_DEP_3) | instskip(NEXT) | instid1(VALU_DEP_2)
	v_and_b32_e32 v128, 0x80, v128
	v_or_b32_e32 v113, v113, v132
	v_and_b32_e32 v150, 7, v132
	s_delay_alu instid0(VALU_DEP_2) | instskip(SKIP_1) | instid1(VALU_DEP_1)
	v_cmp_ne_u32_e32 vcc_lo, 0, v113
	v_lshlrev_b32_e32 v146, 3, v146
	v_or3_b32 v128, v146, v128, v150
	s_delay_alu instid0(VALU_DEP_1)
	v_cndmask_b32_e32 v113, 0, v128, vcc_lo
.LBB4_950:                              ;   in Loop: Header=BB4_142 Depth=2
	s_or_b32 exec_lo, exec_lo, s26
.LBB4_951:                              ;   in Loop: Header=BB4_142 Depth=2
	s_delay_alu instid0(SALU_CYCLE_1) | instskip(SKIP_3) | instid1(VALU_DEP_1)
	s_or_b32 exec_lo, exec_lo, s25
	v_and_b32_e32 v132, 0xff, v112
	s_mov_b32 s11, 0
	s_mov_b32 s26, exec_lo
                                        ; implicit-def: $sgpr25
	v_cmpx_lt_i16_e64 0x7f, v132
	s_xor_b32 s26, exec_lo, s26
	s_cbranch_execnz .LBB4_1381
; %bb.952:                              ;   in Loop: Header=BB4_142 Depth=2
	s_or_saveexec_b32 s26, s26
	v_mov_b32_e32 v128, s25
	s_xor_b32 exec_lo, exec_lo, s26
	s_cbranch_execnz .LBB4_1384
.LBB4_953:                              ;   in Loop: Header=BB4_142 Depth=2
	s_or_b32 exec_lo, exec_lo, s26
	s_and_saveexec_b32 s25, s11
	s_cbranch_execz .LBB4_955
.LBB4_954:                              ;   in Loop: Header=BB4_142 Depth=2
	v_and_b32_e32 v128, 7, v112
	v_bfe_u32 v150, v112, 3, 4
	s_delay_alu instid0(VALU_DEP_2) | instskip(NEXT) | instid1(VALU_DEP_2)
	v_clz_i32_u32_e32 v132, v128
	v_cmp_eq_u32_e32 vcc_lo, 0, v150
	s_delay_alu instid0(VALU_DEP_2) | instskip(NEXT) | instid1(VALU_DEP_1)
	v_min_u32_e32 v132, 32, v132
	v_subrev_nc_u32_e32 v146, 28, v132
	v_sub_nc_u32_e32 v132, 29, v132
	s_delay_alu instid0(VALU_DEP_2) | instskip(SKIP_1) | instid1(VALU_DEP_3)
	v_lshlrev_b32_e32 v146, v146, v112
	v_lshlrev_b32_e32 v112, 24, v112
	v_cndmask_b32_e32 v132, v150, v132, vcc_lo
	s_delay_alu instid0(VALU_DEP_3) | instskip(NEXT) | instid1(VALU_DEP_3)
	v_and_b32_e32 v146, 7, v146
	v_and_b32_e32 v112, 0x80000000, v112
	s_delay_alu instid0(VALU_DEP_3) | instskip(NEXT) | instid1(VALU_DEP_3)
	v_lshl_add_u32 v132, v132, 23, 0x3b800000
	v_cndmask_b32_e32 v128, v128, v146, vcc_lo
	s_delay_alu instid0(VALU_DEP_1) | instskip(NEXT) | instid1(VALU_DEP_1)
	v_lshlrev_b32_e32 v128, 20, v128
	v_or3_b32 v128, v112, v132, v128
.LBB4_955:                              ;   in Loop: Header=BB4_142 Depth=2
	s_or_b32 exec_lo, exec_lo, s25
	v_lshrrev_b32_e32 v112, 16, v12
	s_mov_b32 s11, 0
	s_mov_b32 s26, exec_lo
                                        ; implicit-def: $sgpr25
	s_delay_alu instid0(VALU_DEP_1) | instskip(NEXT) | instid1(VALU_DEP_1)
	v_and_b32_e32 v146, 0xff, v112
	v_cmpx_lt_i16_e64 0x7f, v146
	s_xor_b32 s26, exec_lo, s26
	s_cbranch_execnz .LBB4_1385
; %bb.956:                              ;   in Loop: Header=BB4_142 Depth=2
	s_or_saveexec_b32 s26, s26
	v_mov_b32_e32 v132, s25
	s_xor_b32 exec_lo, exec_lo, s26
	s_cbranch_execnz .LBB4_1388
.LBB4_957:                              ;   in Loop: Header=BB4_142 Depth=2
	s_or_b32 exec_lo, exec_lo, s26
	s_and_saveexec_b32 s25, s11
	s_cbranch_execz .LBB4_959
.LBB4_958:                              ;   in Loop: Header=BB4_142 Depth=2
	v_bfe_u32 v132, v12, 16, 3
	v_lshlrev_b32_e32 v160, 8, v12
	s_delay_alu instid0(VALU_DEP_2) | instskip(NEXT) | instid1(VALU_DEP_1)
	v_clz_i32_u32_e32 v146, v132
	v_min_u32_e32 v146, 32, v146
	s_delay_alu instid0(VALU_DEP_1) | instskip(SKIP_1) | instid1(VALU_DEP_2)
	v_subrev_nc_u32_e32 v150, 28, v146
	v_sub_nc_u32_e32 v146, 29, v146
	v_lshlrev_b32_e32 v112, v150, v112
	v_bfe_u32 v150, v12, 19, 4
	s_delay_alu instid0(VALU_DEP_2) | instskip(NEXT) | instid1(VALU_DEP_2)
	v_and_b32_e32 v112, 7, v112
	v_cmp_eq_u32_e32 vcc_lo, 0, v150
	v_cndmask_b32_e32 v146, v150, v146, vcc_lo
	s_delay_alu instid0(VALU_DEP_3) | instskip(SKIP_1) | instid1(VALU_DEP_3)
	v_cndmask_b32_e32 v112, v132, v112, vcc_lo
	v_and_b32_e32 v132, 0x80000000, v160
	v_lshl_add_u32 v146, v146, 23, 0x3b800000
	s_delay_alu instid0(VALU_DEP_3) | instskip(NEXT) | instid1(VALU_DEP_1)
	v_lshlrev_b32_e32 v112, 20, v112
	v_or3_b32 v132, v132, v146, v112
.LBB4_959:                              ;   in Loop: Header=BB4_142 Depth=2
	s_or_b32 exec_lo, exec_lo, s25
	s_delay_alu instid0(VALU_DEP_1) | instskip(NEXT) | instid1(VALU_DEP_1)
	v_add_f32_e32 v128, v128, v132
	v_and_b32_e32 v112, 0x7f800000, v128
	s_delay_alu instid0(VALU_DEP_1)
	v_cmp_ne_u32_e32 vcc_lo, 0x7f800000, v112
	v_mov_b32_e32 v112, 0x80
	s_and_saveexec_b32 s25, vcc_lo
	s_cbranch_execz .LBB4_967
; %bb.960:                              ;   in Loop: Header=BB4_142 Depth=2
	v_mov_b32_e32 v112, 0
	s_mov_b32 s26, exec_lo
	v_cmpx_ne_u32_e32 0, v128
	s_cbranch_execz .LBB4_966
; %bb.961:                              ;   in Loop: Header=BB4_142 Depth=2
	v_bfe_u32 v112, v128, 23, 8
	v_and_b32_e32 v132, 0x7fffff, v128
	s_delay_alu instid0(VALU_DEP_2) | instskip(SKIP_1) | instid1(VALU_DEP_3)
	v_sub_nc_u32_e32 v146, 0x78, v112
	v_cmp_gt_u32_e32 vcc_lo, 0x79, v112
	v_or_b32_e32 v150, 0x800000, v132
	s_delay_alu instid0(VALU_DEP_3) | instskip(SKIP_2) | instid1(VALU_DEP_3)
	v_cndmask_b32_e32 v146, 0, v146, vcc_lo
	v_cmp_eq_u32_e32 vcc_lo, 0, v112
	v_add_nc_u32_e32 v112, 0xffffff89, v112
	v_cndmask_b32_e64 v146, v146, 0x77, vcc_lo
	v_cndmask_b32_e32 v132, v150, v132, vcc_lo
	s_delay_alu instid0(VALU_DEP_3) | instskip(NEXT) | instid1(VALU_DEP_3)
	v_cndmask_b32_e64 v112, v112, 0xffffff8a, vcc_lo
	v_lshl_add_u32 v150, 0x100000, v146, -1
	s_delay_alu instid0(VALU_DEP_3) | instskip(SKIP_1) | instid1(VALU_DEP_4)
	v_lshrrev_b32_e32 v160, v146, v132
	v_lshlrev_b32_e64 v162, v146, 0x80000
	v_add_nc_u32_e32 v146, v146, v112
	s_delay_alu instid0(VALU_DEP_4) | instskip(NEXT) | instid1(VALU_DEP_4)
	v_and_b32_e32 v132, v150, v132
	v_bfe_u32 v161, v160, 20, 1
	s_delay_alu instid0(VALU_DEP_2) | instskip(NEXT) | instid1(VALU_DEP_2)
	v_cmp_eq_u32_e64 s11, v132, v162
	v_add_nc_u32_e32 v150, -1, v161
	s_delay_alu instid0(VALU_DEP_1) | instskip(SKIP_2) | instid1(VALU_DEP_2)
	v_cndmask_b32_e64 v132, 0, v150, s11
	v_lshrrev_b32_e32 v150, 23, v160
	s_mov_b32 s11, exec_lo
	v_add_nc_u32_e32 v132, v132, v160
	s_delay_alu instid0(VALU_DEP_2) | instskip(NEXT) | instid1(VALU_DEP_2)
	v_xor_b32_e32 v150, 1, v150
	v_and_b32_e32 v112, 0xfffff, v132
	s_delay_alu instid0(VALU_DEP_1) | instskip(NEXT) | instid1(VALU_DEP_3)
	v_add_nc_u32_e32 v132, v112, v160
                                        ; implicit-def: $vgpr112
	v_cmpx_ne_u32_e64 v146, v150
	s_xor_b32 s11, exec_lo, s11
; %bb.962:                              ;   in Loop: Header=BB4_142 Depth=2
	s_delay_alu instid0(VALU_DEP_2) | instskip(SKIP_2) | instid1(VALU_DEP_2)
	v_cmp_lt_u32_e32 vcc_lo, 0xffffff, v132
	v_sub_nc_u32_e32 v112, v146, v150
	v_cndmask_b32_e64 v146, 0, 1, vcc_lo
	v_add_co_ci_u32_e32 v112, vcc_lo, 0, v112, vcc_lo
	s_delay_alu instid0(VALU_DEP_2)
	v_lshrrev_b32_e32 v132, v146, v132
; %bb.963:                              ;   in Loop: Header=BB4_142 Depth=2
	s_and_not1_saveexec_b32 s11, s11
; %bb.964:                              ;   in Loop: Header=BB4_142 Depth=2
	s_delay_alu instid0(VALU_DEP_1)
	v_bfe_u32 v112, v132, 23, 1
; %bb.965:                              ;   in Loop: Header=BB4_142 Depth=2
	s_or_b32 exec_lo, exec_lo, s11
	v_lshrrev_b32_e32 v132, 20, v132
	s_delay_alu instid0(VALU_DEP_2) | instskip(SKIP_2) | instid1(VALU_DEP_4)
	v_cmp_gt_i32_e32 vcc_lo, 16, v112
	v_lshrrev_b32_e32 v128, 24, v128
	v_min_i32_e32 v146, 15, v112
	v_cndmask_b32_e32 v132, 7, v132, vcc_lo
	s_delay_alu instid0(VALU_DEP_3) | instskip(NEXT) | instid1(VALU_DEP_3)
	v_and_b32_e32 v128, 0x80, v128
	v_lshlrev_b32_e32 v146, 3, v146
	s_delay_alu instid0(VALU_DEP_3) | instskip(SKIP_1) | instid1(VALU_DEP_2)
	v_and_b32_e32 v150, 7, v132
	v_or_b32_e32 v112, v112, v132
	v_or3_b32 v128, v146, v128, v150
	s_delay_alu instid0(VALU_DEP_2) | instskip(NEXT) | instid1(VALU_DEP_2)
	v_cmp_ne_u32_e32 vcc_lo, 0, v112
	v_cndmask_b32_e32 v112, 0, v128, vcc_lo
.LBB4_966:                              ;   in Loop: Header=BB4_142 Depth=2
	s_or_b32 exec_lo, exec_lo, s26
.LBB4_967:                              ;   in Loop: Header=BB4_142 Depth=2
	s_delay_alu instid0(SALU_CYCLE_1) | instskip(SKIP_3) | instid1(VALU_DEP_1)
	s_or_b32 exec_lo, exec_lo, s25
	v_and_b32_e32 v132, 0xff, v101
	s_mov_b32 s11, 0
	s_mov_b32 s26, exec_lo
                                        ; implicit-def: $sgpr25
	v_cmpx_lt_i16_e64 0x7f, v132
	s_xor_b32 s26, exec_lo, s26
	s_cbranch_execnz .LBB4_1389
; %bb.968:                              ;   in Loop: Header=BB4_142 Depth=2
	s_or_saveexec_b32 s26, s26
	v_mov_b32_e32 v128, s25
	s_xor_b32 exec_lo, exec_lo, s26
	s_cbranch_execnz .LBB4_1392
.LBB4_969:                              ;   in Loop: Header=BB4_142 Depth=2
	s_or_b32 exec_lo, exec_lo, s26
	s_and_saveexec_b32 s25, s11
	s_cbranch_execz .LBB4_971
.LBB4_970:                              ;   in Loop: Header=BB4_142 Depth=2
	v_lshlrev_b32_e32 v101, 8, v101
	s_delay_alu instid0(VALU_DEP_1) | instskip(SKIP_1) | instid1(VALU_DEP_2)
	v_and_b32_e32 v128, 0xff00, v101
	v_bfe_u32 v101, v101, 11, 4
	v_bfe_u32 v146, v128, 8, 3
	s_delay_alu instid0(VALU_DEP_2) | instskip(NEXT) | instid1(VALU_DEP_2)
	v_cmp_eq_u32_e32 vcc_lo, 0, v101
	v_clz_i32_u32_e32 v150, v146
	s_delay_alu instid0(VALU_DEP_1) | instskip(NEXT) | instid1(VALU_DEP_1)
	v_min_u32_e32 v150, 32, v150
	v_subrev_nc_u32_e32 v160, 28, v150
	v_sub_nc_u32_e32 v150, 29, v150
	s_delay_alu instid0(VALU_DEP_1) | instskip(SKIP_1) | instid1(VALU_DEP_2)
	v_dual_cndmask_b32 v101, v101, v150 :: v_dual_lshlrev_b32 v132, v160, v132
	v_lshlrev_b32_e32 v128, 16, v128
	v_and_b32_e32 v132, 7, v132
	s_delay_alu instid0(VALU_DEP_3) | instskip(NEXT) | instid1(VALU_DEP_3)
	v_lshl_add_u32 v101, v101, 23, 0x3b800000
	v_and_b32_e32 v128, 0x80000000, v128
	s_delay_alu instid0(VALU_DEP_3) | instskip(NEXT) | instid1(VALU_DEP_1)
	v_cndmask_b32_e32 v132, v146, v132, vcc_lo
	v_lshlrev_b32_e32 v132, 20, v132
	s_delay_alu instid0(VALU_DEP_1)
	v_or3_b32 v128, v128, v101, v132
.LBB4_971:                              ;   in Loop: Header=BB4_142 Depth=2
	s_or_b32 exec_lo, exec_lo, s25
	v_lshrrev_b32_e32 v101, 24, v12
	s_mov_b32 s11, 0
	s_mov_b32 s26, exec_lo
                                        ; implicit-def: $sgpr25
	s_delay_alu instid0(VALU_DEP_1)
	v_cmpx_lt_i16_e32 0x7f, v101
	s_xor_b32 s26, exec_lo, s26
	s_cbranch_execnz .LBB4_1393
; %bb.972:                              ;   in Loop: Header=BB4_142 Depth=2
	s_or_saveexec_b32 s26, s26
	v_mov_b32_e32 v132, s25
	s_xor_b32 exec_lo, exec_lo, s26
	s_cbranch_execnz .LBB4_1396
.LBB4_973:                              ;   in Loop: Header=BB4_142 Depth=2
	s_or_b32 exec_lo, exec_lo, s26
	s_and_saveexec_b32 s25, s11
	s_cbranch_execz .LBB4_975
.LBB4_974:                              ;   in Loop: Header=BB4_142 Depth=2
	v_bfe_u32 v132, v12, 24, 3
	s_delay_alu instid0(VALU_DEP_1) | instskip(NEXT) | instid1(VALU_DEP_1)
	v_clz_i32_u32_e32 v146, v132
	v_min_u32_e32 v146, 32, v146
	s_delay_alu instid0(VALU_DEP_1) | instskip(SKIP_1) | instid1(VALU_DEP_2)
	v_subrev_nc_u32_e32 v150, 28, v146
	v_sub_nc_u32_e32 v146, 29, v146
	v_lshlrev_b32_e32 v101, v150, v101
	v_bfe_u32 v150, v12, 27, 4
	v_and_b32_e32 v12, 0x80000000, v12
	s_delay_alu instid0(VALU_DEP_2) | instskip(NEXT) | instid1(VALU_DEP_4)
	v_cmp_eq_u32_e32 vcc_lo, 0, v150
	v_dual_cndmask_b32 v146, v150, v146 :: v_dual_and_b32 v101, 7, v101
	s_delay_alu instid0(VALU_DEP_1) | instskip(NEXT) | instid1(VALU_DEP_2)
	v_cndmask_b32_e32 v101, v132, v101, vcc_lo
	v_lshl_add_u32 v132, v146, 23, 0x3b800000
	s_delay_alu instid0(VALU_DEP_2) | instskip(NEXT) | instid1(VALU_DEP_1)
	v_lshlrev_b32_e32 v101, 20, v101
	v_or3_b32 v132, v12, v132, v101
.LBB4_975:                              ;   in Loop: Header=BB4_142 Depth=2
	s_or_b32 exec_lo, exec_lo, s25
	s_delay_alu instid0(VALU_DEP_1) | instskip(NEXT) | instid1(VALU_DEP_1)
	v_add_f32_e32 v101, v128, v132
	v_and_b32_e32 v12, 0x7f800000, v101
	s_delay_alu instid0(VALU_DEP_1)
	v_cmp_ne_u32_e32 vcc_lo, 0x7f800000, v12
	v_mov_b32_e32 v12, 0x80
	s_and_saveexec_b32 s25, vcc_lo
	s_cbranch_execz .LBB4_983
; %bb.976:                              ;   in Loop: Header=BB4_142 Depth=2
	v_mov_b32_e32 v12, 0
	s_mov_b32 s26, exec_lo
	v_cmpx_ne_u32_e32 0, v101
	s_cbranch_execz .LBB4_982
; %bb.977:                              ;   in Loop: Header=BB4_142 Depth=2
	v_bfe_u32 v12, v101, 23, 8
	v_and_b32_e32 v128, 0x7fffff, v101
	s_delay_alu instid0(VALU_DEP_2) | instskip(SKIP_1) | instid1(VALU_DEP_3)
	v_sub_nc_u32_e32 v132, 0x78, v12
	v_cmp_gt_u32_e32 vcc_lo, 0x79, v12
	v_or_b32_e32 v146, 0x800000, v128
	s_delay_alu instid0(VALU_DEP_3) | instskip(SKIP_2) | instid1(VALU_DEP_3)
	v_cndmask_b32_e32 v132, 0, v132, vcc_lo
	v_cmp_eq_u32_e32 vcc_lo, 0, v12
	v_add_nc_u32_e32 v12, 0xffffff89, v12
	v_cndmask_b32_e64 v132, v132, 0x77, vcc_lo
	v_cndmask_b32_e32 v128, v146, v128, vcc_lo
	s_delay_alu instid0(VALU_DEP_3) | instskip(NEXT) | instid1(VALU_DEP_3)
	v_cndmask_b32_e64 v12, v12, 0xffffff8a, vcc_lo
	v_lshl_add_u32 v146, 0x100000, v132, -1
	s_delay_alu instid0(VALU_DEP_3) | instskip(SKIP_1) | instid1(VALU_DEP_4)
	v_lshrrev_b32_e32 v150, v132, v128
	v_lshlrev_b32_e64 v161, v132, 0x80000
	v_add_nc_u32_e32 v132, v132, v12
	s_delay_alu instid0(VALU_DEP_4) | instskip(NEXT) | instid1(VALU_DEP_4)
	v_and_b32_e32 v128, v146, v128
	v_bfe_u32 v160, v150, 20, 1
	s_delay_alu instid0(VALU_DEP_2) | instskip(NEXT) | instid1(VALU_DEP_2)
	v_cmp_eq_u32_e64 s11, v128, v161
	v_add_nc_u32_e32 v146, -1, v160
	s_delay_alu instid0(VALU_DEP_1) | instskip(SKIP_2) | instid1(VALU_DEP_2)
	v_cndmask_b32_e64 v128, 0, v146, s11
	v_lshrrev_b32_e32 v146, 23, v150
	s_mov_b32 s11, exec_lo
	v_add_nc_u32_e32 v128, v128, v150
	s_delay_alu instid0(VALU_DEP_2) | instskip(NEXT) | instid1(VALU_DEP_2)
	v_xor_b32_e32 v146, 1, v146
	v_and_b32_e32 v12, 0xfffff, v128
	s_delay_alu instid0(VALU_DEP_1) | instskip(NEXT) | instid1(VALU_DEP_3)
	v_add_nc_u32_e32 v128, v12, v150
                                        ; implicit-def: $vgpr12
	v_cmpx_ne_u32_e64 v132, v146
	s_xor_b32 s11, exec_lo, s11
; %bb.978:                              ;   in Loop: Header=BB4_142 Depth=2
	s_delay_alu instid0(VALU_DEP_2) | instskip(SKIP_2) | instid1(VALU_DEP_2)
	v_cmp_lt_u32_e32 vcc_lo, 0xffffff, v128
	v_sub_nc_u32_e32 v12, v132, v146
	v_cndmask_b32_e64 v132, 0, 1, vcc_lo
	v_add_co_ci_u32_e32 v12, vcc_lo, 0, v12, vcc_lo
	s_delay_alu instid0(VALU_DEP_2)
	v_lshrrev_b32_e32 v128, v132, v128
; %bb.979:                              ;   in Loop: Header=BB4_142 Depth=2
	s_and_not1_saveexec_b32 s11, s11
; %bb.980:                              ;   in Loop: Header=BB4_142 Depth=2
	s_delay_alu instid0(VALU_DEP_1)
	v_bfe_u32 v12, v128, 23, 1
; %bb.981:                              ;   in Loop: Header=BB4_142 Depth=2
	s_or_b32 exec_lo, exec_lo, s11
	v_lshrrev_b32_e32 v128, 20, v128
	s_delay_alu instid0(VALU_DEP_2) | instskip(SKIP_2) | instid1(VALU_DEP_2)
	v_cmp_gt_i32_e32 vcc_lo, 16, v12
	v_lshrrev_b32_e32 v101, 24, v101
	v_min_i32_e32 v132, 15, v12
	v_dual_cndmask_b32 v128, 7, v128 :: v_dual_and_b32 v101, 0x80, v101
	s_delay_alu instid0(VALU_DEP_2) | instskip(NEXT) | instid1(VALU_DEP_2)
	v_lshlrev_b32_e32 v132, 3, v132
	v_and_b32_e32 v146, 7, v128
	v_or_b32_e32 v12, v12, v128
	s_delay_alu instid0(VALU_DEP_2) | instskip(NEXT) | instid1(VALU_DEP_2)
	v_or3_b32 v101, v132, v101, v146
	v_cmp_ne_u32_e32 vcc_lo, 0, v12
	s_delay_alu instid0(VALU_DEP_2)
	v_cndmask_b32_e32 v12, 0, v101, vcc_lo
.LBB4_982:                              ;   in Loop: Header=BB4_142 Depth=2
	s_or_b32 exec_lo, exec_lo, s26
.LBB4_983:                              ;   in Loop: Header=BB4_142 Depth=2
	s_delay_alu instid0(SALU_CYCLE_1) | instskip(SKIP_3) | instid1(VALU_DEP_1)
	s_or_b32 exec_lo, exec_lo, s25
	v_or_b32_e32 v114, v114, v100
	s_mov_b32 s11, 0
	s_mov_b32 s26, exec_lo
                                        ; implicit-def: $sgpr25
	v_and_b32_e32 v101, 0xff, v114
	s_delay_alu instid0(VALU_DEP_1)
	v_cmpx_lt_i16_e32 0x7f, v101
	s_xor_b32 s26, exec_lo, s26
	s_cbranch_execnz .LBB4_1397
; %bb.984:                              ;   in Loop: Header=BB4_142 Depth=2
	s_or_saveexec_b32 s26, s26
	v_mov_b32_e32 v100, s25
	s_xor_b32 exec_lo, exec_lo, s26
	s_cbranch_execnz .LBB4_1400
.LBB4_985:                              ;   in Loop: Header=BB4_142 Depth=2
	s_or_b32 exec_lo, exec_lo, s26
	s_and_saveexec_b32 s25, s11
	s_cbranch_execz .LBB4_987
.LBB4_986:                              ;   in Loop: Header=BB4_142 Depth=2
	v_bfe_u32 v132, v114, 3, 4
	v_lshlrev_b32_e32 v146, 24, v114
	s_delay_alu instid0(VALU_DEP_2) | instskip(SKIP_1) | instid1(VALU_DEP_1)
	v_cmp_eq_u32_e32 vcc_lo, 0, v132
	v_and_b32_e32 v100, 7, v114
	v_clz_i32_u32_e32 v101, v100
	s_delay_alu instid0(VALU_DEP_1) | instskip(NEXT) | instid1(VALU_DEP_1)
	v_min_u32_e32 v101, 32, v101
	v_subrev_nc_u32_e32 v128, 28, v101
	v_sub_nc_u32_e32 v101, 29, v101
	s_delay_alu instid0(VALU_DEP_2) | instskip(NEXT) | instid1(VALU_DEP_1)
	v_lshlrev_b32_e32 v128, v128, v114
	v_dual_cndmask_b32 v101, v132, v101 :: v_dual_and_b32 v128, 7, v128
	s_delay_alu instid0(VALU_DEP_1) | instskip(NEXT) | instid1(VALU_DEP_2)
	v_lshl_add_u32 v101, v101, 23, 0x3b800000
	v_cndmask_b32_e32 v100, v100, v128, vcc_lo
	v_and_b32_e32 v128, 0x80000000, v146
	s_delay_alu instid0(VALU_DEP_2) | instskip(NEXT) | instid1(VALU_DEP_1)
	v_lshlrev_b32_e32 v100, 20, v100
	v_or3_b32 v100, v128, v101, v100
.LBB4_987:                              ;   in Loop: Header=BB4_142 Depth=2
	s_or_b32 exec_lo, exec_lo, s25
	v_and_b32_e32 v128, 0xff, v13
	s_mov_b32 s11, 0
	s_mov_b32 s26, exec_lo
                                        ; implicit-def: $sgpr25
	s_delay_alu instid0(VALU_DEP_1)
	v_cmpx_lt_i16_e64 0x7f, v128
	s_xor_b32 s26, exec_lo, s26
	s_cbranch_execnz .LBB4_1401
; %bb.988:                              ;   in Loop: Header=BB4_142 Depth=2
	s_or_saveexec_b32 s26, s26
	v_mov_b32_e32 v101, s25
	s_xor_b32 exec_lo, exec_lo, s26
	s_cbranch_execnz .LBB4_1404
.LBB4_989:                              ;   in Loop: Header=BB4_142 Depth=2
	s_or_b32 exec_lo, exec_lo, s26
	s_and_saveexec_b32 s25, s11
	s_cbranch_execz .LBB4_991
.LBB4_990:                              ;   in Loop: Header=BB4_142 Depth=2
	v_bfe_u32 v146, v13, 3, 4
	s_delay_alu instid0(VALU_DEP_1) | instskip(SKIP_1) | instid1(VALU_DEP_1)
	v_cmp_eq_u32_e32 vcc_lo, 0, v146
	v_and_b32_e32 v101, 7, v13
	v_clz_i32_u32_e32 v128, v101
	s_delay_alu instid0(VALU_DEP_1) | instskip(NEXT) | instid1(VALU_DEP_1)
	v_min_u32_e32 v128, 32, v128
	v_subrev_nc_u32_e32 v132, 28, v128
	v_sub_nc_u32_e32 v128, 29, v128
	s_delay_alu instid0(VALU_DEP_2) | instskip(NEXT) | instid1(VALU_DEP_2)
	v_lshlrev_b32_e32 v132, v132, v13
	v_cndmask_b32_e32 v128, v146, v128, vcc_lo
	s_delay_alu instid0(VALU_DEP_2) | instskip(SKIP_1) | instid1(VALU_DEP_3)
	v_and_b32_e32 v132, 7, v132
	v_lshlrev_b32_e32 v150, 24, v13
	v_lshl_add_u32 v128, v128, 23, 0x3b800000
	s_delay_alu instid0(VALU_DEP_2) | instskip(NEXT) | instid1(VALU_DEP_1)
	v_dual_cndmask_b32 v101, v101, v132 :: v_dual_and_b32 v132, 0x80000000, v150
	v_lshlrev_b32_e32 v101, 20, v101
	s_delay_alu instid0(VALU_DEP_1)
	v_or3_b32 v101, v132, v128, v101
.LBB4_991:                              ;   in Loop: Header=BB4_142 Depth=2
	s_or_b32 exec_lo, exec_lo, s25
	s_delay_alu instid0(VALU_DEP_1) | instskip(NEXT) | instid1(VALU_DEP_1)
	v_add_f32_e32 v101, v100, v101
	v_and_b32_e32 v100, 0x7f800000, v101
	s_delay_alu instid0(VALU_DEP_1)
	v_cmp_ne_u32_e32 vcc_lo, 0x7f800000, v100
	v_mov_b32_e32 v100, 0x80
	s_and_saveexec_b32 s25, vcc_lo
	s_cbranch_execz .LBB4_999
; %bb.992:                              ;   in Loop: Header=BB4_142 Depth=2
	v_mov_b32_e32 v100, 0
	s_mov_b32 s26, exec_lo
	v_cmpx_ne_u32_e32 0, v101
	s_cbranch_execz .LBB4_998
; %bb.993:                              ;   in Loop: Header=BB4_142 Depth=2
	v_bfe_u32 v100, v101, 23, 8
	v_and_b32_e32 v128, 0x7fffff, v101
	s_delay_alu instid0(VALU_DEP_2) | instskip(SKIP_1) | instid1(VALU_DEP_3)
	v_sub_nc_u32_e32 v132, 0x78, v100
	v_cmp_gt_u32_e32 vcc_lo, 0x79, v100
	v_or_b32_e32 v146, 0x800000, v128
	s_delay_alu instid0(VALU_DEP_3) | instskip(SKIP_2) | instid1(VALU_DEP_3)
	v_cndmask_b32_e32 v132, 0, v132, vcc_lo
	v_cmp_eq_u32_e32 vcc_lo, 0, v100
	v_add_nc_u32_e32 v100, 0xffffff89, v100
	v_cndmask_b32_e64 v132, v132, 0x77, vcc_lo
	v_cndmask_b32_e32 v128, v146, v128, vcc_lo
	s_delay_alu instid0(VALU_DEP_3) | instskip(NEXT) | instid1(VALU_DEP_3)
	v_cndmask_b32_e64 v100, v100, 0xffffff8a, vcc_lo
	v_lshl_add_u32 v146, 0x100000, v132, -1
	s_delay_alu instid0(VALU_DEP_3) | instskip(SKIP_1) | instid1(VALU_DEP_4)
	v_lshrrev_b32_e32 v150, v132, v128
	v_lshlrev_b32_e64 v161, v132, 0x80000
	v_add_nc_u32_e32 v132, v132, v100
	s_delay_alu instid0(VALU_DEP_4) | instskip(NEXT) | instid1(VALU_DEP_4)
	v_and_b32_e32 v128, v146, v128
	v_bfe_u32 v160, v150, 20, 1
	s_delay_alu instid0(VALU_DEP_2) | instskip(NEXT) | instid1(VALU_DEP_2)
	v_cmp_eq_u32_e64 s11, v128, v161
	v_add_nc_u32_e32 v146, -1, v160
	s_delay_alu instid0(VALU_DEP_1) | instskip(SKIP_2) | instid1(VALU_DEP_2)
	v_cndmask_b32_e64 v128, 0, v146, s11
	v_lshrrev_b32_e32 v146, 23, v150
	s_mov_b32 s11, exec_lo
	v_add_nc_u32_e32 v128, v128, v150
	s_delay_alu instid0(VALU_DEP_2) | instskip(NEXT) | instid1(VALU_DEP_2)
	v_xor_b32_e32 v146, 1, v146
	v_and_b32_e32 v100, 0xfffff, v128
	s_delay_alu instid0(VALU_DEP_1) | instskip(NEXT) | instid1(VALU_DEP_3)
	v_add_nc_u32_e32 v128, v100, v150
                                        ; implicit-def: $vgpr100
	v_cmpx_ne_u32_e64 v132, v146
	s_xor_b32 s11, exec_lo, s11
; %bb.994:                              ;   in Loop: Header=BB4_142 Depth=2
	s_delay_alu instid0(VALU_DEP_2) | instskip(SKIP_2) | instid1(VALU_DEP_2)
	v_cmp_lt_u32_e32 vcc_lo, 0xffffff, v128
	v_sub_nc_u32_e32 v100, v132, v146
	v_cndmask_b32_e64 v132, 0, 1, vcc_lo
	v_add_co_ci_u32_e32 v100, vcc_lo, 0, v100, vcc_lo
	s_delay_alu instid0(VALU_DEP_2)
	v_lshrrev_b32_e32 v128, v132, v128
; %bb.995:                              ;   in Loop: Header=BB4_142 Depth=2
	s_and_not1_saveexec_b32 s11, s11
; %bb.996:                              ;   in Loop: Header=BB4_142 Depth=2
	s_delay_alu instid0(VALU_DEP_1)
	v_bfe_u32 v100, v128, 23, 1
; %bb.997:                              ;   in Loop: Header=BB4_142 Depth=2
	s_or_b32 exec_lo, exec_lo, s11
	v_lshrrev_b32_e32 v128, 20, v128
	s_delay_alu instid0(VALU_DEP_2) | instskip(SKIP_2) | instid1(VALU_DEP_2)
	v_cmp_gt_i32_e32 vcc_lo, 16, v100
	v_lshrrev_b32_e32 v101, 24, v101
	v_min_i32_e32 v132, 15, v100
	v_dual_cndmask_b32 v128, 7, v128 :: v_dual_and_b32 v101, 0x80, v101
	s_delay_alu instid0(VALU_DEP_2) | instskip(NEXT) | instid1(VALU_DEP_2)
	v_lshlrev_b32_e32 v132, 3, v132
	v_and_b32_e32 v146, 7, v128
	v_or_b32_e32 v100, v100, v128
	s_delay_alu instid0(VALU_DEP_2) | instskip(NEXT) | instid1(VALU_DEP_2)
	v_or3_b32 v101, v132, v101, v146
	v_cmp_ne_u32_e32 vcc_lo, 0, v100
	s_delay_alu instid0(VALU_DEP_2)
	v_cndmask_b32_e32 v100, 0, v101, vcc_lo
.LBB4_998:                              ;   in Loop: Header=BB4_142 Depth=2
	s_or_b32 exec_lo, exec_lo, s26
.LBB4_999:                              ;   in Loop: Header=BB4_142 Depth=2
	s_delay_alu instid0(SALU_CYCLE_1) | instskip(SKIP_3) | instid1(VALU_DEP_1)
	s_or_b32 exec_lo, exec_lo, s25
	v_lshrrev_b16 v128, 8, v114
	s_mov_b32 s11, 0
	s_mov_b32 s26, exec_lo
                                        ; implicit-def: $sgpr25
	v_cmpx_lt_i16_e64 0x7f, v128
	s_xor_b32 s26, exec_lo, s26
	s_cbranch_execnz .LBB4_1405
; %bb.1000:                             ;   in Loop: Header=BB4_142 Depth=2
	s_or_saveexec_b32 s26, s26
	v_mov_b32_e32 v101, s25
	s_xor_b32 exec_lo, exec_lo, s26
	s_cbranch_execnz .LBB4_1408
.LBB4_1001:                             ;   in Loop: Header=BB4_142 Depth=2
	s_or_b32 exec_lo, exec_lo, s26
	s_and_saveexec_b32 s25, s11
	s_cbranch_execz .LBB4_1003
.LBB4_1002:                             ;   in Loop: Header=BB4_142 Depth=2
	v_and_b32_e32 v101, 0xffff, v128
	v_lshlrev_b32_e32 v128, 24, v128
	s_delay_alu instid0(VALU_DEP_2) | instskip(NEXT) | instid1(VALU_DEP_2)
	v_and_b32_e32 v132, 7, v101
	v_and_b32_e32 v128, 0x80000000, v128
	s_delay_alu instid0(VALU_DEP_2) | instskip(NEXT) | instid1(VALU_DEP_1)
	v_clz_i32_u32_e32 v146, v132
	v_min_u32_e32 v146, 32, v146
	s_delay_alu instid0(VALU_DEP_1) | instskip(SKIP_1) | instid1(VALU_DEP_2)
	v_subrev_nc_u32_e32 v150, 28, v146
	v_sub_nc_u32_e32 v146, 29, v146
	v_lshlrev_b32_e32 v150, v150, v101
	v_bfe_u32 v101, v101, 3, 4
	s_delay_alu instid0(VALU_DEP_2) | instskip(NEXT) | instid1(VALU_DEP_2)
	v_and_b32_e32 v150, 7, v150
	v_cmp_eq_u32_e32 vcc_lo, 0, v101
	v_cndmask_b32_e32 v101, v101, v146, vcc_lo
	s_delay_alu instid0(VALU_DEP_3) | instskip(NEXT) | instid1(VALU_DEP_2)
	v_cndmask_b32_e32 v132, v132, v150, vcc_lo
	v_lshl_add_u32 v101, v101, 23, 0x3b800000
	s_delay_alu instid0(VALU_DEP_2) | instskip(NEXT) | instid1(VALU_DEP_1)
	v_lshlrev_b32_e32 v132, 20, v132
	v_or3_b32 v101, v128, v101, v132
.LBB4_1003:                             ;   in Loop: Header=BB4_142 Depth=2
	s_or_b32 exec_lo, exec_lo, s25
	v_lshrrev_b16 v128, 8, v13
	s_mov_b32 s11, 0
	s_mov_b32 s26, exec_lo
                                        ; implicit-def: $sgpr25
	s_delay_alu instid0(VALU_DEP_1)
	v_cmpx_lt_i16_e64 0x7f, v128
	s_xor_b32 s26, exec_lo, s26
	s_cbranch_execnz .LBB4_1409
; %bb.1004:                             ;   in Loop: Header=BB4_142 Depth=2
	s_or_saveexec_b32 s26, s26
	v_mov_b32_e32 v132, s25
	s_xor_b32 exec_lo, exec_lo, s26
	s_cbranch_execnz .LBB4_1412
.LBB4_1005:                             ;   in Loop: Header=BB4_142 Depth=2
	s_or_b32 exec_lo, exec_lo, s26
	s_and_saveexec_b32 s25, s11
	s_cbranch_execz .LBB4_1007
.LBB4_1006:                             ;   in Loop: Header=BB4_142 Depth=2
	v_and_b32_e32 v132, 0xffff, v128
	v_lshlrev_b32_e32 v128, 24, v128
	s_delay_alu instid0(VALU_DEP_2) | instskip(NEXT) | instid1(VALU_DEP_2)
	v_and_b32_e32 v146, 7, v132
	v_and_b32_e32 v128, 0x80000000, v128
	s_delay_alu instid0(VALU_DEP_2) | instskip(NEXT) | instid1(VALU_DEP_1)
	v_clz_i32_u32_e32 v150, v146
	v_min_u32_e32 v150, 32, v150
	s_delay_alu instid0(VALU_DEP_1) | instskip(SKIP_1) | instid1(VALU_DEP_2)
	v_subrev_nc_u32_e32 v160, 28, v150
	v_sub_nc_u32_e32 v150, 29, v150
	v_lshlrev_b32_e32 v160, v160, v132
	v_bfe_u32 v132, v132, 3, 4
	s_delay_alu instid0(VALU_DEP_2) | instskip(NEXT) | instid1(VALU_DEP_2)
	v_and_b32_e32 v160, 7, v160
	v_cmp_eq_u32_e32 vcc_lo, 0, v132
	v_cndmask_b32_e32 v132, v132, v150, vcc_lo
	s_delay_alu instid0(VALU_DEP_3) | instskip(NEXT) | instid1(VALU_DEP_2)
	v_cndmask_b32_e32 v146, v146, v160, vcc_lo
	v_lshl_add_u32 v132, v132, 23, 0x3b800000
	s_delay_alu instid0(VALU_DEP_2) | instskip(NEXT) | instid1(VALU_DEP_1)
	v_lshlrev_b32_e32 v146, 20, v146
	v_or3_b32 v132, v128, v132, v146
.LBB4_1007:                             ;   in Loop: Header=BB4_142 Depth=2
	s_or_b32 exec_lo, exec_lo, s25
	s_delay_alu instid0(VALU_DEP_1) | instskip(NEXT) | instid1(VALU_DEP_1)
	v_add_f32_e32 v128, v101, v132
	v_and_b32_e32 v101, 0x7f800000, v128
	s_delay_alu instid0(VALU_DEP_1)
	v_cmp_ne_u32_e32 vcc_lo, 0x7f800000, v101
	v_mov_b32_e32 v101, 0x8000
	s_and_saveexec_b32 s25, vcc_lo
	s_cbranch_execz .LBB4_1015
; %bb.1008:                             ;   in Loop: Header=BB4_142 Depth=2
	v_mov_b32_e32 v101, 0
	s_mov_b32 s26, exec_lo
	v_cmpx_ne_u32_e32 0, v128
	s_cbranch_execz .LBB4_1014
; %bb.1009:                             ;   in Loop: Header=BB4_142 Depth=2
	v_bfe_u32 v101, v128, 23, 8
	v_and_b32_e32 v132, 0x7fffff, v128
	s_delay_alu instid0(VALU_DEP_2) | instskip(SKIP_1) | instid1(VALU_DEP_3)
	v_sub_nc_u32_e32 v146, 0x78, v101
	v_cmp_gt_u32_e32 vcc_lo, 0x79, v101
	v_or_b32_e32 v150, 0x800000, v132
	s_delay_alu instid0(VALU_DEP_3) | instskip(SKIP_2) | instid1(VALU_DEP_3)
	v_cndmask_b32_e32 v146, 0, v146, vcc_lo
	v_cmp_eq_u32_e32 vcc_lo, 0, v101
	v_add_nc_u32_e32 v101, 0xffffff89, v101
	v_cndmask_b32_e64 v146, v146, 0x77, vcc_lo
	v_cndmask_b32_e32 v132, v150, v132, vcc_lo
	s_delay_alu instid0(VALU_DEP_3) | instskip(NEXT) | instid1(VALU_DEP_3)
	v_cndmask_b32_e64 v101, v101, 0xffffff8a, vcc_lo
	v_lshl_add_u32 v150, 0x100000, v146, -1
	s_delay_alu instid0(VALU_DEP_3) | instskip(SKIP_1) | instid1(VALU_DEP_4)
	v_lshrrev_b32_e32 v160, v146, v132
	v_lshlrev_b32_e64 v162, v146, 0x80000
	v_add_nc_u32_e32 v146, v146, v101
	s_delay_alu instid0(VALU_DEP_4) | instskip(NEXT) | instid1(VALU_DEP_4)
	v_and_b32_e32 v132, v150, v132
	v_bfe_u32 v161, v160, 20, 1
	s_delay_alu instid0(VALU_DEP_2) | instskip(NEXT) | instid1(VALU_DEP_2)
	v_cmp_eq_u32_e64 s11, v132, v162
	v_add_nc_u32_e32 v150, -1, v161
	s_delay_alu instid0(VALU_DEP_1) | instskip(SKIP_2) | instid1(VALU_DEP_2)
	v_cndmask_b32_e64 v132, 0, v150, s11
	v_lshrrev_b32_e32 v150, 23, v160
	s_mov_b32 s11, exec_lo
	v_add_nc_u32_e32 v132, v132, v160
	s_delay_alu instid0(VALU_DEP_2) | instskip(NEXT) | instid1(VALU_DEP_2)
	v_xor_b32_e32 v150, 1, v150
	v_and_b32_e32 v101, 0xfffff, v132
	s_delay_alu instid0(VALU_DEP_1) | instskip(NEXT) | instid1(VALU_DEP_3)
	v_add_nc_u32_e32 v132, v101, v160
                                        ; implicit-def: $vgpr101
	v_cmpx_ne_u32_e64 v146, v150
	s_xor_b32 s11, exec_lo, s11
; %bb.1010:                             ;   in Loop: Header=BB4_142 Depth=2
	s_delay_alu instid0(VALU_DEP_2) | instskip(SKIP_2) | instid1(VALU_DEP_2)
	v_cmp_lt_u32_e32 vcc_lo, 0xffffff, v132
	v_sub_nc_u32_e32 v101, v146, v150
	v_cndmask_b32_e64 v146, 0, 1, vcc_lo
	v_add_co_ci_u32_e32 v101, vcc_lo, 0, v101, vcc_lo
	s_delay_alu instid0(VALU_DEP_2)
	v_lshrrev_b32_e32 v132, v146, v132
; %bb.1011:                             ;   in Loop: Header=BB4_142 Depth=2
	s_and_not1_saveexec_b32 s11, s11
; %bb.1012:                             ;   in Loop: Header=BB4_142 Depth=2
	s_delay_alu instid0(VALU_DEP_1)
	v_bfe_u32 v101, v132, 23, 1
; %bb.1013:                             ;   in Loop: Header=BB4_142 Depth=2
	s_or_b32 exec_lo, exec_lo, s11
	v_lshrrev_b32_e32 v132, 20, v132
	s_delay_alu instid0(VALU_DEP_2) | instskip(SKIP_2) | instid1(VALU_DEP_4)
	v_cmp_gt_i32_e32 vcc_lo, 16, v101
	v_min_i32_e32 v146, 15, v101
	v_lshrrev_b32_e32 v128, 24, v128
	v_cndmask_b32_e32 v132, 7, v132, vcc_lo
	s_delay_alu instid0(VALU_DEP_2) | instskip(NEXT) | instid1(VALU_DEP_2)
	v_and_b32_e32 v128, 0x80, v128
	v_or_b32_e32 v101, v101, v132
	v_and_b32_e32 v150, 7, v132
	s_delay_alu instid0(VALU_DEP_2) | instskip(SKIP_1) | instid1(VALU_DEP_1)
	v_cmp_ne_u32_e32 vcc_lo, 0, v101
	v_lshlrev_b32_e32 v146, 3, v146
	v_and_b32_e32 v146, 0xf8, v146
	s_delay_alu instid0(VALU_DEP_1) | instskip(NEXT) | instid1(VALU_DEP_1)
	v_or3_b32 v128, v128, v146, v150
	v_lshlrev_b32_e32 v128, 8, v128
	s_delay_alu instid0(VALU_DEP_1)
	v_cndmask_b32_e32 v101, 0, v128, vcc_lo
.LBB4_1014:                             ;   in Loop: Header=BB4_142 Depth=2
	s_or_b32 exec_lo, exec_lo, s26
.LBB4_1015:                             ;   in Loop: Header=BB4_142 Depth=2
	s_delay_alu instid0(SALU_CYCLE_1) | instskip(SKIP_3) | instid1(VALU_DEP_1)
	s_or_b32 exec_lo, exec_lo, s25
	v_or_b32_e32 v103, v103, v99
	s_mov_b32 s11, 0
	s_mov_b32 s26, exec_lo
                                        ; implicit-def: $sgpr25
	v_and_b32_e32 v128, 0xff, v103
	s_delay_alu instid0(VALU_DEP_1)
	v_cmpx_lt_i16_e64 0x7f, v128
	s_xor_b32 s26, exec_lo, s26
	s_cbranch_execnz .LBB4_1413
; %bb.1016:                             ;   in Loop: Header=BB4_142 Depth=2
	s_or_saveexec_b32 s26, s26
	v_mov_b32_e32 v99, s25
	s_xor_b32 exec_lo, exec_lo, s26
	s_cbranch_execnz .LBB4_1416
.LBB4_1017:                             ;   in Loop: Header=BB4_142 Depth=2
	s_or_b32 exec_lo, exec_lo, s26
	v_lshl_or_b32 v103, v103, 16, v114
	s_and_saveexec_b32 s25, s11
	s_cbranch_execz .LBB4_1019
.LBB4_1018:                             ;   in Loop: Header=BB4_142 Depth=2
	s_delay_alu instid0(VALU_DEP_1) | instskip(SKIP_1) | instid1(VALU_DEP_2)
	v_bfe_u32 v99, v103, 16, 3
	v_lshrrev_b32_e32 v128, 16, v103
	v_clz_i32_u32_e32 v114, v99
	s_delay_alu instid0(VALU_DEP_1) | instskip(NEXT) | instid1(VALU_DEP_1)
	v_min_u32_e32 v114, 32, v114
	v_subrev_nc_u32_e32 v132, 28, v114
	v_sub_nc_u32_e32 v114, 29, v114
	s_delay_alu instid0(VALU_DEP_2) | instskip(SKIP_1) | instid1(VALU_DEP_2)
	v_lshlrev_b32_e32 v128, v132, v128
	v_bfe_u32 v132, v103, 19, 4
	v_and_b32_e32 v128, 7, v128
	s_delay_alu instid0(VALU_DEP_2) | instskip(NEXT) | instid1(VALU_DEP_2)
	v_cmp_eq_u32_e32 vcc_lo, 0, v132
	v_dual_cndmask_b32 v99, v99, v128 :: v_dual_lshlrev_b32 v146, 8, v103
	v_cndmask_b32_e32 v114, v132, v114, vcc_lo
	s_delay_alu instid0(VALU_DEP_2) | instskip(NEXT) | instid1(VALU_DEP_3)
	v_and_b32_e32 v128, 0x80000000, v146
	v_lshlrev_b32_e32 v99, 20, v99
	s_delay_alu instid0(VALU_DEP_3) | instskip(NEXT) | instid1(VALU_DEP_1)
	v_lshl_add_u32 v114, v114, 23, 0x3b800000
	v_or3_b32 v99, v128, v114, v99
.LBB4_1019:                             ;   in Loop: Header=BB4_142 Depth=2
	s_or_b32 exec_lo, exec_lo, s25
	v_lshrrev_b32_e32 v114, 16, v13
	s_mov_b32 s11, 0
	s_mov_b32 s26, exec_lo
                                        ; implicit-def: $sgpr25
	s_delay_alu instid0(VALU_DEP_1) | instskip(NEXT) | instid1(VALU_DEP_1)
	v_and_b32_e32 v132, 0xff, v114
	v_cmpx_lt_i16_e64 0x7f, v132
	s_xor_b32 s26, exec_lo, s26
	s_cbranch_execnz .LBB4_1417
; %bb.1020:                             ;   in Loop: Header=BB4_142 Depth=2
	s_or_saveexec_b32 s26, s26
	v_mov_b32_e32 v128, s25
	s_xor_b32 exec_lo, exec_lo, s26
	s_cbranch_execnz .LBB4_1420
.LBB4_1021:                             ;   in Loop: Header=BB4_142 Depth=2
	s_or_b32 exec_lo, exec_lo, s26
	s_and_saveexec_b32 s25, s11
	s_cbranch_execz .LBB4_1023
.LBB4_1022:                             ;   in Loop: Header=BB4_142 Depth=2
	v_bfe_u32 v128, v13, 16, 3
	v_lshlrev_b32_e32 v150, 8, v13
	s_delay_alu instid0(VALU_DEP_2) | instskip(NEXT) | instid1(VALU_DEP_1)
	v_clz_i32_u32_e32 v132, v128
	v_min_u32_e32 v132, 32, v132
	s_delay_alu instid0(VALU_DEP_1) | instskip(SKIP_1) | instid1(VALU_DEP_2)
	v_subrev_nc_u32_e32 v146, 28, v132
	v_sub_nc_u32_e32 v132, 29, v132
	v_lshlrev_b32_e32 v114, v146, v114
	v_bfe_u32 v146, v13, 19, 4
	s_delay_alu instid0(VALU_DEP_2) | instskip(NEXT) | instid1(VALU_DEP_2)
	v_and_b32_e32 v114, 7, v114
	v_cmp_eq_u32_e32 vcc_lo, 0, v146
	v_cndmask_b32_e32 v132, v146, v132, vcc_lo
	s_delay_alu instid0(VALU_DEP_3) | instskip(SKIP_1) | instid1(VALU_DEP_3)
	v_cndmask_b32_e32 v114, v128, v114, vcc_lo
	v_and_b32_e32 v128, 0x80000000, v150
	v_lshl_add_u32 v132, v132, 23, 0x3b800000
	s_delay_alu instid0(VALU_DEP_3) | instskip(NEXT) | instid1(VALU_DEP_1)
	v_lshlrev_b32_e32 v114, 20, v114
	v_or3_b32 v128, v128, v132, v114
.LBB4_1023:                             ;   in Loop: Header=BB4_142 Depth=2
	s_or_b32 exec_lo, exec_lo, s25
	s_delay_alu instid0(VALU_DEP_1) | instskip(NEXT) | instid1(VALU_DEP_1)
	v_add_f32_e32 v114, v99, v128
	v_and_b32_e32 v99, 0x7f800000, v114
	s_delay_alu instid0(VALU_DEP_1)
	v_cmp_ne_u32_e32 vcc_lo, 0x7f800000, v99
	v_mov_b32_e32 v99, 0x80
	s_and_saveexec_b32 s25, vcc_lo
	s_cbranch_execz .LBB4_1031
; %bb.1024:                             ;   in Loop: Header=BB4_142 Depth=2
	v_mov_b32_e32 v99, 0
	s_mov_b32 s26, exec_lo
	v_cmpx_ne_u32_e32 0, v114
	s_cbranch_execz .LBB4_1030
; %bb.1025:                             ;   in Loop: Header=BB4_142 Depth=2
	v_bfe_u32 v99, v114, 23, 8
	v_and_b32_e32 v128, 0x7fffff, v114
	s_delay_alu instid0(VALU_DEP_2) | instskip(SKIP_1) | instid1(VALU_DEP_3)
	v_sub_nc_u32_e32 v132, 0x78, v99
	v_cmp_gt_u32_e32 vcc_lo, 0x79, v99
	v_or_b32_e32 v146, 0x800000, v128
	s_delay_alu instid0(VALU_DEP_3) | instskip(SKIP_2) | instid1(VALU_DEP_3)
	v_cndmask_b32_e32 v132, 0, v132, vcc_lo
	v_cmp_eq_u32_e32 vcc_lo, 0, v99
	v_add_nc_u32_e32 v99, 0xffffff89, v99
	v_cndmask_b32_e64 v132, v132, 0x77, vcc_lo
	v_cndmask_b32_e32 v128, v146, v128, vcc_lo
	s_delay_alu instid0(VALU_DEP_3) | instskip(NEXT) | instid1(VALU_DEP_3)
	v_cndmask_b32_e64 v99, v99, 0xffffff8a, vcc_lo
	v_lshl_add_u32 v146, 0x100000, v132, -1
	s_delay_alu instid0(VALU_DEP_3) | instskip(SKIP_1) | instid1(VALU_DEP_4)
	v_lshrrev_b32_e32 v150, v132, v128
	v_lshlrev_b32_e64 v161, v132, 0x80000
	v_add_nc_u32_e32 v132, v132, v99
	s_delay_alu instid0(VALU_DEP_4) | instskip(NEXT) | instid1(VALU_DEP_4)
	v_and_b32_e32 v128, v146, v128
	v_bfe_u32 v160, v150, 20, 1
	s_delay_alu instid0(VALU_DEP_2) | instskip(NEXT) | instid1(VALU_DEP_2)
	v_cmp_eq_u32_e64 s11, v128, v161
	v_add_nc_u32_e32 v146, -1, v160
	s_delay_alu instid0(VALU_DEP_1) | instskip(SKIP_2) | instid1(VALU_DEP_2)
	v_cndmask_b32_e64 v128, 0, v146, s11
	v_lshrrev_b32_e32 v146, 23, v150
	s_mov_b32 s11, exec_lo
	v_add_nc_u32_e32 v128, v128, v150
	s_delay_alu instid0(VALU_DEP_2) | instskip(NEXT) | instid1(VALU_DEP_2)
	v_xor_b32_e32 v146, 1, v146
	v_and_b32_e32 v99, 0xfffff, v128
	s_delay_alu instid0(VALU_DEP_1) | instskip(NEXT) | instid1(VALU_DEP_3)
	v_add_nc_u32_e32 v128, v99, v150
                                        ; implicit-def: $vgpr99
	v_cmpx_ne_u32_e64 v132, v146
	s_xor_b32 s11, exec_lo, s11
; %bb.1026:                             ;   in Loop: Header=BB4_142 Depth=2
	s_delay_alu instid0(VALU_DEP_2) | instskip(SKIP_2) | instid1(VALU_DEP_2)
	v_cmp_lt_u32_e32 vcc_lo, 0xffffff, v128
	v_sub_nc_u32_e32 v99, v132, v146
	v_cndmask_b32_e64 v132, 0, 1, vcc_lo
	v_add_co_ci_u32_e32 v99, vcc_lo, 0, v99, vcc_lo
	s_delay_alu instid0(VALU_DEP_2)
	v_lshrrev_b32_e32 v128, v132, v128
; %bb.1027:                             ;   in Loop: Header=BB4_142 Depth=2
	s_and_not1_saveexec_b32 s11, s11
; %bb.1028:                             ;   in Loop: Header=BB4_142 Depth=2
	s_delay_alu instid0(VALU_DEP_1)
	v_bfe_u32 v99, v128, 23, 1
; %bb.1029:                             ;   in Loop: Header=BB4_142 Depth=2
	s_or_b32 exec_lo, exec_lo, s11
	v_lshrrev_b32_e32 v128, 20, v128
	s_delay_alu instid0(VALU_DEP_2) | instskip(SKIP_2) | instid1(VALU_DEP_3)
	v_min_i32_e32 v132, 15, v99
	v_cmp_gt_i32_e32 vcc_lo, 16, v99
	v_lshrrev_b32_e32 v114, 24, v114
	v_lshlrev_b32_e32 v132, 3, v132
	v_cndmask_b32_e32 v128, 7, v128, vcc_lo
	s_delay_alu instid0(VALU_DEP_3) | instskip(NEXT) | instid1(VALU_DEP_3)
	v_and_b32_e32 v114, 0x80, v114
	v_and_b32_e32 v132, 0xf8, v132
	s_delay_alu instid0(VALU_DEP_3) | instskip(SKIP_1) | instid1(VALU_DEP_2)
	v_and_b32_e32 v146, 7, v128
	v_or_b32_e32 v99, v99, v128
	v_or3_b32 v114, v132, v114, v146
	s_delay_alu instid0(VALU_DEP_2) | instskip(NEXT) | instid1(VALU_DEP_2)
	v_cmp_ne_u32_e32 vcc_lo, 0, v99
	v_cndmask_b32_e32 v99, 0, v114, vcc_lo
.LBB4_1030:                             ;   in Loop: Header=BB4_142 Depth=2
	s_or_b32 exec_lo, exec_lo, s26
.LBB4_1031:                             ;   in Loop: Header=BB4_142 Depth=2
	s_delay_alu instid0(SALU_CYCLE_1) | instskip(SKIP_3) | instid1(VALU_DEP_1)
	s_or_b32 exec_lo, exec_lo, s25
	v_lshrrev_b32_e32 v128, 24, v103
	s_mov_b32 s11, 0
	s_mov_b32 s26, exec_lo
                                        ; implicit-def: $sgpr25
	v_cmpx_lt_i16_e64 0x7f, v128
	s_xor_b32 s26, exec_lo, s26
	s_cbranch_execnz .LBB4_1421
; %bb.1032:                             ;   in Loop: Header=BB4_142 Depth=2
	s_or_saveexec_b32 s26, s26
	v_mov_b32_e32 v114, s25
	s_xor_b32 exec_lo, exec_lo, s26
	s_cbranch_execnz .LBB4_1424
.LBB4_1033:                             ;   in Loop: Header=BB4_142 Depth=2
	s_or_b32 exec_lo, exec_lo, s26
	s_and_saveexec_b32 s25, s11
	s_cbranch_execz .LBB4_1035
.LBB4_1034:                             ;   in Loop: Header=BB4_142 Depth=2
	v_bfe_u32 v114, v103, 24, 3
	s_delay_alu instid0(VALU_DEP_1) | instskip(NEXT) | instid1(VALU_DEP_1)
	v_clz_i32_u32_e32 v132, v114
	v_min_u32_e32 v132, 32, v132
	s_delay_alu instid0(VALU_DEP_1) | instskip(SKIP_1) | instid1(VALU_DEP_2)
	v_subrev_nc_u32_e32 v146, 28, v132
	v_sub_nc_u32_e32 v132, 29, v132
	v_lshlrev_b32_e32 v128, v146, v128
	v_bfe_u32 v146, v103, 27, 4
	v_and_b32_e32 v103, 0x80000000, v103
	s_delay_alu instid0(VALU_DEP_3) | instskip(NEXT) | instid1(VALU_DEP_3)
	v_and_b32_e32 v128, 7, v128
	v_cmp_eq_u32_e32 vcc_lo, 0, v146
	v_cndmask_b32_e32 v132, v146, v132, vcc_lo
	s_delay_alu instid0(VALU_DEP_3) | instskip(NEXT) | instid1(VALU_DEP_2)
	v_cndmask_b32_e32 v114, v114, v128, vcc_lo
	v_lshl_add_u32 v128, v132, 23, 0x3b800000
	s_delay_alu instid0(VALU_DEP_2) | instskip(NEXT) | instid1(VALU_DEP_1)
	v_lshlrev_b32_e32 v114, 20, v114
	v_or3_b32 v114, v103, v128, v114
.LBB4_1035:                             ;   in Loop: Header=BB4_142 Depth=2
	s_or_b32 exec_lo, exec_lo, s25
	v_lshrrev_b32_e32 v103, 24, v13
	s_mov_b32 s11, 0
	s_mov_b32 s26, exec_lo
                                        ; implicit-def: $sgpr25
	s_delay_alu instid0(VALU_DEP_1)
	v_cmpx_lt_i16_e32 0x7f, v103
	s_xor_b32 s26, exec_lo, s26
	s_cbranch_execnz .LBB4_1425
; %bb.1036:                             ;   in Loop: Header=BB4_142 Depth=2
	s_or_saveexec_b32 s26, s26
	v_mov_b32_e32 v128, s25
	s_xor_b32 exec_lo, exec_lo, s26
	s_cbranch_execnz .LBB4_1428
.LBB4_1037:                             ;   in Loop: Header=BB4_142 Depth=2
	s_or_b32 exec_lo, exec_lo, s26
	s_and_saveexec_b32 s25, s11
	s_cbranch_execz .LBB4_1039
.LBB4_1038:                             ;   in Loop: Header=BB4_142 Depth=2
	v_bfe_u32 v128, v13, 24, 3
	s_delay_alu instid0(VALU_DEP_1) | instskip(NEXT) | instid1(VALU_DEP_1)
	v_clz_i32_u32_e32 v132, v128
	v_min_u32_e32 v132, 32, v132
	s_delay_alu instid0(VALU_DEP_1) | instskip(SKIP_1) | instid1(VALU_DEP_2)
	v_subrev_nc_u32_e32 v146, 28, v132
	v_sub_nc_u32_e32 v132, 29, v132
	v_lshlrev_b32_e32 v103, v146, v103
	v_bfe_u32 v146, v13, 27, 4
	v_and_b32_e32 v13, 0x80000000, v13
	s_delay_alu instid0(VALU_DEP_2) | instskip(NEXT) | instid1(VALU_DEP_4)
	v_cmp_eq_u32_e32 vcc_lo, 0, v146
	v_dual_cndmask_b32 v132, v146, v132 :: v_dual_and_b32 v103, 7, v103
	s_delay_alu instid0(VALU_DEP_1) | instskip(NEXT) | instid1(VALU_DEP_2)
	v_cndmask_b32_e32 v103, v128, v103, vcc_lo
	v_lshl_add_u32 v128, v132, 23, 0x3b800000
	s_delay_alu instid0(VALU_DEP_2) | instskip(NEXT) | instid1(VALU_DEP_1)
	v_lshlrev_b32_e32 v103, 20, v103
	v_or3_b32 v128, v13, v128, v103
.LBB4_1039:                             ;   in Loop: Header=BB4_142 Depth=2
	s_or_b32 exec_lo, exec_lo, s25
	s_delay_alu instid0(VALU_DEP_1) | instskip(NEXT) | instid1(VALU_DEP_1)
	v_add_f32_e32 v13, v114, v128
	v_and_b32_e32 v103, 0x7f800000, v13
	s_delay_alu instid0(VALU_DEP_1)
	v_cmp_ne_u32_e32 vcc_lo, 0x7f800000, v103
	v_mov_b32_e32 v103, 0x8000
	s_and_saveexec_b32 s25, vcc_lo
	s_cbranch_execz .LBB4_141
; %bb.1040:                             ;   in Loop: Header=BB4_142 Depth=2
	v_mov_b32_e32 v103, 0
	s_mov_b32 s26, exec_lo
	v_cmpx_ne_u32_e32 0, v13
	s_cbranch_execz .LBB4_140
; %bb.1041:                             ;   in Loop: Header=BB4_142 Depth=2
	v_bfe_u32 v103, v13, 23, 8
	v_and_b32_e32 v114, 0x7fffff, v13
	s_delay_alu instid0(VALU_DEP_2) | instskip(SKIP_1) | instid1(VALU_DEP_3)
	v_sub_nc_u32_e32 v128, 0x78, v103
	v_cmp_gt_u32_e32 vcc_lo, 0x79, v103
	v_or_b32_e32 v132, 0x800000, v114
	s_delay_alu instid0(VALU_DEP_3) | instskip(SKIP_2) | instid1(VALU_DEP_3)
	v_cndmask_b32_e32 v128, 0, v128, vcc_lo
	v_cmp_eq_u32_e32 vcc_lo, 0, v103
	v_add_nc_u32_e32 v103, 0xffffff89, v103
	v_cndmask_b32_e64 v128, v128, 0x77, vcc_lo
	v_cndmask_b32_e32 v114, v132, v114, vcc_lo
	s_delay_alu instid0(VALU_DEP_3) | instskip(NEXT) | instid1(VALU_DEP_3)
	v_cndmask_b32_e64 v103, v103, 0xffffff8a, vcc_lo
	v_lshl_add_u32 v132, 0x100000, v128, -1
	s_delay_alu instid0(VALU_DEP_3) | instskip(SKIP_1) | instid1(VALU_DEP_4)
	v_lshrrev_b32_e32 v146, v128, v114
	v_lshlrev_b32_e64 v160, v128, 0x80000
	v_add_nc_u32_e32 v128, v128, v103
	s_delay_alu instid0(VALU_DEP_4) | instskip(NEXT) | instid1(VALU_DEP_4)
	v_and_b32_e32 v114, v132, v114
	v_bfe_u32 v150, v146, 20, 1
	s_delay_alu instid0(VALU_DEP_2) | instskip(NEXT) | instid1(VALU_DEP_2)
	v_cmp_eq_u32_e64 s11, v114, v160
	v_add_nc_u32_e32 v132, -1, v150
	s_delay_alu instid0(VALU_DEP_1) | instskip(SKIP_2) | instid1(VALU_DEP_2)
	v_cndmask_b32_e64 v114, 0, v132, s11
	v_lshrrev_b32_e32 v132, 23, v146
	s_mov_b32 s11, exec_lo
	v_add_nc_u32_e32 v114, v114, v146
	s_delay_alu instid0(VALU_DEP_2) | instskip(NEXT) | instid1(VALU_DEP_2)
	v_xor_b32_e32 v132, 1, v132
	v_and_b32_e32 v103, 0xfffff, v114
	s_delay_alu instid0(VALU_DEP_1) | instskip(NEXT) | instid1(VALU_DEP_3)
	v_add_nc_u32_e32 v114, v103, v146
                                        ; implicit-def: $vgpr103
	v_cmpx_ne_u32_e64 v128, v132
	s_xor_b32 s11, exec_lo, s11
; %bb.1042:                             ;   in Loop: Header=BB4_142 Depth=2
	s_delay_alu instid0(VALU_DEP_2) | instskip(SKIP_2) | instid1(VALU_DEP_2)
	v_cmp_lt_u32_e32 vcc_lo, 0xffffff, v114
	v_sub_nc_u32_e32 v103, v128, v132
	v_cndmask_b32_e64 v128, 0, 1, vcc_lo
	v_add_co_ci_u32_e32 v103, vcc_lo, 0, v103, vcc_lo
	s_delay_alu instid0(VALU_DEP_2)
	v_lshrrev_b32_e32 v114, v128, v114
; %bb.1043:                             ;   in Loop: Header=BB4_142 Depth=2
	s_and_not1_saveexec_b32 s11, s11
	s_cbranch_execz .LBB4_139
; %bb.1044:                             ;   in Loop: Header=BB4_142 Depth=2
	s_delay_alu instid0(VALU_DEP_1)
	v_bfe_u32 v103, v114, 23, 1
	s_branch .LBB4_139
.LBB4_1045:                             ;   in Loop: Header=BB4_142 Depth=2
	s_mov_b32 s11, -1
	s_mov_b32 s28, exec_lo
                                        ; implicit-def: $sgpr26
	v_cmpx_eq_u16_e32 0x80, v15
; %bb.1046:                             ;   in Loop: Header=BB4_142 Depth=2
	s_mov_b32 s26, 0x7f800001
	s_xor_b32 s11, exec_lo, -1
; %bb.1047:                             ;   in Loop: Header=BB4_142 Depth=2
	s_or_b32 exec_lo, exec_lo, s28
	s_delay_alu instid0(SALU_CYCLE_1)
	s_and_b32 s11, s11, exec_lo
                                        ; implicit-def: $vgpr15
	s_or_saveexec_b32 s27, s27
	v_mov_b32_e32 v14, s26
	s_xor_b32 exec_lo, exec_lo, s27
	s_cbranch_execz .LBB4_153
.LBB4_1048:                             ;   in Loop: Header=BB4_142 Depth=2
	v_cmp_ne_u16_e32 vcc_lo, 0, v15
	v_mov_b32_e32 v14, 0
	s_and_not1_b32 s11, s11, exec_lo
	s_and_b32 s26, vcc_lo, exec_lo
	s_delay_alu instid0(SALU_CYCLE_1)
	s_or_b32 s11, s11, s26
	s_or_b32 exec_lo, exec_lo, s27
	s_and_saveexec_b32 s26, s11
	s_cbranch_execnz .LBB4_154
	s_branch .LBB4_155
.LBB4_1049:                             ;   in Loop: Header=BB4_142 Depth=2
	s_mov_b32 s11, -1
	s_mov_b32 s28, exec_lo
                                        ; implicit-def: $sgpr26
	v_cmpx_eq_u16_e32 0x80, v14
; %bb.1050:                             ;   in Loop: Header=BB4_142 Depth=2
	s_mov_b32 s26, 0x7f800001
	s_xor_b32 s11, exec_lo, -1
; %bb.1051:                             ;   in Loop: Header=BB4_142 Depth=2
	s_or_b32 exec_lo, exec_lo, s28
	s_delay_alu instid0(SALU_CYCLE_1)
	s_and_b32 s11, s11, exec_lo
	s_or_saveexec_b32 s27, s27
	v_mov_b32_e32 v15, s26
	s_xor_b32 exec_lo, exec_lo, s27
	s_cbranch_execz .LBB4_165
.LBB4_1052:                             ;   in Loop: Header=BB4_142 Depth=2
	v_cmp_ne_u16_e32 vcc_lo, 0, v14
	v_mov_b32_e32 v15, 0
	s_and_not1_b32 s11, s11, exec_lo
	s_and_b32 s26, vcc_lo, exec_lo
	s_delay_alu instid0(SALU_CYCLE_1)
	s_or_b32 s11, s11, s26
	s_or_b32 exec_lo, exec_lo, s27
	s_and_saveexec_b32 s26, s11
	s_cbranch_execnz .LBB4_166
	s_branch .LBB4_167
.LBB4_1053:                             ;   in Loop: Header=BB4_142 Depth=2
	s_mov_b32 s11, -1
	s_mov_b32 s28, exec_lo
                                        ; implicit-def: $sgpr26
	v_cmpx_eq_u16_e32 0x80, v16
; %bb.1054:                             ;   in Loop: Header=BB4_142 Depth=2
	s_mov_b32 s26, 0x7f800001
	s_xor_b32 s11, exec_lo, -1
; %bb.1055:                             ;   in Loop: Header=BB4_142 Depth=2
	s_or_b32 exec_lo, exec_lo, s28
	s_delay_alu instid0(SALU_CYCLE_1)
	s_and_b32 s11, s11, exec_lo
                                        ; implicit-def: $vgpr16
	s_or_saveexec_b32 s27, s27
	v_mov_b32_e32 v15, s26
	s_xor_b32 exec_lo, exec_lo, s27
	s_cbranch_execz .LBB4_177
.LBB4_1056:                             ;   in Loop: Header=BB4_142 Depth=2
	v_cmp_ne_u16_e32 vcc_lo, 0, v16
	v_mov_b32_e32 v15, 0
	s_and_not1_b32 s11, s11, exec_lo
	s_and_b32 s26, vcc_lo, exec_lo
	s_delay_alu instid0(SALU_CYCLE_1)
	s_or_b32 s11, s11, s26
	s_or_b32 exec_lo, exec_lo, s27
	s_and_saveexec_b32 s26, s11
	s_cbranch_execnz .LBB4_178
	s_branch .LBB4_179
.LBB4_1057:                             ;   in Loop: Header=BB4_142 Depth=2
	s_mov_b32 s11, -1
	s_mov_b32 s28, exec_lo
                                        ; implicit-def: $sgpr26
	v_cmpx_eq_u16_e32 0x80, v14
; %bb.1058:                             ;   in Loop: Header=BB4_142 Depth=2
	s_mov_b32 s26, 0x7f800001
	s_xor_b32 s11, exec_lo, -1
; %bb.1059:                             ;   in Loop: Header=BB4_142 Depth=2
	s_or_b32 exec_lo, exec_lo, s28
	s_delay_alu instid0(SALU_CYCLE_1)
	s_and_b32 s11, s11, exec_lo
	s_or_saveexec_b32 s27, s27
	v_mov_b32_e32 v15, s26
	s_xor_b32 exec_lo, exec_lo, s27
	s_cbranch_execz .LBB4_189
.LBB4_1060:                             ;   in Loop: Header=BB4_142 Depth=2
	v_cmp_ne_u16_e32 vcc_lo, 0, v14
	v_mov_b32_e32 v15, 0
	s_and_not1_b32 s11, s11, exec_lo
	s_and_b32 s26, vcc_lo, exec_lo
	s_delay_alu instid0(SALU_CYCLE_1)
	s_or_b32 s11, s11, s26
	s_or_b32 exec_lo, exec_lo, s27
	s_and_saveexec_b32 s26, s11
	s_cbranch_execnz .LBB4_190
	s_branch .LBB4_191
.LBB4_1061:                             ;   in Loop: Header=BB4_142 Depth=2
	s_mov_b32 s11, -1
	s_mov_b32 s28, exec_lo
                                        ; implicit-def: $sgpr26
	v_cmpx_eq_u16_e32 0x80, v14
; %bb.1062:                             ;   in Loop: Header=BB4_142 Depth=2
	s_mov_b32 s26, 0x7f800001
	s_xor_b32 s11, exec_lo, -1
; %bb.1063:                             ;   in Loop: Header=BB4_142 Depth=2
	s_or_b32 exec_lo, exec_lo, s28
	s_delay_alu instid0(SALU_CYCLE_1)
	s_and_b32 s11, s11, exec_lo
                                        ; implicit-def: $vgpr14
	s_or_saveexec_b32 s27, s27
	v_mov_b32_e32 v10, s26
	s_xor_b32 exec_lo, exec_lo, s27
	s_cbranch_execz .LBB4_201
.LBB4_1064:                             ;   in Loop: Header=BB4_142 Depth=2
	v_cmp_ne_u16_e32 vcc_lo, 0, v14
	v_mov_b32_e32 v10, 0
	s_and_not1_b32 s11, s11, exec_lo
	s_and_b32 s26, vcc_lo, exec_lo
	s_delay_alu instid0(SALU_CYCLE_1)
	s_or_b32 s11, s11, s26
	s_or_b32 exec_lo, exec_lo, s27
	s_and_saveexec_b32 s26, s11
	s_cbranch_execnz .LBB4_202
	s_branch .LBB4_203
.LBB4_1065:                             ;   in Loop: Header=BB4_142 Depth=2
	s_mov_b32 s11, -1
	s_mov_b32 s28, exec_lo
                                        ; implicit-def: $sgpr26
	v_cmpx_eq_u16_e32 0x80, v10
; %bb.1066:                             ;   in Loop: Header=BB4_142 Depth=2
	s_mov_b32 s26, 0x7f800001
	s_xor_b32 s11, exec_lo, -1
; %bb.1067:                             ;   in Loop: Header=BB4_142 Depth=2
	s_or_b32 exec_lo, exec_lo, s28
	s_delay_alu instid0(SALU_CYCLE_1)
	s_and_b32 s11, s11, exec_lo
	s_or_saveexec_b32 s27, s27
	v_mov_b32_e32 v14, s26
	s_xor_b32 exec_lo, exec_lo, s27
	s_cbranch_execz .LBB4_213
.LBB4_1068:                             ;   in Loop: Header=BB4_142 Depth=2
	v_cmp_ne_u16_e32 vcc_lo, 0, v10
	v_mov_b32_e32 v14, 0
	s_and_not1_b32 s11, s11, exec_lo
	s_and_b32 s26, vcc_lo, exec_lo
	s_delay_alu instid0(SALU_CYCLE_1)
	s_or_b32 s11, s11, s26
	s_or_b32 exec_lo, exec_lo, s27
	s_and_saveexec_b32 s26, s11
	s_cbranch_execnz .LBB4_214
	s_branch .LBB4_215
.LBB4_1069:                             ;   in Loop: Header=BB4_142 Depth=2
	s_mov_b32 s11, -1
	s_mov_b32 s28, exec_lo
                                        ; implicit-def: $sgpr26
	v_cmpx_eq_u16_e32 0x80, v15
; %bb.1070:                             ;   in Loop: Header=BB4_142 Depth=2
	s_mov_b32 s26, 0x7f800001
	s_xor_b32 s11, exec_lo, -1
; %bb.1071:                             ;   in Loop: Header=BB4_142 Depth=2
	s_or_b32 exec_lo, exec_lo, s28
	s_delay_alu instid0(SALU_CYCLE_1)
	s_and_b32 s11, s11, exec_lo
                                        ; implicit-def: $vgpr15
	s_or_saveexec_b32 s27, s27
	v_mov_b32_e32 v14, s26
	s_xor_b32 exec_lo, exec_lo, s27
	s_cbranch_execz .LBB4_225
.LBB4_1072:                             ;   in Loop: Header=BB4_142 Depth=2
	v_cmp_ne_u16_e32 vcc_lo, 0, v15
	v_mov_b32_e32 v14, 0
	s_and_not1_b32 s11, s11, exec_lo
	s_and_b32 s26, vcc_lo, exec_lo
	s_delay_alu instid0(SALU_CYCLE_1)
	s_or_b32 s11, s11, s26
	s_or_b32 exec_lo, exec_lo, s27
	s_and_saveexec_b32 s26, s11
	s_cbranch_execnz .LBB4_226
	s_branch .LBB4_227
.LBB4_1073:                             ;   in Loop: Header=BB4_142 Depth=2
	s_mov_b32 s11, -1
	s_mov_b32 s28, exec_lo
                                        ; implicit-def: $sgpr26
	v_cmpx_eq_u16_e32 0x80, v10
; %bb.1074:                             ;   in Loop: Header=BB4_142 Depth=2
	s_mov_b32 s26, 0x7f800001
	s_xor_b32 s11, exec_lo, -1
; %bb.1075:                             ;   in Loop: Header=BB4_142 Depth=2
	s_or_b32 exec_lo, exec_lo, s28
	s_delay_alu instid0(SALU_CYCLE_1)
	s_and_b32 s11, s11, exec_lo
	s_or_saveexec_b32 s27, s27
	v_mov_b32_e32 v14, s26
	s_xor_b32 exec_lo, exec_lo, s27
	s_cbranch_execz .LBB4_237
.LBB4_1076:                             ;   in Loop: Header=BB4_142 Depth=2
	v_cmp_ne_u16_e32 vcc_lo, 0, v10
	v_mov_b32_e32 v14, 0
	s_and_not1_b32 s11, s11, exec_lo
	s_and_b32 s26, vcc_lo, exec_lo
	s_delay_alu instid0(SALU_CYCLE_1)
	s_or_b32 s11, s11, s26
	s_or_b32 exec_lo, exec_lo, s27
	s_and_saveexec_b32 s26, s11
	s_cbranch_execnz .LBB4_238
	s_branch .LBB4_239
.LBB4_1077:                             ;   in Loop: Header=BB4_142 Depth=2
	s_mov_b32 s11, -1
	s_mov_b32 s28, exec_lo
                                        ; implicit-def: $sgpr26
	v_cmpx_eq_u16_e32 0x80, v11
; %bb.1078:                             ;   in Loop: Header=BB4_142 Depth=2
	s_mov_b32 s26, 0x7f800001
	s_xor_b32 s11, exec_lo, -1
; %bb.1079:                             ;   in Loop: Header=BB4_142 Depth=2
	s_or_b32 exec_lo, exec_lo, s28
	s_delay_alu instid0(SALU_CYCLE_1)
	s_and_b32 s11, s11, exec_lo
                                        ; implicit-def: $vgpr11
	s_or_saveexec_b32 s27, s27
	v_mov_b32_e32 v10, s26
	s_xor_b32 exec_lo, exec_lo, s27
	s_cbranch_execz .LBB4_249
.LBB4_1080:                             ;   in Loop: Header=BB4_142 Depth=2
	v_cmp_ne_u16_e32 vcc_lo, 0, v11
	v_mov_b32_e32 v10, 0
	s_and_not1_b32 s11, s11, exec_lo
	s_and_b32 s26, vcc_lo, exec_lo
	s_delay_alu instid0(SALU_CYCLE_1)
	s_or_b32 s11, s11, s26
	s_or_b32 exec_lo, exec_lo, s27
	s_and_saveexec_b32 s26, s11
	s_cbranch_execnz .LBB4_250
	s_branch .LBB4_251
.LBB4_1081:                             ;   in Loop: Header=BB4_142 Depth=2
	s_mov_b32 s11, -1
	s_mov_b32 s28, exec_lo
                                        ; implicit-def: $sgpr26
	v_cmpx_eq_u16_e32 0x80, v10
; %bb.1082:                             ;   in Loop: Header=BB4_142 Depth=2
	s_mov_b32 s26, 0x7f800001
	s_xor_b32 s11, exec_lo, -1
; %bb.1083:                             ;   in Loop: Header=BB4_142 Depth=2
	s_or_b32 exec_lo, exec_lo, s28
	s_delay_alu instid0(SALU_CYCLE_1)
	s_and_b32 s11, s11, exec_lo
	s_or_saveexec_b32 s27, s27
	v_mov_b32_e32 v11, s26
	s_xor_b32 exec_lo, exec_lo, s27
	s_cbranch_execz .LBB4_261
.LBB4_1084:                             ;   in Loop: Header=BB4_142 Depth=2
	v_cmp_ne_u16_e32 vcc_lo, 0, v10
	v_mov_b32_e32 v11, 0
	s_and_not1_b32 s11, s11, exec_lo
	s_and_b32 s26, vcc_lo, exec_lo
	s_delay_alu instid0(SALU_CYCLE_1)
	s_or_b32 s11, s11, s26
	s_or_b32 exec_lo, exec_lo, s27
	s_and_saveexec_b32 s26, s11
	s_cbranch_execnz .LBB4_262
	s_branch .LBB4_263
.LBB4_1085:                             ;   in Loop: Header=BB4_142 Depth=2
	s_mov_b32 s11, -1
	s_mov_b32 s28, exec_lo
                                        ; implicit-def: $sgpr26
	v_cmpx_eq_u16_e32 0x80, v14
; %bb.1086:                             ;   in Loop: Header=BB4_142 Depth=2
	s_mov_b32 s26, 0x7f800001
	s_xor_b32 s11, exec_lo, -1
; %bb.1087:                             ;   in Loop: Header=BB4_142 Depth=2
	s_or_b32 exec_lo, exec_lo, s28
	s_delay_alu instid0(SALU_CYCLE_1)
	s_and_b32 s11, s11, exec_lo
                                        ; implicit-def: $vgpr14
	s_or_saveexec_b32 s27, s27
	v_mov_b32_e32 v11, s26
	s_xor_b32 exec_lo, exec_lo, s27
	s_cbranch_execz .LBB4_273
.LBB4_1088:                             ;   in Loop: Header=BB4_142 Depth=2
	v_cmp_ne_u16_e32 vcc_lo, 0, v14
	v_mov_b32_e32 v11, 0
	s_and_not1_b32 s11, s11, exec_lo
	s_and_b32 s26, vcc_lo, exec_lo
	s_delay_alu instid0(SALU_CYCLE_1)
	s_or_b32 s11, s11, s26
	s_or_b32 exec_lo, exec_lo, s27
	s_and_saveexec_b32 s26, s11
	s_cbranch_execnz .LBB4_274
	s_branch .LBB4_275
.LBB4_1089:                             ;   in Loop: Header=BB4_142 Depth=2
	s_mov_b32 s11, -1
	s_mov_b32 s28, exec_lo
                                        ; implicit-def: $sgpr26
	v_cmpx_eq_u16_e32 0x80, v10
; %bb.1090:                             ;   in Loop: Header=BB4_142 Depth=2
	s_mov_b32 s26, 0x7f800001
	s_xor_b32 s11, exec_lo, -1
; %bb.1091:                             ;   in Loop: Header=BB4_142 Depth=2
	s_or_b32 exec_lo, exec_lo, s28
	s_delay_alu instid0(SALU_CYCLE_1)
	s_and_b32 s11, s11, exec_lo
	s_or_saveexec_b32 s27, s27
	v_mov_b32_e32 v11, s26
	s_xor_b32 exec_lo, exec_lo, s27
	s_cbranch_execz .LBB4_285
.LBB4_1092:                             ;   in Loop: Header=BB4_142 Depth=2
	v_cmp_ne_u16_e32 vcc_lo, 0, v10
	v_mov_b32_e32 v11, 0
	s_and_not1_b32 s11, s11, exec_lo
	s_and_b32 s26, vcc_lo, exec_lo
	s_delay_alu instid0(SALU_CYCLE_1)
	s_or_b32 s11, s11, s26
	s_or_b32 exec_lo, exec_lo, s27
	s_and_saveexec_b32 s26, s11
	s_cbranch_execnz .LBB4_286
	s_branch .LBB4_287
.LBB4_1093:                             ;   in Loop: Header=BB4_142 Depth=2
	s_mov_b32 s11, -1
	s_mov_b32 s28, exec_lo
                                        ; implicit-def: $sgpr26
	v_cmpx_eq_u16_e32 0x80, v11
; %bb.1094:                             ;   in Loop: Header=BB4_142 Depth=2
	s_mov_b32 s26, 0x7f800001
	s_xor_b32 s11, exec_lo, -1
; %bb.1095:                             ;   in Loop: Header=BB4_142 Depth=2
	s_or_b32 exec_lo, exec_lo, s28
	s_delay_alu instid0(SALU_CYCLE_1)
	s_and_b32 s11, s11, exec_lo
                                        ; implicit-def: $vgpr11
	s_or_saveexec_b32 s27, s27
	v_mov_b32_e32 v10, s26
	s_xor_b32 exec_lo, exec_lo, s27
	s_cbranch_execz .LBB4_297
.LBB4_1096:                             ;   in Loop: Header=BB4_142 Depth=2
	v_cmp_ne_u16_e32 vcc_lo, 0, v11
	v_mov_b32_e32 v10, 0
	s_and_not1_b32 s11, s11, exec_lo
	s_and_b32 s26, vcc_lo, exec_lo
	s_delay_alu instid0(SALU_CYCLE_1)
	s_or_b32 s11, s11, s26
	s_or_b32 exec_lo, exec_lo, s27
	s_and_saveexec_b32 s26, s11
	s_cbranch_execnz .LBB4_298
	s_branch .LBB4_299
.LBB4_1097:                             ;   in Loop: Header=BB4_142 Depth=2
	s_mov_b32 s11, -1
	s_mov_b32 s28, exec_lo
                                        ; implicit-def: $sgpr26
	v_cmpx_eq_u16_e32 0x80, v10
; %bb.1098:                             ;   in Loop: Header=BB4_142 Depth=2
	s_mov_b32 s26, 0x7f800001
	s_xor_b32 s11, exec_lo, -1
; %bb.1099:                             ;   in Loop: Header=BB4_142 Depth=2
	s_or_b32 exec_lo, exec_lo, s28
	s_delay_alu instid0(SALU_CYCLE_1)
	s_and_b32 s11, s11, exec_lo
	s_or_saveexec_b32 s27, s27
	v_mov_b32_e32 v11, s26
	s_xor_b32 exec_lo, exec_lo, s27
	s_cbranch_execz .LBB4_309
.LBB4_1100:                             ;   in Loop: Header=BB4_142 Depth=2
	v_cmp_ne_u16_e32 vcc_lo, 0, v10
	v_mov_b32_e32 v11, 0
	s_and_not1_b32 s11, s11, exec_lo
	s_and_b32 s26, vcc_lo, exec_lo
	s_delay_alu instid0(SALU_CYCLE_1)
	s_or_b32 s11, s11, s26
	s_or_b32 exec_lo, exec_lo, s27
	s_and_saveexec_b32 s26, s11
	s_cbranch_execnz .LBB4_310
	s_branch .LBB4_311
.LBB4_1101:                             ;   in Loop: Header=BB4_142 Depth=2
	s_mov_b32 s11, -1
	s_mov_b32 s28, exec_lo
                                        ; implicit-def: $sgpr26
	v_cmpx_eq_u16_e32 0x80, v12
; %bb.1102:                             ;   in Loop: Header=BB4_142 Depth=2
	s_mov_b32 s26, 0x7f800001
	s_xor_b32 s11, exec_lo, -1
; %bb.1103:                             ;   in Loop: Header=BB4_142 Depth=2
	s_or_b32 exec_lo, exec_lo, s28
	s_delay_alu instid0(SALU_CYCLE_1)
	s_and_b32 s11, s11, exec_lo
                                        ; implicit-def: $vgpr12
	s_or_saveexec_b32 s27, s27
	v_mov_b32_e32 v11, s26
	s_xor_b32 exec_lo, exec_lo, s27
	s_cbranch_execz .LBB4_321
.LBB4_1104:                             ;   in Loop: Header=BB4_142 Depth=2
	v_cmp_ne_u16_e32 vcc_lo, 0, v12
	v_mov_b32_e32 v11, 0
	s_and_not1_b32 s11, s11, exec_lo
	s_and_b32 s26, vcc_lo, exec_lo
	s_delay_alu instid0(SALU_CYCLE_1)
	s_or_b32 s11, s11, s26
	s_or_b32 exec_lo, exec_lo, s27
	s_and_saveexec_b32 s26, s11
	s_cbranch_execnz .LBB4_322
	s_branch .LBB4_323
.LBB4_1105:                             ;   in Loop: Header=BB4_142 Depth=2
	s_mov_b32 s11, -1
	s_mov_b32 s28, exec_lo
                                        ; implicit-def: $sgpr26
	v_cmpx_eq_u16_e32 0x80, v10
; %bb.1106:                             ;   in Loop: Header=BB4_142 Depth=2
	s_mov_b32 s26, 0x7f800001
	s_xor_b32 s11, exec_lo, -1
; %bb.1107:                             ;   in Loop: Header=BB4_142 Depth=2
	s_or_b32 exec_lo, exec_lo, s28
	s_delay_alu instid0(SALU_CYCLE_1)
	s_and_b32 s11, s11, exec_lo
	s_or_saveexec_b32 s27, s27
	v_mov_b32_e32 v11, s26
	s_xor_b32 exec_lo, exec_lo, s27
	s_cbranch_execz .LBB4_333
.LBB4_1108:                             ;   in Loop: Header=BB4_142 Depth=2
	v_cmp_ne_u16_e32 vcc_lo, 0, v10
	v_mov_b32_e32 v11, 0
	s_and_not1_b32 s11, s11, exec_lo
	s_and_b32 s26, vcc_lo, exec_lo
	s_delay_alu instid0(SALU_CYCLE_1)
	s_or_b32 s11, s11, s26
	s_or_b32 exec_lo, exec_lo, s27
	s_and_saveexec_b32 s26, s11
	s_cbranch_execnz .LBB4_334
	s_branch .LBB4_335
.LBB4_1109:                             ;   in Loop: Header=BB4_142 Depth=2
	s_mov_b32 s11, -1
	s_mov_b32 s28, exec_lo
                                        ; implicit-def: $sgpr26
	v_cmpx_eq_u16_e32 0x80, v15
; %bb.1110:                             ;   in Loop: Header=BB4_142 Depth=2
	s_mov_b32 s26, 0x7f800001
	s_xor_b32 s11, exec_lo, -1
; %bb.1111:                             ;   in Loop: Header=BB4_142 Depth=2
	s_or_b32 exec_lo, exec_lo, s28
	s_delay_alu instid0(SALU_CYCLE_1)
	s_and_b32 s11, s11, exec_lo
                                        ; implicit-def: $vgpr15
	s_or_saveexec_b32 s27, s27
	v_mov_b32_e32 v14, s26
	s_xor_b32 exec_lo, exec_lo, s27
	s_cbranch_execz .LBB4_345
.LBB4_1112:                             ;   in Loop: Header=BB4_142 Depth=2
	v_cmp_ne_u16_e32 vcc_lo, 0, v15
	v_mov_b32_e32 v14, 0
	s_and_not1_b32 s11, s11, exec_lo
	s_and_b32 s26, vcc_lo, exec_lo
	s_delay_alu instid0(SALU_CYCLE_1)
	s_or_b32 s11, s11, s26
	s_or_b32 exec_lo, exec_lo, s27
	s_and_saveexec_b32 s26, s11
	s_cbranch_execnz .LBB4_346
	s_branch .LBB4_347
.LBB4_1113:                             ;   in Loop: Header=BB4_142 Depth=2
	s_mov_b32 s11, -1
	s_mov_b32 s28, exec_lo
                                        ; implicit-def: $sgpr26
	v_cmpx_eq_u16_e32 0x80, v14
; %bb.1114:                             ;   in Loop: Header=BB4_142 Depth=2
	s_mov_b32 s26, 0x7f800001
	s_xor_b32 s11, exec_lo, -1
; %bb.1115:                             ;   in Loop: Header=BB4_142 Depth=2
	s_or_b32 exec_lo, exec_lo, s28
	s_delay_alu instid0(SALU_CYCLE_1)
	s_and_b32 s11, s11, exec_lo
	s_or_saveexec_b32 s27, s27
	v_mov_b32_e32 v15, s26
	s_xor_b32 exec_lo, exec_lo, s27
	s_cbranch_execz .LBB4_357
.LBB4_1116:                             ;   in Loop: Header=BB4_142 Depth=2
	v_cmp_ne_u16_e32 vcc_lo, 0, v14
	v_mov_b32_e32 v15, 0
	s_and_not1_b32 s11, s11, exec_lo
	s_and_b32 s26, vcc_lo, exec_lo
	s_delay_alu instid0(SALU_CYCLE_1)
	s_or_b32 s11, s11, s26
	s_or_b32 exec_lo, exec_lo, s27
	s_and_saveexec_b32 s26, s11
	s_cbranch_execnz .LBB4_358
	s_branch .LBB4_359
.LBB4_1117:                             ;   in Loop: Header=BB4_142 Depth=2
	s_mov_b32 s11, -1
	s_mov_b32 s28, exec_lo
                                        ; implicit-def: $sgpr26
	v_cmpx_eq_u16_e32 0x80, v16
; %bb.1118:                             ;   in Loop: Header=BB4_142 Depth=2
	s_mov_b32 s26, 0x7f800001
	s_xor_b32 s11, exec_lo, -1
; %bb.1119:                             ;   in Loop: Header=BB4_142 Depth=2
	s_or_b32 exec_lo, exec_lo, s28
	s_delay_alu instid0(SALU_CYCLE_1)
	s_and_b32 s11, s11, exec_lo
                                        ; implicit-def: $vgpr16
	s_or_saveexec_b32 s27, s27
	v_mov_b32_e32 v15, s26
	s_xor_b32 exec_lo, exec_lo, s27
	s_cbranch_execz .LBB4_369
.LBB4_1120:                             ;   in Loop: Header=BB4_142 Depth=2
	v_cmp_ne_u16_e32 vcc_lo, 0, v16
	v_mov_b32_e32 v15, 0
	s_and_not1_b32 s11, s11, exec_lo
	s_and_b32 s26, vcc_lo, exec_lo
	s_delay_alu instid0(SALU_CYCLE_1)
	s_or_b32 s11, s11, s26
	s_or_b32 exec_lo, exec_lo, s27
	s_and_saveexec_b32 s26, s11
	s_cbranch_execnz .LBB4_370
	s_branch .LBB4_371
.LBB4_1121:                             ;   in Loop: Header=BB4_142 Depth=2
	s_mov_b32 s11, -1
	s_mov_b32 s28, exec_lo
                                        ; implicit-def: $sgpr26
	v_cmpx_eq_u16_e32 0x80, v14
; %bb.1122:                             ;   in Loop: Header=BB4_142 Depth=2
	s_mov_b32 s26, 0x7f800001
	s_xor_b32 s11, exec_lo, -1
; %bb.1123:                             ;   in Loop: Header=BB4_142 Depth=2
	s_or_b32 exec_lo, exec_lo, s28
	s_delay_alu instid0(SALU_CYCLE_1)
	s_and_b32 s11, s11, exec_lo
	s_or_saveexec_b32 s27, s27
	v_mov_b32_e32 v15, s26
	s_xor_b32 exec_lo, exec_lo, s27
	s_cbranch_execz .LBB4_381
.LBB4_1124:                             ;   in Loop: Header=BB4_142 Depth=2
	v_cmp_ne_u16_e32 vcc_lo, 0, v14
	v_mov_b32_e32 v15, 0
	s_and_not1_b32 s11, s11, exec_lo
	s_and_b32 s26, vcc_lo, exec_lo
	s_delay_alu instid0(SALU_CYCLE_1)
	s_or_b32 s11, s11, s26
	s_or_b32 exec_lo, exec_lo, s27
	s_and_saveexec_b32 s26, s11
	s_cbranch_execnz .LBB4_382
	s_branch .LBB4_383
.LBB4_1125:                             ;   in Loop: Header=BB4_142 Depth=2
	s_mov_b32 s11, -1
	s_mov_b32 s28, exec_lo
                                        ; implicit-def: $sgpr26
	v_cmpx_eq_u16_e32 0x80, v14
; %bb.1126:                             ;   in Loop: Header=BB4_142 Depth=2
	s_mov_b32 s26, 0x7f800001
	s_xor_b32 s11, exec_lo, -1
; %bb.1127:                             ;   in Loop: Header=BB4_142 Depth=2
	s_or_b32 exec_lo, exec_lo, s28
	s_delay_alu instid0(SALU_CYCLE_1)
	s_and_b32 s11, s11, exec_lo
                                        ; implicit-def: $vgpr14
	s_or_saveexec_b32 s27, s27
	v_mov_b32_e32 v10, s26
	s_xor_b32 exec_lo, exec_lo, s27
	s_cbranch_execz .LBB4_393
.LBB4_1128:                             ;   in Loop: Header=BB4_142 Depth=2
	v_cmp_ne_u16_e32 vcc_lo, 0, v14
	v_mov_b32_e32 v10, 0
	s_and_not1_b32 s11, s11, exec_lo
	s_and_b32 s26, vcc_lo, exec_lo
	s_delay_alu instid0(SALU_CYCLE_1)
	s_or_b32 s11, s11, s26
	s_or_b32 exec_lo, exec_lo, s27
	s_and_saveexec_b32 s26, s11
	s_cbranch_execnz .LBB4_394
	s_branch .LBB4_395
.LBB4_1129:                             ;   in Loop: Header=BB4_142 Depth=2
	s_mov_b32 s11, -1
	s_mov_b32 s28, exec_lo
                                        ; implicit-def: $sgpr26
	v_cmpx_eq_u16_e32 0x80, v10
; %bb.1130:                             ;   in Loop: Header=BB4_142 Depth=2
	s_mov_b32 s26, 0x7f800001
	s_xor_b32 s11, exec_lo, -1
; %bb.1131:                             ;   in Loop: Header=BB4_142 Depth=2
	s_or_b32 exec_lo, exec_lo, s28
	s_delay_alu instid0(SALU_CYCLE_1)
	s_and_b32 s11, s11, exec_lo
	s_or_saveexec_b32 s27, s27
	v_mov_b32_e32 v14, s26
	s_xor_b32 exec_lo, exec_lo, s27
	s_cbranch_execz .LBB4_405
.LBB4_1132:                             ;   in Loop: Header=BB4_142 Depth=2
	v_cmp_ne_u16_e32 vcc_lo, 0, v10
	v_mov_b32_e32 v14, 0
	s_and_not1_b32 s11, s11, exec_lo
	s_and_b32 s26, vcc_lo, exec_lo
	s_delay_alu instid0(SALU_CYCLE_1)
	s_or_b32 s11, s11, s26
	s_or_b32 exec_lo, exec_lo, s27
	s_and_saveexec_b32 s26, s11
	s_cbranch_execnz .LBB4_406
	s_branch .LBB4_407
.LBB4_1133:                             ;   in Loop: Header=BB4_142 Depth=2
	s_mov_b32 s11, -1
	s_mov_b32 s28, exec_lo
                                        ; implicit-def: $sgpr26
	v_cmpx_eq_u16_e32 0x80, v15
; %bb.1134:                             ;   in Loop: Header=BB4_142 Depth=2
	s_mov_b32 s26, 0x7f800001
	s_xor_b32 s11, exec_lo, -1
; %bb.1135:                             ;   in Loop: Header=BB4_142 Depth=2
	s_or_b32 exec_lo, exec_lo, s28
	s_delay_alu instid0(SALU_CYCLE_1)
	s_and_b32 s11, s11, exec_lo
                                        ; implicit-def: $vgpr15
	s_or_saveexec_b32 s27, s27
	v_mov_b32_e32 v14, s26
	s_xor_b32 exec_lo, exec_lo, s27
	s_cbranch_execz .LBB4_417
.LBB4_1136:                             ;   in Loop: Header=BB4_142 Depth=2
	v_cmp_ne_u16_e32 vcc_lo, 0, v15
	v_mov_b32_e32 v14, 0
	s_and_not1_b32 s11, s11, exec_lo
	s_and_b32 s26, vcc_lo, exec_lo
	s_delay_alu instid0(SALU_CYCLE_1)
	s_or_b32 s11, s11, s26
	s_or_b32 exec_lo, exec_lo, s27
	s_and_saveexec_b32 s26, s11
	s_cbranch_execnz .LBB4_418
	s_branch .LBB4_419
.LBB4_1137:                             ;   in Loop: Header=BB4_142 Depth=2
	s_mov_b32 s11, -1
	s_mov_b32 s28, exec_lo
                                        ; implicit-def: $sgpr26
	v_cmpx_eq_u16_e32 0x80, v10
; %bb.1138:                             ;   in Loop: Header=BB4_142 Depth=2
	s_mov_b32 s26, 0x7f800001
	s_xor_b32 s11, exec_lo, -1
; %bb.1139:                             ;   in Loop: Header=BB4_142 Depth=2
	s_or_b32 exec_lo, exec_lo, s28
	s_delay_alu instid0(SALU_CYCLE_1)
	s_and_b32 s11, s11, exec_lo
	s_or_saveexec_b32 s27, s27
	v_mov_b32_e32 v14, s26
	s_xor_b32 exec_lo, exec_lo, s27
	s_cbranch_execz .LBB4_429
.LBB4_1140:                             ;   in Loop: Header=BB4_142 Depth=2
	v_cmp_ne_u16_e32 vcc_lo, 0, v10
	v_mov_b32_e32 v14, 0
	s_and_not1_b32 s11, s11, exec_lo
	s_and_b32 s26, vcc_lo, exec_lo
	s_delay_alu instid0(SALU_CYCLE_1)
	s_or_b32 s11, s11, s26
	s_or_b32 exec_lo, exec_lo, s27
	s_and_saveexec_b32 s26, s11
	s_cbranch_execnz .LBB4_430
	s_branch .LBB4_431
.LBB4_1141:                             ;   in Loop: Header=BB4_142 Depth=2
	s_mov_b32 s11, -1
	s_mov_b32 s28, exec_lo
                                        ; implicit-def: $sgpr26
	v_cmpx_eq_u16_e32 0x80, v11
; %bb.1142:                             ;   in Loop: Header=BB4_142 Depth=2
	s_mov_b32 s26, 0x7f800001
	s_xor_b32 s11, exec_lo, -1
; %bb.1143:                             ;   in Loop: Header=BB4_142 Depth=2
	s_or_b32 exec_lo, exec_lo, s28
	s_delay_alu instid0(SALU_CYCLE_1)
	s_and_b32 s11, s11, exec_lo
                                        ; implicit-def: $vgpr11
	s_or_saveexec_b32 s27, s27
	v_mov_b32_e32 v10, s26
	s_xor_b32 exec_lo, exec_lo, s27
	s_cbranch_execz .LBB4_441
.LBB4_1144:                             ;   in Loop: Header=BB4_142 Depth=2
	v_cmp_ne_u16_e32 vcc_lo, 0, v11
	v_mov_b32_e32 v10, 0
	s_and_not1_b32 s11, s11, exec_lo
	s_and_b32 s26, vcc_lo, exec_lo
	s_delay_alu instid0(SALU_CYCLE_1)
	s_or_b32 s11, s11, s26
	s_or_b32 exec_lo, exec_lo, s27
	s_and_saveexec_b32 s26, s11
	s_cbranch_execnz .LBB4_442
	s_branch .LBB4_443
.LBB4_1145:                             ;   in Loop: Header=BB4_142 Depth=2
	s_mov_b32 s11, -1
	s_mov_b32 s28, exec_lo
                                        ; implicit-def: $sgpr26
	v_cmpx_eq_u16_e32 0x80, v10
; %bb.1146:                             ;   in Loop: Header=BB4_142 Depth=2
	s_mov_b32 s26, 0x7f800001
	s_xor_b32 s11, exec_lo, -1
; %bb.1147:                             ;   in Loop: Header=BB4_142 Depth=2
	s_or_b32 exec_lo, exec_lo, s28
	s_delay_alu instid0(SALU_CYCLE_1)
	s_and_b32 s11, s11, exec_lo
	s_or_saveexec_b32 s27, s27
	v_mov_b32_e32 v11, s26
	s_xor_b32 exec_lo, exec_lo, s27
	s_cbranch_execz .LBB4_453
.LBB4_1148:                             ;   in Loop: Header=BB4_142 Depth=2
	v_cmp_ne_u16_e32 vcc_lo, 0, v10
	v_mov_b32_e32 v11, 0
	s_and_not1_b32 s11, s11, exec_lo
	s_and_b32 s26, vcc_lo, exec_lo
	s_delay_alu instid0(SALU_CYCLE_1)
	s_or_b32 s11, s11, s26
	s_or_b32 exec_lo, exec_lo, s27
	s_and_saveexec_b32 s26, s11
	s_cbranch_execnz .LBB4_454
	s_branch .LBB4_455
.LBB4_1149:                             ;   in Loop: Header=BB4_142 Depth=2
	s_mov_b32 s11, -1
	s_mov_b32 s28, exec_lo
                                        ; implicit-def: $sgpr26
	v_cmpx_eq_u16_e32 0x80, v14
; %bb.1150:                             ;   in Loop: Header=BB4_142 Depth=2
	s_mov_b32 s26, 0x7f800001
	s_xor_b32 s11, exec_lo, -1
; %bb.1151:                             ;   in Loop: Header=BB4_142 Depth=2
	s_or_b32 exec_lo, exec_lo, s28
	s_delay_alu instid0(SALU_CYCLE_1)
	s_and_b32 s11, s11, exec_lo
                                        ; implicit-def: $vgpr14
	s_or_saveexec_b32 s27, s27
	v_mov_b32_e32 v11, s26
	s_xor_b32 exec_lo, exec_lo, s27
	s_cbranch_execz .LBB4_465
.LBB4_1152:                             ;   in Loop: Header=BB4_142 Depth=2
	v_cmp_ne_u16_e32 vcc_lo, 0, v14
	v_mov_b32_e32 v11, 0
	s_and_not1_b32 s11, s11, exec_lo
	s_and_b32 s26, vcc_lo, exec_lo
	s_delay_alu instid0(SALU_CYCLE_1)
	s_or_b32 s11, s11, s26
	s_or_b32 exec_lo, exec_lo, s27
	s_and_saveexec_b32 s26, s11
	s_cbranch_execnz .LBB4_466
	s_branch .LBB4_467
.LBB4_1153:                             ;   in Loop: Header=BB4_142 Depth=2
	s_mov_b32 s11, -1
	s_mov_b32 s28, exec_lo
                                        ; implicit-def: $sgpr26
	v_cmpx_eq_u16_e32 0x80, v10
; %bb.1154:                             ;   in Loop: Header=BB4_142 Depth=2
	s_mov_b32 s26, 0x7f800001
	s_xor_b32 s11, exec_lo, -1
; %bb.1155:                             ;   in Loop: Header=BB4_142 Depth=2
	s_or_b32 exec_lo, exec_lo, s28
	s_delay_alu instid0(SALU_CYCLE_1)
	s_and_b32 s11, s11, exec_lo
	s_or_saveexec_b32 s27, s27
	v_mov_b32_e32 v11, s26
	s_xor_b32 exec_lo, exec_lo, s27
	s_cbranch_execz .LBB4_477
.LBB4_1156:                             ;   in Loop: Header=BB4_142 Depth=2
	v_cmp_ne_u16_e32 vcc_lo, 0, v10
	v_mov_b32_e32 v11, 0
	s_and_not1_b32 s11, s11, exec_lo
	s_and_b32 s26, vcc_lo, exec_lo
	s_delay_alu instid0(SALU_CYCLE_1)
	s_or_b32 s11, s11, s26
	s_or_b32 exec_lo, exec_lo, s27
	s_and_saveexec_b32 s26, s11
	s_cbranch_execnz .LBB4_478
	s_branch .LBB4_479
.LBB4_1157:                             ;   in Loop: Header=BB4_142 Depth=2
	s_mov_b32 s11, -1
	s_mov_b32 s28, exec_lo
                                        ; implicit-def: $sgpr26
	v_cmpx_eq_u16_e32 0x80, v11
; %bb.1158:                             ;   in Loop: Header=BB4_142 Depth=2
	s_mov_b32 s26, 0x7f800001
	s_xor_b32 s11, exec_lo, -1
; %bb.1159:                             ;   in Loop: Header=BB4_142 Depth=2
	s_or_b32 exec_lo, exec_lo, s28
	s_delay_alu instid0(SALU_CYCLE_1)
	s_and_b32 s11, s11, exec_lo
                                        ; implicit-def: $vgpr11
	s_or_saveexec_b32 s27, s27
	v_mov_b32_e32 v10, s26
	s_xor_b32 exec_lo, exec_lo, s27
	s_cbranch_execz .LBB4_489
.LBB4_1160:                             ;   in Loop: Header=BB4_142 Depth=2
	v_cmp_ne_u16_e32 vcc_lo, 0, v11
	v_mov_b32_e32 v10, 0
	s_and_not1_b32 s11, s11, exec_lo
	s_and_b32 s26, vcc_lo, exec_lo
	s_delay_alu instid0(SALU_CYCLE_1)
	s_or_b32 s11, s11, s26
	s_or_b32 exec_lo, exec_lo, s27
	s_and_saveexec_b32 s26, s11
	s_cbranch_execnz .LBB4_490
	s_branch .LBB4_491
.LBB4_1161:                             ;   in Loop: Header=BB4_142 Depth=2
	s_mov_b32 s11, -1
	s_mov_b32 s28, exec_lo
                                        ; implicit-def: $sgpr26
	v_cmpx_eq_u16_e32 0x80, v10
; %bb.1162:                             ;   in Loop: Header=BB4_142 Depth=2
	s_mov_b32 s26, 0x7f800001
	s_xor_b32 s11, exec_lo, -1
; %bb.1163:                             ;   in Loop: Header=BB4_142 Depth=2
	s_or_b32 exec_lo, exec_lo, s28
	s_delay_alu instid0(SALU_CYCLE_1)
	s_and_b32 s11, s11, exec_lo
	s_or_saveexec_b32 s27, s27
	v_mov_b32_e32 v11, s26
	s_xor_b32 exec_lo, exec_lo, s27
	s_cbranch_execz .LBB4_501
.LBB4_1164:                             ;   in Loop: Header=BB4_142 Depth=2
	v_cmp_ne_u16_e32 vcc_lo, 0, v10
	v_mov_b32_e32 v11, 0
	s_and_not1_b32 s11, s11, exec_lo
	s_and_b32 s26, vcc_lo, exec_lo
	s_delay_alu instid0(SALU_CYCLE_1)
	s_or_b32 s11, s11, s26
	s_or_b32 exec_lo, exec_lo, s27
	s_and_saveexec_b32 s26, s11
	s_cbranch_execnz .LBB4_502
	s_branch .LBB4_503
.LBB4_1165:                             ;   in Loop: Header=BB4_142 Depth=2
	s_mov_b32 s11, -1
	s_mov_b32 s28, exec_lo
                                        ; implicit-def: $sgpr26
	v_cmpx_eq_u16_e32 0x80, v12
; %bb.1166:                             ;   in Loop: Header=BB4_142 Depth=2
	s_mov_b32 s26, 0x7f800001
	s_xor_b32 s11, exec_lo, -1
; %bb.1167:                             ;   in Loop: Header=BB4_142 Depth=2
	s_or_b32 exec_lo, exec_lo, s28
	s_delay_alu instid0(SALU_CYCLE_1)
	s_and_b32 s11, s11, exec_lo
                                        ; implicit-def: $vgpr12
	s_or_saveexec_b32 s27, s27
	v_mov_b32_e32 v11, s26
	s_xor_b32 exec_lo, exec_lo, s27
	s_cbranch_execz .LBB4_513
.LBB4_1168:                             ;   in Loop: Header=BB4_142 Depth=2
	v_cmp_ne_u16_e32 vcc_lo, 0, v12
	v_mov_b32_e32 v11, 0
	s_and_not1_b32 s11, s11, exec_lo
	s_and_b32 s26, vcc_lo, exec_lo
	s_delay_alu instid0(SALU_CYCLE_1)
	s_or_b32 s11, s11, s26
	s_or_b32 exec_lo, exec_lo, s27
	s_and_saveexec_b32 s26, s11
	s_cbranch_execnz .LBB4_514
	s_branch .LBB4_515
.LBB4_1169:                             ;   in Loop: Header=BB4_142 Depth=2
	s_mov_b32 s11, -1
	s_mov_b32 s28, exec_lo
                                        ; implicit-def: $sgpr26
	v_cmpx_eq_u16_e32 0x80, v10
; %bb.1170:                             ;   in Loop: Header=BB4_142 Depth=2
	s_mov_b32 s26, 0x7f800001
	s_xor_b32 s11, exec_lo, -1
; %bb.1171:                             ;   in Loop: Header=BB4_142 Depth=2
	s_or_b32 exec_lo, exec_lo, s28
	s_delay_alu instid0(SALU_CYCLE_1)
	s_and_b32 s11, s11, exec_lo
	s_or_saveexec_b32 s27, s27
	v_mov_b32_e32 v11, s26
	s_xor_b32 exec_lo, exec_lo, s27
	s_cbranch_execz .LBB4_525
.LBB4_1172:                             ;   in Loop: Header=BB4_142 Depth=2
	v_cmp_ne_u16_e32 vcc_lo, 0, v10
	v_mov_b32_e32 v11, 0
	s_and_not1_b32 s11, s11, exec_lo
	s_and_b32 s26, vcc_lo, exec_lo
	s_delay_alu instid0(SALU_CYCLE_1)
	s_or_b32 s11, s11, s26
	s_or_b32 exec_lo, exec_lo, s27
	s_and_saveexec_b32 s26, s11
	s_cbranch_execnz .LBB4_526
	s_branch .LBB4_527
.LBB4_1173:                             ;   in Loop: Header=BB4_142 Depth=2
	s_mov_b32 s11, -1
	s_mov_b32 s27, exec_lo
                                        ; implicit-def: $sgpr25
	v_cmpx_eq_u16_e64 0x80, v163
; %bb.1174:                             ;   in Loop: Header=BB4_142 Depth=2
	s_mov_b32 s25, 0x7f800001
	s_xor_b32 s11, exec_lo, -1
; %bb.1175:                             ;   in Loop: Header=BB4_142 Depth=2
	s_or_b32 exec_lo, exec_lo, s27
	s_delay_alu instid0(SALU_CYCLE_1)
	s_and_b32 s11, s11, exec_lo
                                        ; implicit-def: $vgpr163
	s_or_saveexec_b32 s26, s26
	v_mov_b32_e32 v162, s25
	s_xor_b32 exec_lo, exec_lo, s26
	s_cbranch_execz .LBB4_537
.LBB4_1176:                             ;   in Loop: Header=BB4_142 Depth=2
	v_cmp_ne_u16_e64 vcc_lo, 0, v163
	v_mov_b32_e32 v162, 0
	s_and_not1_b32 s11, s11, exec_lo
	s_delay_alu instid0(VALU_DEP_2) | instskip(NEXT) | instid1(SALU_CYCLE_1)
	s_and_b32 s25, vcc_lo, exec_lo
	s_or_b32 s11, s11, s25
	s_or_b32 exec_lo, exec_lo, s26
	s_and_saveexec_b32 s25, s11
	s_cbranch_execnz .LBB4_538
	s_branch .LBB4_539
.LBB4_1177:                             ;   in Loop: Header=BB4_142 Depth=2
	s_mov_b32 s11, -1
	s_mov_b32 s27, exec_lo
                                        ; implicit-def: $sgpr25
	v_cmpx_eq_u16_e64 0x80, v163
; %bb.1178:                             ;   in Loop: Header=BB4_142 Depth=2
	s_mov_b32 s25, 0x7f800001
	s_xor_b32 s11, exec_lo, -1
; %bb.1179:                             ;   in Loop: Header=BB4_142 Depth=2
	s_or_b32 exec_lo, exec_lo, s27
	s_delay_alu instid0(SALU_CYCLE_1)
	s_and_b32 s11, s11, exec_lo
                                        ; implicit-def: $vgpr163
	s_or_saveexec_b32 s26, s26
	v_mov_b32_e32 v98, s25
	s_xor_b32 exec_lo, exec_lo, s26
	s_cbranch_execz .LBB4_541
.LBB4_1180:                             ;   in Loop: Header=BB4_142 Depth=2
	v_cmp_ne_u16_e64 vcc_lo, 0, v163
	v_mov_b32_e32 v98, 0
	s_and_not1_b32 s11, s11, exec_lo
	s_delay_alu instid0(VALU_DEP_2) | instskip(NEXT) | instid1(SALU_CYCLE_1)
	s_and_b32 s25, vcc_lo, exec_lo
	s_or_b32 s11, s11, s25
	s_or_b32 exec_lo, exec_lo, s26
	s_and_saveexec_b32 s25, s11
	s_cbranch_execnz .LBB4_542
	s_branch .LBB4_543
.LBB4_1181:                             ;   in Loop: Header=BB4_142 Depth=2
	s_mov_b32 s11, -1
	s_mov_b32 s27, exec_lo
                                        ; implicit-def: $sgpr25
	v_cmpx_eq_u16_e64 0x80, v163
; %bb.1182:                             ;   in Loop: Header=BB4_142 Depth=2
	s_mov_b32 s25, 0x7f800001
	s_xor_b32 s11, exec_lo, -1
; %bb.1183:                             ;   in Loop: Header=BB4_142 Depth=2
	s_or_b32 exec_lo, exec_lo, s27
	s_delay_alu instid0(SALU_CYCLE_1)
	s_and_b32 s11, s11, exec_lo
                                        ; implicit-def: $vgpr163
	s_or_saveexec_b32 s26, s26
	v_mov_b32_e32 v162, s25
	s_xor_b32 exec_lo, exec_lo, s26
	s_cbranch_execz .LBB4_553
.LBB4_1184:                             ;   in Loop: Header=BB4_142 Depth=2
	v_cmp_ne_u16_e64 vcc_lo, 0, v163
	v_mov_b32_e32 v162, 0
	s_and_not1_b32 s11, s11, exec_lo
	s_delay_alu instid0(VALU_DEP_2) | instskip(NEXT) | instid1(SALU_CYCLE_1)
	s_and_b32 s25, vcc_lo, exec_lo
	s_or_b32 s11, s11, s25
	s_or_b32 exec_lo, exec_lo, s26
	s_and_saveexec_b32 s25, s11
	s_cbranch_execnz .LBB4_554
	s_branch .LBB4_555
.LBB4_1185:                             ;   in Loop: Header=BB4_142 Depth=2
	s_mov_b32 s11, -1
	s_mov_b32 s27, exec_lo
                                        ; implicit-def: $sgpr25
	v_cmpx_eq_u16_e32 0x80, v102
; %bb.1186:                             ;   in Loop: Header=BB4_142 Depth=2
	s_mov_b32 s25, 0x7f800001
	s_xor_b32 s11, exec_lo, -1
; %bb.1187:                             ;   in Loop: Header=BB4_142 Depth=2
	s_or_b32 exec_lo, exec_lo, s27
	s_delay_alu instid0(SALU_CYCLE_1)
	s_and_b32 s11, s11, exec_lo
	s_or_saveexec_b32 s26, s26
	v_mov_b32_e32 v163, s25
	s_xor_b32 exec_lo, exec_lo, s26
	s_cbranch_execz .LBB4_557
.LBB4_1188:                             ;   in Loop: Header=BB4_142 Depth=2
	v_cmp_ne_u16_e32 vcc_lo, 0, v102
	v_mov_b32_e32 v163, 0
	s_and_not1_b32 s11, s11, exec_lo
	s_and_b32 s25, vcc_lo, exec_lo
	s_delay_alu instid0(SALU_CYCLE_1)
	s_or_b32 s11, s11, s25
	s_or_b32 exec_lo, exec_lo, s26
	s_and_saveexec_b32 s25, s11
	s_cbranch_execnz .LBB4_558
	s_branch .LBB4_559
.LBB4_1189:                             ;   in Loop: Header=BB4_142 Depth=2
	s_mov_b32 s11, -1
	s_mov_b32 s27, exec_lo
                                        ; implicit-def: $sgpr25
	v_cmpx_eq_u16_e64 0x80, v163
; %bb.1190:                             ;   in Loop: Header=BB4_142 Depth=2
	s_mov_b32 s25, 0x7f800001
	s_xor_b32 s11, exec_lo, -1
; %bb.1191:                             ;   in Loop: Header=BB4_142 Depth=2
	s_or_b32 exec_lo, exec_lo, s27
	s_delay_alu instid0(SALU_CYCLE_1)
	s_and_b32 s11, s11, exec_lo
                                        ; implicit-def: $vgpr163
	s_or_saveexec_b32 s26, s26
	v_mov_b32_e32 v162, s25
	s_xor_b32 exec_lo, exec_lo, s26
	s_cbranch_execz .LBB4_569
.LBB4_1192:                             ;   in Loop: Header=BB4_142 Depth=2
	v_cmp_ne_u16_e64 vcc_lo, 0, v163
	v_mov_b32_e32 v162, 0
	s_and_not1_b32 s11, s11, exec_lo
	s_delay_alu instid0(VALU_DEP_2) | instskip(NEXT) | instid1(SALU_CYCLE_1)
	s_and_b32 s25, vcc_lo, exec_lo
	s_or_b32 s11, s11, s25
	s_or_b32 exec_lo, exec_lo, s26
	s_and_saveexec_b32 s25, s11
	s_cbranch_execnz .LBB4_570
	s_branch .LBB4_571
.LBB4_1193:                             ;   in Loop: Header=BB4_142 Depth=2
	s_mov_b32 s11, -1
	s_mov_b32 s27, exec_lo
                                        ; implicit-def: $sgpr25
	v_cmpx_eq_u16_e64 0x80, v164
; %bb.1194:                             ;   in Loop: Header=BB4_142 Depth=2
	s_mov_b32 s25, 0x7f800001
	s_xor_b32 s11, exec_lo, -1
; %bb.1195:                             ;   in Loop: Header=BB4_142 Depth=2
	s_or_b32 exec_lo, exec_lo, s27
	s_delay_alu instid0(SALU_CYCLE_1)
	s_and_b32 s11, s11, exec_lo
                                        ; implicit-def: $vgpr164
	s_or_saveexec_b32 s26, s26
	v_mov_b32_e32 v163, s25
	s_xor_b32 exec_lo, exec_lo, s26
	s_cbranch_execz .LBB4_573
.LBB4_1196:                             ;   in Loop: Header=BB4_142 Depth=2
	v_cmp_ne_u16_e64 vcc_lo, 0, v164
	v_mov_b32_e32 v163, 0
	s_and_not1_b32 s11, s11, exec_lo
	s_delay_alu instid0(VALU_DEP_2) | instskip(NEXT) | instid1(SALU_CYCLE_1)
	s_and_b32 s25, vcc_lo, exec_lo
	s_or_b32 s11, s11, s25
	s_or_b32 exec_lo, exec_lo, s26
	s_and_saveexec_b32 s25, s11
	s_cbranch_execnz .LBB4_574
	s_branch .LBB4_575
.LBB4_1197:                             ;   in Loop: Header=BB4_142 Depth=2
	s_mov_b32 s11, -1
	s_mov_b32 s27, exec_lo
                                        ; implicit-def: $sgpr25
	v_cmpx_eq_u16_e64 0x80, v163
; %bb.1198:                             ;   in Loop: Header=BB4_142 Depth=2
	s_mov_b32 s25, 0x7f800001
	s_xor_b32 s11, exec_lo, -1
; %bb.1199:                             ;   in Loop: Header=BB4_142 Depth=2
	s_or_b32 exec_lo, exec_lo, s27
	s_delay_alu instid0(SALU_CYCLE_1)
	s_and_b32 s11, s11, exec_lo
	s_or_saveexec_b32 s26, s26
	v_mov_b32_e32 v162, s25
	s_xor_b32 exec_lo, exec_lo, s26
	s_cbranch_execz .LBB4_585
.LBB4_1200:                             ;   in Loop: Header=BB4_142 Depth=2
	v_cmp_ne_u16_e64 vcc_lo, 0, v163
	v_mov_b32_e32 v162, 0
	s_and_not1_b32 s11, s11, exec_lo
	s_delay_alu instid0(VALU_DEP_2) | instskip(NEXT) | instid1(SALU_CYCLE_1)
	s_and_b32 s25, vcc_lo, exec_lo
	s_or_b32 s11, s11, s25
	s_or_b32 exec_lo, exec_lo, s26
	s_and_saveexec_b32 s25, s11
	s_cbranch_execnz .LBB4_586
	s_branch .LBB4_587
.LBB4_1201:                             ;   in Loop: Header=BB4_142 Depth=2
	s_mov_b32 s11, -1
	s_mov_b32 s27, exec_lo
                                        ; implicit-def: $sgpr25
	v_cmpx_eq_u16_e64 0x80, v134
; %bb.1202:                             ;   in Loop: Header=BB4_142 Depth=2
	s_mov_b32 s25, 0x7f800001
	s_xor_b32 s11, exec_lo, -1
; %bb.1203:                             ;   in Loop: Header=BB4_142 Depth=2
	s_or_b32 exec_lo, exec_lo, s27
	s_delay_alu instid0(SALU_CYCLE_1)
	s_and_b32 s11, s11, exec_lo
	s_or_saveexec_b32 s26, s26
	v_mov_b32_e32 v163, s25
	s_xor_b32 exec_lo, exec_lo, s26
	s_cbranch_execz .LBB4_589
.LBB4_1204:                             ;   in Loop: Header=BB4_142 Depth=2
	v_cmp_ne_u16_e64 vcc_lo, 0, v134
	v_mov_b32_e32 v163, 0
	s_and_not1_b32 s11, s11, exec_lo
	s_delay_alu instid0(VALU_DEP_2) | instskip(NEXT) | instid1(SALU_CYCLE_1)
	s_and_b32 s25, vcc_lo, exec_lo
	s_or_b32 s11, s11, s25
	s_or_b32 exec_lo, exec_lo, s26
	s_and_saveexec_b32 s25, s11
	s_cbranch_execnz .LBB4_590
	s_branch .LBB4_591
.LBB4_1205:                             ;   in Loop: Header=BB4_142 Depth=2
	s_mov_b32 s11, -1
	s_mov_b32 s27, exec_lo
                                        ; implicit-def: $sgpr25
	v_cmpx_eq_u16_e64 0x80, v134
; %bb.1206:                             ;   in Loop: Header=BB4_142 Depth=2
	s_mov_b32 s25, 0x7f800001
	s_xor_b32 s11, exec_lo, -1
; %bb.1207:                             ;   in Loop: Header=BB4_142 Depth=2
	s_or_b32 exec_lo, exec_lo, s27
	s_delay_alu instid0(SALU_CYCLE_1)
	s_and_b32 s11, s11, exec_lo
                                        ; implicit-def: $vgpr134
	s_or_saveexec_b32 s26, s26
	v_mov_b32_e32 v131, s25
	s_xor_b32 exec_lo, exec_lo, s26
	s_cbranch_execz .LBB4_601
.LBB4_1208:                             ;   in Loop: Header=BB4_142 Depth=2
	v_cmp_ne_u16_e64 vcc_lo, 0, v134
	v_mov_b32_e32 v131, 0
	s_and_not1_b32 s11, s11, exec_lo
	s_delay_alu instid0(VALU_DEP_2) | instskip(NEXT) | instid1(SALU_CYCLE_1)
	s_and_b32 s25, vcc_lo, exec_lo
	s_or_b32 s11, s11, s25
	s_or_b32 exec_lo, exec_lo, s26
	s_and_saveexec_b32 s25, s11
	s_cbranch_execnz .LBB4_602
	s_branch .LBB4_603
.LBB4_1209:                             ;   in Loop: Header=BB4_142 Depth=2
	s_mov_b32 s11, -1
	s_mov_b32 s27, exec_lo
                                        ; implicit-def: $sgpr25
	v_cmpx_eq_u16_e64 0x80, v162
; %bb.1210:                             ;   in Loop: Header=BB4_142 Depth=2
	s_mov_b32 s25, 0x7f800001
	s_xor_b32 s11, exec_lo, -1
; %bb.1211:                             ;   in Loop: Header=BB4_142 Depth=2
	s_or_b32 exec_lo, exec_lo, s27
	s_delay_alu instid0(SALU_CYCLE_1)
	s_and_b32 s11, s11, exec_lo
                                        ; implicit-def: $vgpr162
	s_or_saveexec_b32 s26, s26
	v_mov_b32_e32 v134, s25
	s_xor_b32 exec_lo, exec_lo, s26
	s_cbranch_execz .LBB4_605
.LBB4_1212:                             ;   in Loop: Header=BB4_142 Depth=2
	v_cmp_ne_u16_e64 vcc_lo, 0, v162
	v_mov_b32_e32 v134, 0
	s_and_not1_b32 s11, s11, exec_lo
	s_delay_alu instid0(VALU_DEP_2) | instskip(NEXT) | instid1(SALU_CYCLE_1)
	s_and_b32 s25, vcc_lo, exec_lo
	s_or_b32 s11, s11, s25
	s_or_b32 exec_lo, exec_lo, s26
	s_and_saveexec_b32 s25, s11
	s_cbranch_execnz .LBB4_606
	s_branch .LBB4_607
.LBB4_1213:                             ;   in Loop: Header=BB4_142 Depth=2
	s_mov_b32 s11, -1
	s_mov_b32 s27, exec_lo
                                        ; implicit-def: $sgpr25
	v_cmpx_eq_u16_e64 0x80, v162
; %bb.1214:                             ;   in Loop: Header=BB4_142 Depth=2
	s_mov_b32 s25, 0x7f800001
	s_xor_b32 s11, exec_lo, -1
; %bb.1215:                             ;   in Loop: Header=BB4_142 Depth=2
	s_or_b32 exec_lo, exec_lo, s27
	s_delay_alu instid0(SALU_CYCLE_1)
	s_and_b32 s11, s11, exec_lo
	s_or_saveexec_b32 s26, s26
	v_mov_b32_e32 v134, s25
	s_xor_b32 exec_lo, exec_lo, s26
	s_cbranch_execz .LBB4_617
.LBB4_1216:                             ;   in Loop: Header=BB4_142 Depth=2
	v_cmp_ne_u16_e64 vcc_lo, 0, v162
	v_mov_b32_e32 v134, 0
	s_and_not1_b32 s11, s11, exec_lo
	s_delay_alu instid0(VALU_DEP_2) | instskip(NEXT) | instid1(SALU_CYCLE_1)
	s_and_b32 s25, vcc_lo, exec_lo
	s_or_b32 s11, s11, s25
	s_or_b32 exec_lo, exec_lo, s26
	s_and_saveexec_b32 s25, s11
	s_cbranch_execnz .LBB4_618
	s_branch .LBB4_619
.LBB4_1217:                             ;   in Loop: Header=BB4_142 Depth=2
	s_mov_b32 s11, -1
	s_mov_b32 s27, exec_lo
                                        ; implicit-def: $sgpr25
	v_cmpx_eq_u16_e64 0x80, v162
; %bb.1218:                             ;   in Loop: Header=BB4_142 Depth=2
	s_mov_b32 s25, 0x7f800001
	s_xor_b32 s11, exec_lo, -1
; %bb.1219:                             ;   in Loop: Header=BB4_142 Depth=2
	s_or_b32 exec_lo, exec_lo, s27
	s_delay_alu instid0(SALU_CYCLE_1)
	s_and_b32 s11, s11, exec_lo
	s_or_saveexec_b32 s26, s26
	v_mov_b32_e32 v163, s25
	s_xor_b32 exec_lo, exec_lo, s26
	s_cbranch_execz .LBB4_621
.LBB4_1220:                             ;   in Loop: Header=BB4_142 Depth=2
	v_cmp_ne_u16_e64 vcc_lo, 0, v162
	v_mov_b32_e32 v163, 0
	s_and_not1_b32 s11, s11, exec_lo
	s_delay_alu instid0(VALU_DEP_2) | instskip(NEXT) | instid1(SALU_CYCLE_1)
	s_and_b32 s25, vcc_lo, exec_lo
	s_or_b32 s11, s11, s25
	s_or_b32 exec_lo, exec_lo, s26
	s_and_saveexec_b32 s25, s11
	s_cbranch_execnz .LBB4_622
	s_branch .LBB4_623
.LBB4_1221:                             ;   in Loop: Header=BB4_142 Depth=2
	s_mov_b32 s11, -1
	s_mov_b32 s27, exec_lo
                                        ; implicit-def: $sgpr25
	v_cmpx_eq_u16_e64 0x80, v162
; %bb.1222:                             ;   in Loop: Header=BB4_142 Depth=2
	s_mov_b32 s25, 0x7f800001
	s_xor_b32 s11, exec_lo, -1
; %bb.1223:                             ;   in Loop: Header=BB4_142 Depth=2
	s_or_b32 exec_lo, exec_lo, s27
	s_delay_alu instid0(SALU_CYCLE_1)
	s_and_b32 s11, s11, exec_lo
                                        ; implicit-def: $vgpr162
	s_or_saveexec_b32 s26, s26
	v_mov_b32_e32 v147, s25
	s_xor_b32 exec_lo, exec_lo, s26
	s_cbranch_execz .LBB4_633
.LBB4_1224:                             ;   in Loop: Header=BB4_142 Depth=2
	v_cmp_ne_u16_e64 vcc_lo, 0, v162
	v_mov_b32_e32 v147, 0
	s_and_not1_b32 s11, s11, exec_lo
	s_delay_alu instid0(VALU_DEP_2) | instskip(NEXT) | instid1(SALU_CYCLE_1)
	s_and_b32 s25, vcc_lo, exec_lo
	s_or_b32 s11, s11, s25
	s_or_b32 exec_lo, exec_lo, s26
	v_lshl_or_b32 v160, v160, 16, v161
	s_and_saveexec_b32 s25, s11
	s_cbranch_execnz .LBB4_634
	s_branch .LBB4_635
.LBB4_1225:                             ;   in Loop: Header=BB4_142 Depth=2
	s_mov_b32 s11, -1
	s_mov_b32 s27, exec_lo
                                        ; implicit-def: $sgpr25
	v_cmpx_eq_u16_e64 0x80, v163
; %bb.1226:                             ;   in Loop: Header=BB4_142 Depth=2
	s_mov_b32 s25, 0x7f800001
	s_xor_b32 s11, exec_lo, -1
; %bb.1227:                             ;   in Loop: Header=BB4_142 Depth=2
	s_or_b32 exec_lo, exec_lo, s27
	s_delay_alu instid0(SALU_CYCLE_1)
	s_and_b32 s11, s11, exec_lo
                                        ; implicit-def: $vgpr163
	s_or_saveexec_b32 s26, s26
	v_mov_b32_e32 v162, s25
	s_xor_b32 exec_lo, exec_lo, s26
	s_cbranch_execz .LBB4_637
.LBB4_1228:                             ;   in Loop: Header=BB4_142 Depth=2
	v_cmp_ne_u16_e64 vcc_lo, 0, v163
	v_mov_b32_e32 v162, 0
	s_and_not1_b32 s11, s11, exec_lo
	s_delay_alu instid0(VALU_DEP_2) | instskip(NEXT) | instid1(SALU_CYCLE_1)
	s_and_b32 s25, vcc_lo, exec_lo
	s_or_b32 s11, s11, s25
	s_or_b32 exec_lo, exec_lo, s26
	s_and_saveexec_b32 s25, s11
	s_cbranch_execnz .LBB4_638
	s_branch .LBB4_639
.LBB4_1229:                             ;   in Loop: Header=BB4_142 Depth=2
	s_mov_b32 s11, -1
	s_mov_b32 s27, exec_lo
                                        ; implicit-def: $sgpr25
	v_cmpx_eq_u16_e64 0x80, v162
; %bb.1230:                             ;   in Loop: Header=BB4_142 Depth=2
	s_mov_b32 s25, 0x7f800001
	s_xor_b32 s11, exec_lo, -1
; %bb.1231:                             ;   in Loop: Header=BB4_142 Depth=2
	s_or_b32 exec_lo, exec_lo, s27
	s_delay_alu instid0(SALU_CYCLE_1)
	s_and_b32 s11, s11, exec_lo
	s_or_saveexec_b32 s26, s26
	v_mov_b32_e32 v161, s25
	s_xor_b32 exec_lo, exec_lo, s26
	s_cbranch_execz .LBB4_649
.LBB4_1232:                             ;   in Loop: Header=BB4_142 Depth=2
	v_cmp_ne_u16_e64 vcc_lo, 0, v162
	v_mov_b32_e32 v161, 0
	s_and_not1_b32 s11, s11, exec_lo
	s_delay_alu instid0(VALU_DEP_2) | instskip(NEXT) | instid1(SALU_CYCLE_1)
	s_and_b32 s25, vcc_lo, exec_lo
	s_or_b32 s11, s11, s25
	s_or_b32 exec_lo, exec_lo, s26
	s_and_saveexec_b32 s25, s11
	s_cbranch_execnz .LBB4_650
	s_branch .LBB4_651
.LBB4_1233:                             ;   in Loop: Header=BB4_142 Depth=2
	s_mov_b32 s11, -1
	s_mov_b32 s27, exec_lo
                                        ; implicit-def: $sgpr25
	v_cmpx_eq_u16_e64 0x80, v160
; %bb.1234:                             ;   in Loop: Header=BB4_142 Depth=2
	s_mov_b32 s25, 0x7f800001
	s_xor_b32 s11, exec_lo, -1
; %bb.1235:                             ;   in Loop: Header=BB4_142 Depth=2
	s_or_b32 exec_lo, exec_lo, s27
	s_delay_alu instid0(SALU_CYCLE_1)
	s_and_b32 s11, s11, exec_lo
	s_or_saveexec_b32 s26, s26
	v_mov_b32_e32 v162, s25
	s_xor_b32 exec_lo, exec_lo, s26
	s_cbranch_execz .LBB4_653
.LBB4_1236:                             ;   in Loop: Header=BB4_142 Depth=2
	v_cmp_ne_u16_e64 vcc_lo, 0, v160
	v_mov_b32_e32 v162, 0
	s_and_not1_b32 s11, s11, exec_lo
	s_delay_alu instid0(VALU_DEP_2) | instskip(NEXT) | instid1(SALU_CYCLE_1)
	s_and_b32 s25, vcc_lo, exec_lo
	s_or_b32 s11, s11, s25
	s_or_b32 exec_lo, exec_lo, s26
	s_and_saveexec_b32 s25, s11
	s_cbranch_execnz .LBB4_654
	s_branch .LBB4_655
.LBB4_1237:                             ;   in Loop: Header=BB4_142 Depth=2
	s_mov_b32 s11, -1
	s_mov_b32 s27, exec_lo
                                        ; implicit-def: $sgpr25
	v_cmpx_eq_u16_e64 0x80, v161
; %bb.1238:                             ;   in Loop: Header=BB4_142 Depth=2
	s_mov_b32 s25, 0x7f800001
	s_xor_b32 s11, exec_lo, -1
; %bb.1239:                             ;   in Loop: Header=BB4_142 Depth=2
	s_or_b32 exec_lo, exec_lo, s27
	s_delay_alu instid0(SALU_CYCLE_1)
	s_and_b32 s11, s11, exec_lo
                                        ; implicit-def: $vgpr161
	s_or_saveexec_b32 s26, s26
	v_mov_b32_e32 v160, s25
	s_xor_b32 exec_lo, exec_lo, s26
	s_cbranch_execz .LBB4_665
.LBB4_1240:                             ;   in Loop: Header=BB4_142 Depth=2
	v_cmp_ne_u16_e64 vcc_lo, 0, v161
	v_mov_b32_e32 v160, 0
	s_and_not1_b32 s11, s11, exec_lo
	s_delay_alu instid0(VALU_DEP_2) | instskip(NEXT) | instid1(SALU_CYCLE_1)
	s_and_b32 s25, vcc_lo, exec_lo
	s_or_b32 s11, s11, s25
	s_or_b32 exec_lo, exec_lo, s26
	s_and_saveexec_b32 s25, s11
	s_cbranch_execnz .LBB4_666
	s_branch .LBB4_667
.LBB4_1241:                             ;   in Loop: Header=BB4_142 Depth=2
	s_mov_b32 s11, -1
	s_mov_b32 s27, exec_lo
                                        ; implicit-def: $sgpr25
	v_cmpx_eq_u16_e64 0x80, v161
; %bb.1242:                             ;   in Loop: Header=BB4_142 Depth=2
	s_mov_b32 s25, 0x7f800001
	s_xor_b32 s11, exec_lo, -1
; %bb.1243:                             ;   in Loop: Header=BB4_142 Depth=2
	s_or_b32 exec_lo, exec_lo, s27
	s_delay_alu instid0(SALU_CYCLE_1)
	s_and_b32 s11, s11, exec_lo
                                        ; implicit-def: $vgpr161
	s_or_saveexec_b32 s26, s26
	v_mov_b32_e32 v151, s25
	s_xor_b32 exec_lo, exec_lo, s26
	s_cbranch_execz .LBB4_669
.LBB4_1244:                             ;   in Loop: Header=BB4_142 Depth=2
	v_cmp_ne_u16_e64 vcc_lo, 0, v161
	v_mov_b32_e32 v151, 0
	s_and_not1_b32 s11, s11, exec_lo
	s_delay_alu instid0(VALU_DEP_2) | instskip(NEXT) | instid1(SALU_CYCLE_1)
	s_and_b32 s25, vcc_lo, exec_lo
	s_or_b32 s11, s11, s25
	s_or_b32 exec_lo, exec_lo, s26
	s_and_saveexec_b32 s25, s11
	s_cbranch_execnz .LBB4_670
	s_branch .LBB4_671
.LBB4_1245:                             ;   in Loop: Header=BB4_142 Depth=2
	s_mov_b32 s11, -1
	s_mov_b32 s27, exec_lo
                                        ; implicit-def: $sgpr25
	v_cmpx_eq_u16_e64 0x80, v161
; %bb.1246:                             ;   in Loop: Header=BB4_142 Depth=2
	s_mov_b32 s25, 0x7f800001
	s_xor_b32 s11, exec_lo, -1
; %bb.1247:                             ;   in Loop: Header=BB4_142 Depth=2
	s_or_b32 exec_lo, exec_lo, s27
	s_delay_alu instid0(SALU_CYCLE_1)
	s_and_b32 s11, s11, exec_lo
                                        ; implicit-def: $vgpr161
	s_or_saveexec_b32 s26, s26
	v_mov_b32_e32 v160, s25
	s_xor_b32 exec_lo, exec_lo, s26
	s_cbranch_execz .LBB4_681
.LBB4_1248:                             ;   in Loop: Header=BB4_142 Depth=2
	v_cmp_ne_u16_e64 vcc_lo, 0, v161
	v_mov_b32_e32 v160, 0
	s_and_not1_b32 s11, s11, exec_lo
	s_delay_alu instid0(VALU_DEP_2) | instskip(NEXT) | instid1(SALU_CYCLE_1)
	s_and_b32 s25, vcc_lo, exec_lo
	s_or_b32 s11, s11, s25
	s_or_b32 exec_lo, exec_lo, s26
	s_and_saveexec_b32 s25, s11
	s_cbranch_execnz .LBB4_682
	s_branch .LBB4_683
.LBB4_1249:                             ;   in Loop: Header=BB4_142 Depth=2
	s_mov_b32 s11, -1
	s_mov_b32 s27, exec_lo
                                        ; implicit-def: $sgpr25
	v_cmpx_eq_u16_e64 0x80, v149
; %bb.1250:                             ;   in Loop: Header=BB4_142 Depth=2
	s_mov_b32 s25, 0x7f800001
	s_xor_b32 s11, exec_lo, -1
; %bb.1251:                             ;   in Loop: Header=BB4_142 Depth=2
	s_or_b32 exec_lo, exec_lo, s27
	s_delay_alu instid0(SALU_CYCLE_1)
	s_and_b32 s11, s11, exec_lo
	s_or_saveexec_b32 s26, s26
	v_mov_b32_e32 v161, s25
	s_xor_b32 exec_lo, exec_lo, s26
	s_cbranch_execz .LBB4_685
.LBB4_1252:                             ;   in Loop: Header=BB4_142 Depth=2
	v_cmp_ne_u16_e64 vcc_lo, 0, v149
	v_mov_b32_e32 v161, 0
	s_and_not1_b32 s11, s11, exec_lo
	s_delay_alu instid0(VALU_DEP_2) | instskip(NEXT) | instid1(SALU_CYCLE_1)
	s_and_b32 s25, vcc_lo, exec_lo
	s_or_b32 s11, s11, s25
	s_or_b32 exec_lo, exec_lo, s26
	s_and_saveexec_b32 s25, s11
	s_cbranch_execnz .LBB4_686
	s_branch .LBB4_687
.LBB4_1253:                             ;   in Loop: Header=BB4_142 Depth=2
	s_mov_b32 s11, -1
	s_mov_b32 s27, exec_lo
                                        ; implicit-def: $sgpr25
	v_cmpx_eq_u16_e64 0x80, v161
; %bb.1254:                             ;   in Loop: Header=BB4_142 Depth=2
	s_mov_b32 s25, 0x7f800001
	s_xor_b32 s11, exec_lo, -1
; %bb.1255:                             ;   in Loop: Header=BB4_142 Depth=2
	s_or_b32 exec_lo, exec_lo, s27
	s_delay_alu instid0(SALU_CYCLE_1)
	s_and_b32 s11, s11, exec_lo
                                        ; implicit-def: $vgpr161
	s_or_saveexec_b32 s26, s26
	v_mov_b32_e32 v160, s25
	s_xor_b32 exec_lo, exec_lo, s26
	s_cbranch_execz .LBB4_697
.LBB4_1256:                             ;   in Loop: Header=BB4_142 Depth=2
	v_cmp_ne_u16_e64 vcc_lo, 0, v161
	v_mov_b32_e32 v160, 0
	s_and_not1_b32 s11, s11, exec_lo
	s_delay_alu instid0(VALU_DEP_2) | instskip(NEXT) | instid1(SALU_CYCLE_1)
	s_and_b32 s25, vcc_lo, exec_lo
	s_or_b32 s11, s11, s25
	s_or_b32 exec_lo, exec_lo, s26
	s_and_saveexec_b32 s25, s11
	s_cbranch_execnz .LBB4_698
	s_branch .LBB4_699
.LBB4_1257:                             ;   in Loop: Header=BB4_142 Depth=2
	s_mov_b32 s11, -1
	s_mov_b32 s27, exec_lo
                                        ; implicit-def: $sgpr25
	v_cmpx_eq_u16_e64 0x80, v162
; %bb.1258:                             ;   in Loop: Header=BB4_142 Depth=2
	s_mov_b32 s25, 0x7f800001
	s_xor_b32 s11, exec_lo, -1
; %bb.1259:                             ;   in Loop: Header=BB4_142 Depth=2
	s_or_b32 exec_lo, exec_lo, s27
	s_delay_alu instid0(SALU_CYCLE_1)
	s_and_b32 s11, s11, exec_lo
                                        ; implicit-def: $vgpr162
	s_or_saveexec_b32 s26, s26
	v_mov_b32_e32 v161, s25
	s_xor_b32 exec_lo, exec_lo, s26
	s_cbranch_execz .LBB4_701
.LBB4_1260:                             ;   in Loop: Header=BB4_142 Depth=2
	v_cmp_ne_u16_e64 vcc_lo, 0, v162
	v_mov_b32_e32 v161, 0
	s_and_not1_b32 s11, s11, exec_lo
	s_delay_alu instid0(VALU_DEP_2) | instskip(NEXT) | instid1(SALU_CYCLE_1)
	s_and_b32 s25, vcc_lo, exec_lo
	s_or_b32 s11, s11, s25
	s_or_b32 exec_lo, exec_lo, s26
	s_and_saveexec_b32 s25, s11
	s_cbranch_execnz .LBB4_702
	s_branch .LBB4_703
.LBB4_1261:                             ;   in Loop: Header=BB4_142 Depth=2
	s_mov_b32 s11, -1
	s_mov_b32 s27, exec_lo
                                        ; implicit-def: $sgpr25
	v_cmpx_eq_u16_e64 0x80, v161
; %bb.1262:                             ;   in Loop: Header=BB4_142 Depth=2
	s_mov_b32 s25, 0x7f800001
	s_xor_b32 s11, exec_lo, -1
; %bb.1263:                             ;   in Loop: Header=BB4_142 Depth=2
	s_or_b32 exec_lo, exec_lo, s27
	s_delay_alu instid0(SALU_CYCLE_1)
	s_and_b32 s11, s11, exec_lo
	s_or_saveexec_b32 s26, s26
	v_mov_b32_e32 v160, s25
	s_xor_b32 exec_lo, exec_lo, s26
	s_cbranch_execz .LBB4_713
.LBB4_1264:                             ;   in Loop: Header=BB4_142 Depth=2
	v_cmp_ne_u16_e64 vcc_lo, 0, v161
	v_mov_b32_e32 v160, 0
	s_and_not1_b32 s11, s11, exec_lo
	s_delay_alu instid0(VALU_DEP_2) | instskip(NEXT) | instid1(SALU_CYCLE_1)
	s_and_b32 s25, vcc_lo, exec_lo
	s_or_b32 s11, s11, s25
	s_or_b32 exec_lo, exec_lo, s26
	s_and_saveexec_b32 s25, s11
	s_cbranch_execnz .LBB4_714
	s_branch .LBB4_715
.LBB4_1265:                             ;   in Loop: Header=BB4_142 Depth=2
	s_mov_b32 s11, -1
	s_mov_b32 s27, exec_lo
                                        ; implicit-def: $sgpr25
	v_cmpx_eq_u16_e64 0x80, v145
; %bb.1266:                             ;   in Loop: Header=BB4_142 Depth=2
	s_mov_b32 s25, 0x7f800001
	s_xor_b32 s11, exec_lo, -1
; %bb.1267:                             ;   in Loop: Header=BB4_142 Depth=2
	s_or_b32 exec_lo, exec_lo, s27
	s_delay_alu instid0(SALU_CYCLE_1)
	s_and_b32 s11, s11, exec_lo
	s_or_saveexec_b32 s26, s26
	v_mov_b32_e32 v161, s25
	s_xor_b32 exec_lo, exec_lo, s26
	s_cbranch_execz .LBB4_717
.LBB4_1268:                             ;   in Loop: Header=BB4_142 Depth=2
	v_cmp_ne_u16_e64 vcc_lo, 0, v145
	v_mov_b32_e32 v161, 0
	s_and_not1_b32 s11, s11, exec_lo
	s_delay_alu instid0(VALU_DEP_2) | instskip(NEXT) | instid1(SALU_CYCLE_1)
	s_and_b32 s25, vcc_lo, exec_lo
	s_or_b32 s11, s11, s25
	s_or_b32 exec_lo, exec_lo, s26
	s_and_saveexec_b32 s25, s11
	s_cbranch_execnz .LBB4_718
	s_branch .LBB4_719
.LBB4_1269:                             ;   in Loop: Header=BB4_142 Depth=2
	s_mov_b32 s11, -1
	s_mov_b32 s27, exec_lo
                                        ; implicit-def: $sgpr25
	v_cmpx_eq_u16_e64 0x80, v145
; %bb.1270:                             ;   in Loop: Header=BB4_142 Depth=2
	s_mov_b32 s25, 0x7f800001
	s_xor_b32 s11, exec_lo, -1
; %bb.1271:                             ;   in Loop: Header=BB4_142 Depth=2
	s_or_b32 exec_lo, exec_lo, s27
	s_delay_alu instid0(SALU_CYCLE_1)
	s_and_b32 s11, s11, exec_lo
                                        ; implicit-def: $vgpr145
	s_or_saveexec_b32 s26, s26
	v_mov_b32_e32 v144, s25
	s_xor_b32 exec_lo, exec_lo, s26
	s_cbranch_execz .LBB4_729
.LBB4_1272:                             ;   in Loop: Header=BB4_142 Depth=2
	v_cmp_ne_u16_e64 vcc_lo, 0, v145
	v_mov_b32_e32 v144, 0
	s_and_not1_b32 s11, s11, exec_lo
	s_delay_alu instid0(VALU_DEP_2) | instskip(NEXT) | instid1(SALU_CYCLE_1)
	s_and_b32 s25, vcc_lo, exec_lo
	s_or_b32 s11, s11, s25
	s_or_b32 exec_lo, exec_lo, s26
	s_and_saveexec_b32 s25, s11
	s_cbranch_execnz .LBB4_730
	s_branch .LBB4_731
.LBB4_1273:                             ;   in Loop: Header=BB4_142 Depth=2
	s_mov_b32 s11, -1
	s_mov_b32 s27, exec_lo
                                        ; implicit-def: $sgpr25
	v_cmpx_eq_u16_e64 0x80, v160
; %bb.1274:                             ;   in Loop: Header=BB4_142 Depth=2
	s_mov_b32 s25, 0x7f800001
	s_xor_b32 s11, exec_lo, -1
; %bb.1275:                             ;   in Loop: Header=BB4_142 Depth=2
	s_or_b32 exec_lo, exec_lo, s27
	s_delay_alu instid0(SALU_CYCLE_1)
	s_and_b32 s11, s11, exec_lo
                                        ; implicit-def: $vgpr160
	s_or_saveexec_b32 s26, s26
	v_mov_b32_e32 v145, s25
	s_xor_b32 exec_lo, exec_lo, s26
	s_cbranch_execz .LBB4_733
.LBB4_1276:                             ;   in Loop: Header=BB4_142 Depth=2
	v_cmp_ne_u16_e64 vcc_lo, 0, v160
	v_mov_b32_e32 v145, 0
	s_and_not1_b32 s11, s11, exec_lo
	s_delay_alu instid0(VALU_DEP_2) | instskip(NEXT) | instid1(SALU_CYCLE_1)
	s_and_b32 s25, vcc_lo, exec_lo
	s_or_b32 s11, s11, s25
	s_or_b32 exec_lo, exec_lo, s26
	s_and_saveexec_b32 s25, s11
	s_cbranch_execnz .LBB4_734
	s_branch .LBB4_735
.LBB4_1277:                             ;   in Loop: Header=BB4_142 Depth=2
	s_mov_b32 s11, -1
	s_mov_b32 s27, exec_lo
                                        ; implicit-def: $sgpr25
	v_cmpx_eq_u16_e64 0x80, v160
; %bb.1278:                             ;   in Loop: Header=BB4_142 Depth=2
	s_mov_b32 s25, 0x7f800001
	s_xor_b32 s11, exec_lo, -1
; %bb.1279:                             ;   in Loop: Header=BB4_142 Depth=2
	s_or_b32 exec_lo, exec_lo, s27
	s_delay_alu instid0(SALU_CYCLE_1)
	s_and_b32 s11, s11, exec_lo
	s_or_saveexec_b32 s26, s26
	v_mov_b32_e32 v145, s25
	s_xor_b32 exec_lo, exec_lo, s26
	s_cbranch_execz .LBB4_745
.LBB4_1280:                             ;   in Loop: Header=BB4_142 Depth=2
	v_cmp_ne_u16_e64 vcc_lo, 0, v160
	v_mov_b32_e32 v145, 0
	s_and_not1_b32 s11, s11, exec_lo
	s_delay_alu instid0(VALU_DEP_2) | instskip(NEXT) | instid1(SALU_CYCLE_1)
	s_and_b32 s25, vcc_lo, exec_lo
	s_or_b32 s11, s11, s25
	s_or_b32 exec_lo, exec_lo, s26
	s_and_saveexec_b32 s25, s11
	s_cbranch_execnz .LBB4_746
	s_branch .LBB4_747
.LBB4_1281:                             ;   in Loop: Header=BB4_142 Depth=2
	s_mov_b32 s11, -1
	s_mov_b32 s27, exec_lo
                                        ; implicit-def: $sgpr25
	v_cmpx_eq_u16_e64 0x80, v160
; %bb.1282:                             ;   in Loop: Header=BB4_142 Depth=2
	s_mov_b32 s25, 0x7f800001
	s_xor_b32 s11, exec_lo, -1
; %bb.1283:                             ;   in Loop: Header=BB4_142 Depth=2
	s_or_b32 exec_lo, exec_lo, s27
	s_delay_alu instid0(SALU_CYCLE_1)
	s_and_b32 s11, s11, exec_lo
	s_or_saveexec_b32 s26, s26
	v_mov_b32_e32 v161, s25
	s_xor_b32 exec_lo, exec_lo, s26
	s_cbranch_execz .LBB4_749
.LBB4_1284:                             ;   in Loop: Header=BB4_142 Depth=2
	v_cmp_ne_u16_e64 vcc_lo, 0, v160
	v_mov_b32_e32 v161, 0
	s_and_not1_b32 s11, s11, exec_lo
	s_delay_alu instid0(VALU_DEP_2) | instskip(NEXT) | instid1(SALU_CYCLE_1)
	s_and_b32 s25, vcc_lo, exec_lo
	s_or_b32 s11, s11, s25
	s_or_b32 exec_lo, exec_lo, s26
	s_and_saveexec_b32 s25, s11
	s_cbranch_execnz .LBB4_750
	s_branch .LBB4_751
.LBB4_1285:                             ;   in Loop: Header=BB4_142 Depth=2
	s_mov_b32 s11, -1
	s_mov_b32 s27, exec_lo
                                        ; implicit-def: $sgpr25
	v_cmpx_eq_u16_e64 0x80, v160
; %bb.1286:                             ;   in Loop: Header=BB4_142 Depth=2
	s_mov_b32 s25, 0x7f800001
	s_xor_b32 s11, exec_lo, -1
; %bb.1287:                             ;   in Loop: Header=BB4_142 Depth=2
	s_or_b32 exec_lo, exec_lo, s27
	s_delay_alu instid0(SALU_CYCLE_1)
	s_and_b32 s11, s11, exec_lo
                                        ; implicit-def: $vgpr160
	s_or_saveexec_b32 s26, s26
	v_mov_b32_e32 v135, s25
	s_xor_b32 exec_lo, exec_lo, s26
	s_cbranch_execz .LBB4_761
.LBB4_1288:                             ;   in Loop: Header=BB4_142 Depth=2
	v_cmp_ne_u16_e64 vcc_lo, 0, v160
	v_mov_b32_e32 v135, 0
	s_and_not1_b32 s11, s11, exec_lo
	s_delay_alu instid0(VALU_DEP_2) | instskip(NEXT) | instid1(SALU_CYCLE_1)
	s_and_b32 s25, vcc_lo, exec_lo
	s_or_b32 s11, s11, s25
	s_or_b32 exec_lo, exec_lo, s26
	v_lshl_or_b32 v146, v146, 16, v150
	s_and_saveexec_b32 s25, s11
	s_cbranch_execnz .LBB4_762
	s_branch .LBB4_763
.LBB4_1289:                             ;   in Loop: Header=BB4_142 Depth=2
	s_mov_b32 s11, -1
	s_mov_b32 s27, exec_lo
                                        ; implicit-def: $sgpr25
	v_cmpx_eq_u16_e64 0x80, v161
; %bb.1290:                             ;   in Loop: Header=BB4_142 Depth=2
	s_mov_b32 s25, 0x7f800001
	s_xor_b32 s11, exec_lo, -1
; %bb.1291:                             ;   in Loop: Header=BB4_142 Depth=2
	s_or_b32 exec_lo, exec_lo, s27
	s_delay_alu instid0(SALU_CYCLE_1)
	s_and_b32 s11, s11, exec_lo
                                        ; implicit-def: $vgpr161
	s_or_saveexec_b32 s26, s26
	v_mov_b32_e32 v160, s25
	s_xor_b32 exec_lo, exec_lo, s26
	s_cbranch_execz .LBB4_765
.LBB4_1292:                             ;   in Loop: Header=BB4_142 Depth=2
	v_cmp_ne_u16_e64 vcc_lo, 0, v161
	v_mov_b32_e32 v160, 0
	s_and_not1_b32 s11, s11, exec_lo
	s_delay_alu instid0(VALU_DEP_2) | instskip(NEXT) | instid1(SALU_CYCLE_1)
	s_and_b32 s25, vcc_lo, exec_lo
	s_or_b32 s11, s11, s25
	s_or_b32 exec_lo, exec_lo, s26
	s_and_saveexec_b32 s25, s11
	s_cbranch_execnz .LBB4_766
	s_branch .LBB4_767
.LBB4_1293:                             ;   in Loop: Header=BB4_142 Depth=2
	s_mov_b32 s11, -1
	s_mov_b32 s27, exec_lo
                                        ; implicit-def: $sgpr25
	v_cmpx_eq_u16_e64 0x80, v160
; %bb.1294:                             ;   in Loop: Header=BB4_142 Depth=2
	s_mov_b32 s25, 0x7f800001
	s_xor_b32 s11, exec_lo, -1
; %bb.1295:                             ;   in Loop: Header=BB4_142 Depth=2
	s_or_b32 exec_lo, exec_lo, s27
	s_delay_alu instid0(SALU_CYCLE_1)
	s_and_b32 s11, s11, exec_lo
	s_or_saveexec_b32 s26, s26
	v_mov_b32_e32 v150, s25
	s_xor_b32 exec_lo, exec_lo, s26
	s_cbranch_execz .LBB4_777
.LBB4_1296:                             ;   in Loop: Header=BB4_142 Depth=2
	v_cmp_ne_u16_e64 vcc_lo, 0, v160
	v_mov_b32_e32 v150, 0
	s_and_not1_b32 s11, s11, exec_lo
	s_delay_alu instid0(VALU_DEP_2) | instskip(NEXT) | instid1(SALU_CYCLE_1)
	s_and_b32 s25, vcc_lo, exec_lo
	s_or_b32 s11, s11, s25
	s_or_b32 exec_lo, exec_lo, s26
	s_and_saveexec_b32 s25, s11
	s_cbranch_execnz .LBB4_778
	s_branch .LBB4_779
.LBB4_1297:                             ;   in Loop: Header=BB4_142 Depth=2
	s_mov_b32 s11, -1
	s_mov_b32 s27, exec_lo
                                        ; implicit-def: $sgpr25
	v_cmpx_eq_u16_e64 0x80, v146
; %bb.1298:                             ;   in Loop: Header=BB4_142 Depth=2
	s_mov_b32 s25, 0x7f800001
	s_xor_b32 s11, exec_lo, -1
; %bb.1299:                             ;   in Loop: Header=BB4_142 Depth=2
	s_or_b32 exec_lo, exec_lo, s27
	s_delay_alu instid0(SALU_CYCLE_1)
	s_and_b32 s11, s11, exec_lo
	s_or_saveexec_b32 s26, s26
	v_mov_b32_e32 v160, s25
	s_xor_b32 exec_lo, exec_lo, s26
	s_cbranch_execz .LBB4_781
.LBB4_1300:                             ;   in Loop: Header=BB4_142 Depth=2
	v_cmp_ne_u16_e64 vcc_lo, 0, v146
	v_mov_b32_e32 v160, 0
	s_and_not1_b32 s11, s11, exec_lo
	s_delay_alu instid0(VALU_DEP_2) | instskip(NEXT) | instid1(SALU_CYCLE_1)
	s_and_b32 s25, vcc_lo, exec_lo
	s_or_b32 s11, s11, s25
	s_or_b32 exec_lo, exec_lo, s26
	s_and_saveexec_b32 s25, s11
	s_cbranch_execnz .LBB4_782
	s_branch .LBB4_783
.LBB4_1301:                             ;   in Loop: Header=BB4_142 Depth=2
	s_mov_b32 s11, -1
	s_mov_b32 s27, exec_lo
                                        ; implicit-def: $sgpr25
	v_cmpx_eq_u16_e64 0x80, v150
; %bb.1302:                             ;   in Loop: Header=BB4_142 Depth=2
	s_mov_b32 s25, 0x7f800001
	s_xor_b32 s11, exec_lo, -1
; %bb.1303:                             ;   in Loop: Header=BB4_142 Depth=2
	s_or_b32 exec_lo, exec_lo, s27
	s_delay_alu instid0(SALU_CYCLE_1)
	s_and_b32 s11, s11, exec_lo
                                        ; implicit-def: $vgpr150
	s_or_saveexec_b32 s26, s26
	v_mov_b32_e32 v146, s25
	s_xor_b32 exec_lo, exec_lo, s26
	s_cbranch_execz .LBB4_793
.LBB4_1304:                             ;   in Loop: Header=BB4_142 Depth=2
	v_cmp_ne_u16_e64 vcc_lo, 0, v150
	v_mov_b32_e32 v146, 0
	s_and_not1_b32 s11, s11, exec_lo
	s_delay_alu instid0(VALU_DEP_2) | instskip(NEXT) | instid1(SALU_CYCLE_1)
	s_and_b32 s25, vcc_lo, exec_lo
	s_or_b32 s11, s11, s25
	s_or_b32 exec_lo, exec_lo, s26
	s_and_saveexec_b32 s25, s11
	s_cbranch_execnz .LBB4_794
	s_branch .LBB4_795
.LBB4_1305:                             ;   in Loop: Header=BB4_142 Depth=2
	s_mov_b32 s11, -1
	s_mov_b32 s27, exec_lo
                                        ; implicit-def: $sgpr25
	v_cmpx_eq_u16_e64 0x80, v150
; %bb.1306:                             ;   in Loop: Header=BB4_142 Depth=2
	s_mov_b32 s25, 0x7f800001
	s_xor_b32 s11, exec_lo, -1
; %bb.1307:                             ;   in Loop: Header=BB4_142 Depth=2
	s_or_b32 exec_lo, exec_lo, s27
	s_delay_alu instid0(SALU_CYCLE_1)
	s_and_b32 s11, s11, exec_lo
                                        ; implicit-def: $vgpr150
	s_or_saveexec_b32 s26, s26
	v_mov_b32_e32 v133, s25
	s_xor_b32 exec_lo, exec_lo, s26
	s_cbranch_execz .LBB4_797
.LBB4_1308:                             ;   in Loop: Header=BB4_142 Depth=2
	v_cmp_ne_u16_e64 vcc_lo, 0, v150
	v_mov_b32_e32 v133, 0
	s_and_not1_b32 s11, s11, exec_lo
	s_delay_alu instid0(VALU_DEP_2) | instskip(NEXT) | instid1(SALU_CYCLE_1)
	s_and_b32 s25, vcc_lo, exec_lo
	s_or_b32 s11, s11, s25
	s_or_b32 exec_lo, exec_lo, s26
	s_and_saveexec_b32 s25, s11
	s_cbranch_execnz .LBB4_798
	s_branch .LBB4_799
.LBB4_1309:                             ;   in Loop: Header=BB4_142 Depth=2
	s_mov_b32 s11, -1
	s_mov_b32 s27, exec_lo
                                        ; implicit-def: $sgpr25
	v_cmpx_eq_u16_e64 0x80, v150
; %bb.1310:                             ;   in Loop: Header=BB4_142 Depth=2
	s_mov_b32 s25, 0x7f800001
	s_xor_b32 s11, exec_lo, -1
; %bb.1311:                             ;   in Loop: Header=BB4_142 Depth=2
	s_or_b32 exec_lo, exec_lo, s27
	s_delay_alu instid0(SALU_CYCLE_1)
	s_and_b32 s11, s11, exec_lo
                                        ; implicit-def: $vgpr150
	s_or_saveexec_b32 s26, s26
	v_mov_b32_e32 v146, s25
	s_xor_b32 exec_lo, exec_lo, s26
	s_cbranch_execz .LBB4_809
.LBB4_1312:                             ;   in Loop: Header=BB4_142 Depth=2
	v_cmp_ne_u16_e64 vcc_lo, 0, v150
	v_mov_b32_e32 v146, 0
	s_and_not1_b32 s11, s11, exec_lo
	s_delay_alu instid0(VALU_DEP_2) | instskip(NEXT) | instid1(SALU_CYCLE_1)
	s_and_b32 s25, vcc_lo, exec_lo
	s_or_b32 s11, s11, s25
	s_or_b32 exec_lo, exec_lo, s26
	s_and_saveexec_b32 s25, s11
	s_cbranch_execnz .LBB4_810
	s_branch .LBB4_811
.LBB4_1313:                             ;   in Loop: Header=BB4_142 Depth=2
	s_mov_b32 s11, -1
	s_mov_b32 s27, exec_lo
                                        ; implicit-def: $sgpr25
	v_cmpx_eq_u16_e64 0x80, v130
; %bb.1314:                             ;   in Loop: Header=BB4_142 Depth=2
	s_mov_b32 s25, 0x7f800001
	s_xor_b32 s11, exec_lo, -1
; %bb.1315:                             ;   in Loop: Header=BB4_142 Depth=2
	s_or_b32 exec_lo, exec_lo, s27
	s_delay_alu instid0(SALU_CYCLE_1)
	s_and_b32 s11, s11, exec_lo
	s_or_saveexec_b32 s26, s26
	v_mov_b32_e32 v150, s25
	s_xor_b32 exec_lo, exec_lo, s26
	s_cbranch_execz .LBB4_813
.LBB4_1316:                             ;   in Loop: Header=BB4_142 Depth=2
	v_cmp_ne_u16_e64 vcc_lo, 0, v130
	v_mov_b32_e32 v150, 0
	s_and_not1_b32 s11, s11, exec_lo
	s_delay_alu instid0(VALU_DEP_2) | instskip(NEXT) | instid1(SALU_CYCLE_1)
	s_and_b32 s25, vcc_lo, exec_lo
	s_or_b32 s11, s11, s25
	s_or_b32 exec_lo, exec_lo, s26
	s_and_saveexec_b32 s25, s11
	s_cbranch_execnz .LBB4_814
	s_branch .LBB4_815
.LBB4_1317:                             ;   in Loop: Header=BB4_142 Depth=2
	s_mov_b32 s11, -1
	s_mov_b32 s27, exec_lo
                                        ; implicit-def: $sgpr25
	v_cmpx_eq_u16_e64 0x80, v150
; %bb.1318:                             ;   in Loop: Header=BB4_142 Depth=2
	s_mov_b32 s25, 0x7f800001
	s_xor_b32 s11, exec_lo, -1
; %bb.1319:                             ;   in Loop: Header=BB4_142 Depth=2
	s_or_b32 exec_lo, exec_lo, s27
	s_delay_alu instid0(SALU_CYCLE_1)
	s_and_b32 s11, s11, exec_lo
                                        ; implicit-def: $vgpr150
	s_or_saveexec_b32 s26, s26
	v_mov_b32_e32 v146, s25
	s_xor_b32 exec_lo, exec_lo, s26
	s_cbranch_execz .LBB4_825
.LBB4_1320:                             ;   in Loop: Header=BB4_142 Depth=2
	v_cmp_ne_u16_e64 vcc_lo, 0, v150
	v_mov_b32_e32 v146, 0
	s_and_not1_b32 s11, s11, exec_lo
	s_delay_alu instid0(VALU_DEP_2) | instskip(NEXT) | instid1(SALU_CYCLE_1)
	s_and_b32 s25, vcc_lo, exec_lo
	s_or_b32 s11, s11, s25
	s_or_b32 exec_lo, exec_lo, s26
	s_and_saveexec_b32 s25, s11
	s_cbranch_execnz .LBB4_826
	s_branch .LBB4_827
.LBB4_1321:                             ;   in Loop: Header=BB4_142 Depth=2
	s_mov_b32 s11, -1
	s_mov_b32 s27, exec_lo
                                        ; implicit-def: $sgpr25
	v_cmpx_eq_u16_e64 0x80, v160
; %bb.1322:                             ;   in Loop: Header=BB4_142 Depth=2
	s_mov_b32 s25, 0x7f800001
	s_xor_b32 s11, exec_lo, -1
; %bb.1323:                             ;   in Loop: Header=BB4_142 Depth=2
	s_or_b32 exec_lo, exec_lo, s27
	s_delay_alu instid0(SALU_CYCLE_1)
	s_and_b32 s11, s11, exec_lo
                                        ; implicit-def: $vgpr160
	s_or_saveexec_b32 s26, s26
	v_mov_b32_e32 v150, s25
	s_xor_b32 exec_lo, exec_lo, s26
	s_cbranch_execz .LBB4_829
.LBB4_1324:                             ;   in Loop: Header=BB4_142 Depth=2
	v_cmp_ne_u16_e64 vcc_lo, 0, v160
	v_mov_b32_e32 v150, 0
	s_and_not1_b32 s11, s11, exec_lo
	s_delay_alu instid0(VALU_DEP_2) | instskip(NEXT) | instid1(SALU_CYCLE_1)
	s_and_b32 s25, vcc_lo, exec_lo
	s_or_b32 s11, s11, s25
	s_or_b32 exec_lo, exec_lo, s26
	s_and_saveexec_b32 s25, s11
	s_cbranch_execnz .LBB4_830
	s_branch .LBB4_831
.LBB4_1325:                             ;   in Loop: Header=BB4_142 Depth=2
	s_mov_b32 s11, -1
	s_mov_b32 s27, exec_lo
                                        ; implicit-def: $sgpr25
	v_cmpx_eq_u16_e64 0x80, v150
; %bb.1326:                             ;   in Loop: Header=BB4_142 Depth=2
	s_mov_b32 s25, 0x7f800001
	s_xor_b32 s11, exec_lo, -1
; %bb.1327:                             ;   in Loop: Header=BB4_142 Depth=2
	s_or_b32 exec_lo, exec_lo, s27
	s_delay_alu instid0(SALU_CYCLE_1)
	s_and_b32 s11, s11, exec_lo
	s_or_saveexec_b32 s26, s26
	v_mov_b32_e32 v146, s25
	s_xor_b32 exec_lo, exec_lo, s26
	s_cbranch_execz .LBB4_841
.LBB4_1328:                             ;   in Loop: Header=BB4_142 Depth=2
	v_cmp_ne_u16_e64 vcc_lo, 0, v150
	v_mov_b32_e32 v146, 0
	s_and_not1_b32 s11, s11, exec_lo
	s_delay_alu instid0(VALU_DEP_2) | instskip(NEXT) | instid1(SALU_CYCLE_1)
	s_and_b32 s25, vcc_lo, exec_lo
	s_or_b32 s11, s11, s25
	s_or_b32 exec_lo, exec_lo, s26
	s_and_saveexec_b32 s25, s11
	s_cbranch_execnz .LBB4_842
	s_branch .LBB4_843
.LBB4_1329:                             ;   in Loop: Header=BB4_142 Depth=2
	s_mov_b32 s11, -1
	s_mov_b32 s27, exec_lo
                                        ; implicit-def: $sgpr25
	v_cmpx_eq_u16_e32 0x80, v119
; %bb.1330:                             ;   in Loop: Header=BB4_142 Depth=2
	s_mov_b32 s25, 0x7f800001
	s_xor_b32 s11, exec_lo, -1
; %bb.1331:                             ;   in Loop: Header=BB4_142 Depth=2
	s_or_b32 exec_lo, exec_lo, s27
	s_delay_alu instid0(SALU_CYCLE_1)
	s_and_b32 s11, s11, exec_lo
	s_or_saveexec_b32 s26, s26
	v_mov_b32_e32 v150, s25
	s_xor_b32 exec_lo, exec_lo, s26
	s_cbranch_execz .LBB4_845
.LBB4_1332:                             ;   in Loop: Header=BB4_142 Depth=2
	v_cmp_ne_u16_e32 vcc_lo, 0, v119
	v_mov_b32_e32 v150, 0
	s_and_not1_b32 s11, s11, exec_lo
	s_and_b32 s25, vcc_lo, exec_lo
	s_delay_alu instid0(SALU_CYCLE_1)
	s_or_b32 s11, s11, s25
	s_or_b32 exec_lo, exec_lo, s26
	s_and_saveexec_b32 s25, s11
	s_cbranch_execnz .LBB4_846
	s_branch .LBB4_847
.LBB4_1333:                             ;   in Loop: Header=BB4_142 Depth=2
	s_mov_b32 s11, -1
	s_mov_b32 s27, exec_lo
                                        ; implicit-def: $sgpr25
	v_cmpx_eq_u16_e32 0x80, v119
; %bb.1334:                             ;   in Loop: Header=BB4_142 Depth=2
	s_mov_b32 s25, 0x7f800001
	s_xor_b32 s11, exec_lo, -1
; %bb.1335:                             ;   in Loop: Header=BB4_142 Depth=2
	s_or_b32 exec_lo, exec_lo, s27
	s_delay_alu instid0(SALU_CYCLE_1)
	s_and_b32 s11, s11, exec_lo
                                        ; implicit-def: $vgpr119
	s_or_saveexec_b32 s26, s26
	v_mov_b32_e32 v118, s25
	s_xor_b32 exec_lo, exec_lo, s26
	s_cbranch_execz .LBB4_857
.LBB4_1336:                             ;   in Loop: Header=BB4_142 Depth=2
	v_cmp_ne_u16_e32 vcc_lo, 0, v119
	v_mov_b32_e32 v118, 0
	s_and_not1_b32 s11, s11, exec_lo
	s_and_b32 s25, vcc_lo, exec_lo
	s_delay_alu instid0(SALU_CYCLE_1)
	s_or_b32 s11, s11, s25
	s_or_b32 exec_lo, exec_lo, s26
	s_and_saveexec_b32 s25, s11
	s_cbranch_execnz .LBB4_858
	s_branch .LBB4_859
.LBB4_1337:                             ;   in Loop: Header=BB4_142 Depth=2
	s_mov_b32 s11, -1
	s_mov_b32 s27, exec_lo
                                        ; implicit-def: $sgpr25
	v_cmpx_eq_u16_e64 0x80, v146
; %bb.1338:                             ;   in Loop: Header=BB4_142 Depth=2
	s_mov_b32 s25, 0x7f800001
	s_xor_b32 s11, exec_lo, -1
; %bb.1339:                             ;   in Loop: Header=BB4_142 Depth=2
	s_or_b32 exec_lo, exec_lo, s27
	s_delay_alu instid0(SALU_CYCLE_1)
	s_and_b32 s11, s11, exec_lo
                                        ; implicit-def: $vgpr146
	s_or_saveexec_b32 s26, s26
	v_mov_b32_e32 v119, s25
	s_xor_b32 exec_lo, exec_lo, s26
	s_cbranch_execz .LBB4_861
.LBB4_1340:                             ;   in Loop: Header=BB4_142 Depth=2
	v_cmp_ne_u16_e64 vcc_lo, 0, v146
	v_mov_b32_e32 v119, 0
	s_and_not1_b32 s11, s11, exec_lo
	s_delay_alu instid0(VALU_DEP_2) | instskip(NEXT) | instid1(SALU_CYCLE_1)
	s_and_b32 s25, vcc_lo, exec_lo
	s_or_b32 s11, s11, s25
	s_or_b32 exec_lo, exec_lo, s26
	s_and_saveexec_b32 s25, s11
	s_cbranch_execnz .LBB4_862
	s_branch .LBB4_863
.LBB4_1341:                             ;   in Loop: Header=BB4_142 Depth=2
	s_mov_b32 s11, -1
	s_mov_b32 s27, exec_lo
                                        ; implicit-def: $sgpr25
	v_cmpx_eq_u16_e64 0x80, v146
; %bb.1342:                             ;   in Loop: Header=BB4_142 Depth=2
	s_mov_b32 s25, 0x7f800001
	s_xor_b32 s11, exec_lo, -1
; %bb.1343:                             ;   in Loop: Header=BB4_142 Depth=2
	s_or_b32 exec_lo, exec_lo, s27
	s_delay_alu instid0(SALU_CYCLE_1)
	s_and_b32 s11, s11, exec_lo
	s_or_saveexec_b32 s26, s26
	v_mov_b32_e32 v119, s25
	s_xor_b32 exec_lo, exec_lo, s26
	s_cbranch_execz .LBB4_873
.LBB4_1344:                             ;   in Loop: Header=BB4_142 Depth=2
	v_cmp_ne_u16_e64 vcc_lo, 0, v146
	v_mov_b32_e32 v119, 0
	s_and_not1_b32 s11, s11, exec_lo
	s_delay_alu instid0(VALU_DEP_2) | instskip(NEXT) | instid1(SALU_CYCLE_1)
	s_and_b32 s25, vcc_lo, exec_lo
	s_or_b32 s11, s11, s25
	s_or_b32 exec_lo, exec_lo, s26
	s_and_saveexec_b32 s25, s11
	s_cbranch_execnz .LBB4_874
	s_branch .LBB4_875
.LBB4_1345:                             ;   in Loop: Header=BB4_142 Depth=2
	s_mov_b32 s11, -1
	s_mov_b32 s27, exec_lo
                                        ; implicit-def: $sgpr25
	v_cmpx_eq_u16_e64 0x80, v146
; %bb.1346:                             ;   in Loop: Header=BB4_142 Depth=2
	s_mov_b32 s25, 0x7f800001
	s_xor_b32 s11, exec_lo, -1
; %bb.1347:                             ;   in Loop: Header=BB4_142 Depth=2
	s_or_b32 exec_lo, exec_lo, s27
	s_delay_alu instid0(SALU_CYCLE_1)
	s_and_b32 s11, s11, exec_lo
	s_or_saveexec_b32 s26, s26
	v_mov_b32_e32 v150, s25
	s_xor_b32 exec_lo, exec_lo, s26
	s_cbranch_execz .LBB4_877
.LBB4_1348:                             ;   in Loop: Header=BB4_142 Depth=2
	v_cmp_ne_u16_e64 vcc_lo, 0, v146
	v_mov_b32_e32 v150, 0
	s_and_not1_b32 s11, s11, exec_lo
	s_delay_alu instid0(VALU_DEP_2) | instskip(NEXT) | instid1(SALU_CYCLE_1)
	s_and_b32 s25, vcc_lo, exec_lo
	s_or_b32 s11, s11, s25
	s_or_b32 exec_lo, exec_lo, s26
	s_and_saveexec_b32 s25, s11
	s_cbranch_execnz .LBB4_878
	s_branch .LBB4_879
.LBB4_1349:                             ;   in Loop: Header=BB4_142 Depth=2
	s_mov_b32 s11, -1
	s_mov_b32 s27, exec_lo
                                        ; implicit-def: $sgpr25
	v_cmpx_eq_u16_e64 0x80, v146
; %bb.1350:                             ;   in Loop: Header=BB4_142 Depth=2
	s_mov_b32 s25, 0x7f800001
	s_xor_b32 s11, exec_lo, -1
; %bb.1351:                             ;   in Loop: Header=BB4_142 Depth=2
	s_or_b32 exec_lo, exec_lo, s27
	s_delay_alu instid0(SALU_CYCLE_1)
	s_and_b32 s11, s11, exec_lo
                                        ; implicit-def: $vgpr146
	s_or_saveexec_b32 s26, s26
	v_mov_b32_e32 v117, s25
	s_xor_b32 exec_lo, exec_lo, s26
	s_cbranch_execz .LBB4_889
.LBB4_1352:                             ;   in Loop: Header=BB4_142 Depth=2
	v_cmp_ne_u16_e64 vcc_lo, 0, v146
	v_mov_b32_e32 v117, 0
	s_and_not1_b32 s11, s11, exec_lo
	s_delay_alu instid0(VALU_DEP_2) | instskip(NEXT) | instid1(SALU_CYCLE_1)
	s_and_b32 s25, vcc_lo, exec_lo
	s_or_b32 s11, s11, s25
	s_or_b32 exec_lo, exec_lo, s26
	v_lshl_or_b32 v128, v128, 16, v132
	s_and_saveexec_b32 s25, s11
	s_cbranch_execnz .LBB4_890
	s_branch .LBB4_891
.LBB4_1353:                             ;   in Loop: Header=BB4_142 Depth=2
	s_mov_b32 s11, -1
	s_mov_b32 s27, exec_lo
                                        ; implicit-def: $sgpr25
	v_cmpx_eq_u16_e64 0x80, v150
; %bb.1354:                             ;   in Loop: Header=BB4_142 Depth=2
	s_mov_b32 s25, 0x7f800001
	s_xor_b32 s11, exec_lo, -1
; %bb.1355:                             ;   in Loop: Header=BB4_142 Depth=2
	s_or_b32 exec_lo, exec_lo, s27
	s_delay_alu instid0(SALU_CYCLE_1)
	s_and_b32 s11, s11, exec_lo
                                        ; implicit-def: $vgpr150
	s_or_saveexec_b32 s26, s26
	v_mov_b32_e32 v146, s25
	s_xor_b32 exec_lo, exec_lo, s26
	s_cbranch_execz .LBB4_893
.LBB4_1356:                             ;   in Loop: Header=BB4_142 Depth=2
	v_cmp_ne_u16_e64 vcc_lo, 0, v150
	v_mov_b32_e32 v146, 0
	s_and_not1_b32 s11, s11, exec_lo
	s_delay_alu instid0(VALU_DEP_2) | instskip(NEXT) | instid1(SALU_CYCLE_1)
	s_and_b32 s25, vcc_lo, exec_lo
	s_or_b32 s11, s11, s25
	s_or_b32 exec_lo, exec_lo, s26
	s_and_saveexec_b32 s25, s11
	s_cbranch_execnz .LBB4_894
	s_branch .LBB4_895
.LBB4_1357:                             ;   in Loop: Header=BB4_142 Depth=2
	s_mov_b32 s11, -1
	s_mov_b32 s27, exec_lo
                                        ; implicit-def: $sgpr25
	v_cmpx_eq_u16_e64 0x80, v146
; %bb.1358:                             ;   in Loop: Header=BB4_142 Depth=2
	s_mov_b32 s25, 0x7f800001
	s_xor_b32 s11, exec_lo, -1
; %bb.1359:                             ;   in Loop: Header=BB4_142 Depth=2
	s_or_b32 exec_lo, exec_lo, s27
	s_delay_alu instid0(SALU_CYCLE_1)
	s_and_b32 s11, s11, exec_lo
	s_or_saveexec_b32 s26, s26
	v_mov_b32_e32 v132, s25
	s_xor_b32 exec_lo, exec_lo, s26
	s_cbranch_execz .LBB4_905
.LBB4_1360:                             ;   in Loop: Header=BB4_142 Depth=2
	v_cmp_ne_u16_e64 vcc_lo, 0, v146
	v_mov_b32_e32 v132, 0
	s_and_not1_b32 s11, s11, exec_lo
	s_delay_alu instid0(VALU_DEP_2) | instskip(NEXT) | instid1(SALU_CYCLE_1)
	s_and_b32 s25, vcc_lo, exec_lo
	s_or_b32 s11, s11, s25
	s_or_b32 exec_lo, exec_lo, s26
	s_and_saveexec_b32 s25, s11
	s_cbranch_execnz .LBB4_906
	s_branch .LBB4_907
.LBB4_1361:                             ;   in Loop: Header=BB4_142 Depth=2
	s_mov_b32 s11, -1
	s_mov_b32 s27, exec_lo
                                        ; implicit-def: $sgpr25
	v_cmpx_eq_u16_e64 0x80, v128
; %bb.1362:                             ;   in Loop: Header=BB4_142 Depth=2
	s_mov_b32 s25, 0x7f800001
	s_xor_b32 s11, exec_lo, -1
; %bb.1363:                             ;   in Loop: Header=BB4_142 Depth=2
	s_or_b32 exec_lo, exec_lo, s27
	s_delay_alu instid0(SALU_CYCLE_1)
	s_and_b32 s11, s11, exec_lo
	s_or_saveexec_b32 s26, s26
	v_mov_b32_e32 v146, s25
	s_xor_b32 exec_lo, exec_lo, s26
	s_cbranch_execz .LBB4_909
.LBB4_1364:                             ;   in Loop: Header=BB4_142 Depth=2
	v_cmp_ne_u16_e64 vcc_lo, 0, v128
	v_mov_b32_e32 v146, 0
	s_and_not1_b32 s11, s11, exec_lo
	s_delay_alu instid0(VALU_DEP_2) | instskip(NEXT) | instid1(SALU_CYCLE_1)
	s_and_b32 s25, vcc_lo, exec_lo
	s_or_b32 s11, s11, s25
	s_or_b32 exec_lo, exec_lo, s26
	s_and_saveexec_b32 s25, s11
	s_cbranch_execnz .LBB4_910
	s_branch .LBB4_911
.LBB4_1365:                             ;   in Loop: Header=BB4_142 Depth=2
	s_mov_b32 s11, -1
	s_mov_b32 s27, exec_lo
                                        ; implicit-def: $sgpr25
	v_cmpx_eq_u16_e64 0x80, v132
; %bb.1366:                             ;   in Loop: Header=BB4_142 Depth=2
	s_mov_b32 s25, 0x7f800001
	s_xor_b32 s11, exec_lo, -1
; %bb.1367:                             ;   in Loop: Header=BB4_142 Depth=2
	s_or_b32 exec_lo, exec_lo, s27
	s_delay_alu instid0(SALU_CYCLE_1)
	s_and_b32 s11, s11, exec_lo
                                        ; implicit-def: $vgpr132
	s_or_saveexec_b32 s26, s26
	v_mov_b32_e32 v128, s25
	s_xor_b32 exec_lo, exec_lo, s26
	s_cbranch_execz .LBB4_921
.LBB4_1368:                             ;   in Loop: Header=BB4_142 Depth=2
	v_cmp_ne_u16_e64 vcc_lo, 0, v132
	v_mov_b32_e32 v128, 0
	s_and_not1_b32 s11, s11, exec_lo
	s_delay_alu instid0(VALU_DEP_2) | instskip(NEXT) | instid1(SALU_CYCLE_1)
	s_and_b32 s25, vcc_lo, exec_lo
	s_or_b32 s11, s11, s25
	s_or_b32 exec_lo, exec_lo, s26
	s_and_saveexec_b32 s25, s11
	s_cbranch_execnz .LBB4_922
	s_branch .LBB4_923
.LBB4_1369:                             ;   in Loop: Header=BB4_142 Depth=2
	s_mov_b32 s11, -1
	s_mov_b32 s27, exec_lo
                                        ; implicit-def: $sgpr25
	v_cmpx_eq_u16_e64 0x80, v132
; %bb.1370:                             ;   in Loop: Header=BB4_142 Depth=2
	s_mov_b32 s25, 0x7f800001
	s_xor_b32 s11, exec_lo, -1
; %bb.1371:                             ;   in Loop: Header=BB4_142 Depth=2
	s_or_b32 exec_lo, exec_lo, s27
	s_delay_alu instid0(SALU_CYCLE_1)
	s_and_b32 s11, s11, exec_lo
                                        ; implicit-def: $vgpr132
	s_or_saveexec_b32 s26, s26
	v_mov_b32_e32 v115, s25
	s_xor_b32 exec_lo, exec_lo, s26
	s_cbranch_execz .LBB4_925
.LBB4_1372:                             ;   in Loop: Header=BB4_142 Depth=2
	v_cmp_ne_u16_e64 vcc_lo, 0, v132
	v_mov_b32_e32 v115, 0
	s_and_not1_b32 s11, s11, exec_lo
	s_delay_alu instid0(VALU_DEP_2) | instskip(NEXT) | instid1(SALU_CYCLE_1)
	s_and_b32 s25, vcc_lo, exec_lo
	s_or_b32 s11, s11, s25
	s_or_b32 exec_lo, exec_lo, s26
	s_and_saveexec_b32 s25, s11
	s_cbranch_execnz .LBB4_926
	s_branch .LBB4_927
.LBB4_1373:                             ;   in Loop: Header=BB4_142 Depth=2
	s_mov_b32 s11, -1
	s_mov_b32 s27, exec_lo
                                        ; implicit-def: $sgpr25
	v_cmpx_eq_u16_e64 0x80, v132
; %bb.1374:                             ;   in Loop: Header=BB4_142 Depth=2
	s_mov_b32 s25, 0x7f800001
	s_xor_b32 s11, exec_lo, -1
; %bb.1375:                             ;   in Loop: Header=BB4_142 Depth=2
	s_or_b32 exec_lo, exec_lo, s27
	s_delay_alu instid0(SALU_CYCLE_1)
	s_and_b32 s11, s11, exec_lo
                                        ; implicit-def: $vgpr132
	s_or_saveexec_b32 s26, s26
	v_mov_b32_e32 v128, s25
	s_xor_b32 exec_lo, exec_lo, s26
	s_cbranch_execz .LBB4_937
.LBB4_1376:                             ;   in Loop: Header=BB4_142 Depth=2
	v_cmp_ne_u16_e64 vcc_lo, 0, v132
	v_mov_b32_e32 v128, 0
	s_and_not1_b32 s11, s11, exec_lo
	s_delay_alu instid0(VALU_DEP_2) | instskip(NEXT) | instid1(SALU_CYCLE_1)
	s_and_b32 s25, vcc_lo, exec_lo
	s_or_b32 s11, s11, s25
	s_or_b32 exec_lo, exec_lo, s26
	s_and_saveexec_b32 s25, s11
	s_cbranch_execnz .LBB4_938
	s_branch .LBB4_939
.LBB4_1377:                             ;   in Loop: Header=BB4_142 Depth=2
	s_mov_b32 s11, -1
	s_mov_b32 s27, exec_lo
                                        ; implicit-def: $sgpr25
	v_cmpx_eq_u16_e32 0x80, v113
; %bb.1378:                             ;   in Loop: Header=BB4_142 Depth=2
	s_mov_b32 s25, 0x7f800001
	s_xor_b32 s11, exec_lo, -1
; %bb.1379:                             ;   in Loop: Header=BB4_142 Depth=2
	s_or_b32 exec_lo, exec_lo, s27
	s_delay_alu instid0(SALU_CYCLE_1)
	s_and_b32 s11, s11, exec_lo
	s_or_saveexec_b32 s26, s26
	v_mov_b32_e32 v132, s25
	s_xor_b32 exec_lo, exec_lo, s26
	s_cbranch_execz .LBB4_941
.LBB4_1380:                             ;   in Loop: Header=BB4_142 Depth=2
	v_cmp_ne_u16_e32 vcc_lo, 0, v113
	v_mov_b32_e32 v132, 0
	s_and_not1_b32 s11, s11, exec_lo
	s_and_b32 s25, vcc_lo, exec_lo
	s_delay_alu instid0(SALU_CYCLE_1)
	s_or_b32 s11, s11, s25
	s_or_b32 exec_lo, exec_lo, s26
	s_and_saveexec_b32 s25, s11
	s_cbranch_execnz .LBB4_942
	s_branch .LBB4_943
.LBB4_1381:                             ;   in Loop: Header=BB4_142 Depth=2
	s_mov_b32 s11, -1
	s_mov_b32 s27, exec_lo
                                        ; implicit-def: $sgpr25
	v_cmpx_eq_u16_e64 0x80, v132
; %bb.1382:                             ;   in Loop: Header=BB4_142 Depth=2
	s_mov_b32 s25, 0x7f800001
	s_xor_b32 s11, exec_lo, -1
; %bb.1383:                             ;   in Loop: Header=BB4_142 Depth=2
	s_or_b32 exec_lo, exec_lo, s27
	s_delay_alu instid0(SALU_CYCLE_1)
	s_and_b32 s11, s11, exec_lo
                                        ; implicit-def: $vgpr132
	s_or_saveexec_b32 s26, s26
	v_mov_b32_e32 v128, s25
	s_xor_b32 exec_lo, exec_lo, s26
	s_cbranch_execz .LBB4_953
.LBB4_1384:                             ;   in Loop: Header=BB4_142 Depth=2
	v_cmp_ne_u16_e64 vcc_lo, 0, v132
	v_mov_b32_e32 v128, 0
	s_and_not1_b32 s11, s11, exec_lo
	s_delay_alu instid0(VALU_DEP_2) | instskip(NEXT) | instid1(SALU_CYCLE_1)
	s_and_b32 s25, vcc_lo, exec_lo
	s_or_b32 s11, s11, s25
	s_or_b32 exec_lo, exec_lo, s26
	s_and_saveexec_b32 s25, s11
	s_cbranch_execnz .LBB4_954
	s_branch .LBB4_955
.LBB4_1385:                             ;   in Loop: Header=BB4_142 Depth=2
	s_mov_b32 s11, -1
	s_mov_b32 s27, exec_lo
                                        ; implicit-def: $sgpr25
	v_cmpx_eq_u16_e64 0x80, v146
; %bb.1386:                             ;   in Loop: Header=BB4_142 Depth=2
	s_mov_b32 s25, 0x7f800001
	s_xor_b32 s11, exec_lo, -1
; %bb.1387:                             ;   in Loop: Header=BB4_142 Depth=2
	s_or_b32 exec_lo, exec_lo, s27
	s_delay_alu instid0(SALU_CYCLE_1)
	s_and_b32 s11, s11, exec_lo
                                        ; implicit-def: $vgpr146
	s_or_saveexec_b32 s26, s26
	v_mov_b32_e32 v132, s25
	s_xor_b32 exec_lo, exec_lo, s26
	s_cbranch_execz .LBB4_957
.LBB4_1388:                             ;   in Loop: Header=BB4_142 Depth=2
	v_cmp_ne_u16_e64 vcc_lo, 0, v146
	v_mov_b32_e32 v132, 0
	s_and_not1_b32 s11, s11, exec_lo
	s_delay_alu instid0(VALU_DEP_2) | instskip(NEXT) | instid1(SALU_CYCLE_1)
	s_and_b32 s25, vcc_lo, exec_lo
	s_or_b32 s11, s11, s25
	s_or_b32 exec_lo, exec_lo, s26
	s_and_saveexec_b32 s25, s11
	s_cbranch_execnz .LBB4_958
	s_branch .LBB4_959
.LBB4_1389:                             ;   in Loop: Header=BB4_142 Depth=2
	s_mov_b32 s11, -1
	s_mov_b32 s27, exec_lo
                                        ; implicit-def: $sgpr25
	v_cmpx_eq_u16_e64 0x80, v132
; %bb.1390:                             ;   in Loop: Header=BB4_142 Depth=2
	s_mov_b32 s25, 0x7f800001
	s_xor_b32 s11, exec_lo, -1
; %bb.1391:                             ;   in Loop: Header=BB4_142 Depth=2
	s_or_b32 exec_lo, exec_lo, s27
	s_delay_alu instid0(SALU_CYCLE_1)
	s_and_b32 s11, s11, exec_lo
	s_or_saveexec_b32 s26, s26
	v_mov_b32_e32 v128, s25
	s_xor_b32 exec_lo, exec_lo, s26
	s_cbranch_execz .LBB4_969
.LBB4_1392:                             ;   in Loop: Header=BB4_142 Depth=2
	v_cmp_ne_u16_e64 vcc_lo, 0, v132
	v_mov_b32_e32 v128, 0
	s_and_not1_b32 s11, s11, exec_lo
	s_delay_alu instid0(VALU_DEP_2) | instskip(NEXT) | instid1(SALU_CYCLE_1)
	s_and_b32 s25, vcc_lo, exec_lo
	s_or_b32 s11, s11, s25
	s_or_b32 exec_lo, exec_lo, s26
	s_and_saveexec_b32 s25, s11
	s_cbranch_execnz .LBB4_970
	s_branch .LBB4_971
.LBB4_1393:                             ;   in Loop: Header=BB4_142 Depth=2
	s_mov_b32 s11, -1
	s_mov_b32 s27, exec_lo
                                        ; implicit-def: $sgpr25
	v_cmpx_eq_u16_e32 0x80, v101
; %bb.1394:                             ;   in Loop: Header=BB4_142 Depth=2
	s_mov_b32 s25, 0x7f800001
	s_xor_b32 s11, exec_lo, -1
; %bb.1395:                             ;   in Loop: Header=BB4_142 Depth=2
	s_or_b32 exec_lo, exec_lo, s27
	s_delay_alu instid0(SALU_CYCLE_1)
	s_and_b32 s11, s11, exec_lo
	s_or_saveexec_b32 s26, s26
	v_mov_b32_e32 v132, s25
	s_xor_b32 exec_lo, exec_lo, s26
	s_cbranch_execz .LBB4_973
.LBB4_1396:                             ;   in Loop: Header=BB4_142 Depth=2
	v_cmp_ne_u16_e32 vcc_lo, 0, v101
	v_mov_b32_e32 v132, 0
	s_and_not1_b32 s11, s11, exec_lo
	s_and_b32 s25, vcc_lo, exec_lo
	s_delay_alu instid0(SALU_CYCLE_1)
	s_or_b32 s11, s11, s25
	s_or_b32 exec_lo, exec_lo, s26
	s_and_saveexec_b32 s25, s11
	s_cbranch_execnz .LBB4_974
	s_branch .LBB4_975
.LBB4_1397:                             ;   in Loop: Header=BB4_142 Depth=2
	s_mov_b32 s11, -1
	s_mov_b32 s27, exec_lo
                                        ; implicit-def: $sgpr25
	v_cmpx_eq_u16_e32 0x80, v101
; %bb.1398:                             ;   in Loop: Header=BB4_142 Depth=2
	s_mov_b32 s25, 0x7f800001
	s_xor_b32 s11, exec_lo, -1
; %bb.1399:                             ;   in Loop: Header=BB4_142 Depth=2
	s_or_b32 exec_lo, exec_lo, s27
	s_delay_alu instid0(SALU_CYCLE_1)
	s_and_b32 s11, s11, exec_lo
                                        ; implicit-def: $vgpr101
	s_or_saveexec_b32 s26, s26
	v_mov_b32_e32 v100, s25
	s_xor_b32 exec_lo, exec_lo, s26
	s_cbranch_execz .LBB4_985
.LBB4_1400:                             ;   in Loop: Header=BB4_142 Depth=2
	v_cmp_ne_u16_e32 vcc_lo, 0, v101
	v_mov_b32_e32 v100, 0
	s_and_not1_b32 s11, s11, exec_lo
	s_and_b32 s25, vcc_lo, exec_lo
	s_delay_alu instid0(SALU_CYCLE_1)
	s_or_b32 s11, s11, s25
	s_or_b32 exec_lo, exec_lo, s26
	s_and_saveexec_b32 s25, s11
	s_cbranch_execnz .LBB4_986
	s_branch .LBB4_987
.LBB4_1401:                             ;   in Loop: Header=BB4_142 Depth=2
	s_mov_b32 s11, -1
	s_mov_b32 s27, exec_lo
                                        ; implicit-def: $sgpr25
	v_cmpx_eq_u16_e64 0x80, v128
; %bb.1402:                             ;   in Loop: Header=BB4_142 Depth=2
	s_mov_b32 s25, 0x7f800001
	s_xor_b32 s11, exec_lo, -1
; %bb.1403:                             ;   in Loop: Header=BB4_142 Depth=2
	s_or_b32 exec_lo, exec_lo, s27
	s_delay_alu instid0(SALU_CYCLE_1)
	s_and_b32 s11, s11, exec_lo
                                        ; implicit-def: $vgpr128
	s_or_saveexec_b32 s26, s26
	v_mov_b32_e32 v101, s25
	s_xor_b32 exec_lo, exec_lo, s26
	s_cbranch_execz .LBB4_989
.LBB4_1404:                             ;   in Loop: Header=BB4_142 Depth=2
	v_cmp_ne_u16_e64 vcc_lo, 0, v128
	v_mov_b32_e32 v101, 0
	s_and_not1_b32 s11, s11, exec_lo
	s_delay_alu instid0(VALU_DEP_2) | instskip(NEXT) | instid1(SALU_CYCLE_1)
	s_and_b32 s25, vcc_lo, exec_lo
	s_or_b32 s11, s11, s25
	s_or_b32 exec_lo, exec_lo, s26
	s_and_saveexec_b32 s25, s11
	s_cbranch_execnz .LBB4_990
	s_branch .LBB4_991
.LBB4_1405:                             ;   in Loop: Header=BB4_142 Depth=2
	s_mov_b32 s11, -1
	s_mov_b32 s27, exec_lo
                                        ; implicit-def: $sgpr25
	v_cmpx_eq_u16_e64 0x80, v128
; %bb.1406:                             ;   in Loop: Header=BB4_142 Depth=2
	s_mov_b32 s25, 0x7f800001
	s_xor_b32 s11, exec_lo, -1
; %bb.1407:                             ;   in Loop: Header=BB4_142 Depth=2
	s_or_b32 exec_lo, exec_lo, s27
	s_delay_alu instid0(SALU_CYCLE_1)
	s_and_b32 s11, s11, exec_lo
	s_or_saveexec_b32 s26, s26
	v_mov_b32_e32 v101, s25
	s_xor_b32 exec_lo, exec_lo, s26
	s_cbranch_execz .LBB4_1001
.LBB4_1408:                             ;   in Loop: Header=BB4_142 Depth=2
	v_cmp_ne_u16_e64 vcc_lo, 0, v128
	v_mov_b32_e32 v101, 0
	s_and_not1_b32 s11, s11, exec_lo
	s_delay_alu instid0(VALU_DEP_2) | instskip(NEXT) | instid1(SALU_CYCLE_1)
	s_and_b32 s25, vcc_lo, exec_lo
	s_or_b32 s11, s11, s25
	s_or_b32 exec_lo, exec_lo, s26
	s_and_saveexec_b32 s25, s11
	s_cbranch_execnz .LBB4_1002
	s_branch .LBB4_1003
.LBB4_1409:                             ;   in Loop: Header=BB4_142 Depth=2
	s_mov_b32 s11, -1
	s_mov_b32 s27, exec_lo
                                        ; implicit-def: $sgpr25
	v_cmpx_eq_u16_e64 0x80, v128
; %bb.1410:                             ;   in Loop: Header=BB4_142 Depth=2
	s_mov_b32 s25, 0x7f800001
	s_xor_b32 s11, exec_lo, -1
; %bb.1411:                             ;   in Loop: Header=BB4_142 Depth=2
	s_or_b32 exec_lo, exec_lo, s27
	s_delay_alu instid0(SALU_CYCLE_1)
	s_and_b32 s11, s11, exec_lo
	s_or_saveexec_b32 s26, s26
	v_mov_b32_e32 v132, s25
	s_xor_b32 exec_lo, exec_lo, s26
	s_cbranch_execz .LBB4_1005
.LBB4_1412:                             ;   in Loop: Header=BB4_142 Depth=2
	v_cmp_ne_u16_e64 vcc_lo, 0, v128
	v_mov_b32_e32 v132, 0
	s_and_not1_b32 s11, s11, exec_lo
	s_delay_alu instid0(VALU_DEP_2) | instskip(NEXT) | instid1(SALU_CYCLE_1)
	s_and_b32 s25, vcc_lo, exec_lo
	s_or_b32 s11, s11, s25
	s_or_b32 exec_lo, exec_lo, s26
	s_and_saveexec_b32 s25, s11
	s_cbranch_execnz .LBB4_1006
	s_branch .LBB4_1007
.LBB4_1413:                             ;   in Loop: Header=BB4_142 Depth=2
	s_mov_b32 s11, -1
	s_mov_b32 s27, exec_lo
                                        ; implicit-def: $sgpr25
	v_cmpx_eq_u16_e64 0x80, v128
; %bb.1414:                             ;   in Loop: Header=BB4_142 Depth=2
	s_mov_b32 s25, 0x7f800001
	s_xor_b32 s11, exec_lo, -1
; %bb.1415:                             ;   in Loop: Header=BB4_142 Depth=2
	s_or_b32 exec_lo, exec_lo, s27
	s_delay_alu instid0(SALU_CYCLE_1)
	s_and_b32 s11, s11, exec_lo
                                        ; implicit-def: $vgpr128
	s_or_saveexec_b32 s26, s26
	v_mov_b32_e32 v99, s25
	s_xor_b32 exec_lo, exec_lo, s26
	s_cbranch_execz .LBB4_1017
.LBB4_1416:                             ;   in Loop: Header=BB4_142 Depth=2
	v_cmp_ne_u16_e64 vcc_lo, 0, v128
	v_mov_b32_e32 v99, 0
	s_and_not1_b32 s11, s11, exec_lo
	s_delay_alu instid0(VALU_DEP_2) | instskip(NEXT) | instid1(SALU_CYCLE_1)
	s_and_b32 s25, vcc_lo, exec_lo
	s_or_b32 s11, s11, s25
	s_or_b32 exec_lo, exec_lo, s26
	v_lshl_or_b32 v103, v103, 16, v114
	s_and_saveexec_b32 s25, s11
	s_cbranch_execnz .LBB4_1018
	s_branch .LBB4_1019
.LBB4_1417:                             ;   in Loop: Header=BB4_142 Depth=2
	s_mov_b32 s11, -1
	s_mov_b32 s27, exec_lo
                                        ; implicit-def: $sgpr25
	v_cmpx_eq_u16_e64 0x80, v132
; %bb.1418:                             ;   in Loop: Header=BB4_142 Depth=2
	s_mov_b32 s25, 0x7f800001
	s_xor_b32 s11, exec_lo, -1
; %bb.1419:                             ;   in Loop: Header=BB4_142 Depth=2
	s_or_b32 exec_lo, exec_lo, s27
	s_delay_alu instid0(SALU_CYCLE_1)
	s_and_b32 s11, s11, exec_lo
                                        ; implicit-def: $vgpr132
	s_or_saveexec_b32 s26, s26
	v_mov_b32_e32 v128, s25
	s_xor_b32 exec_lo, exec_lo, s26
	s_cbranch_execz .LBB4_1021
.LBB4_1420:                             ;   in Loop: Header=BB4_142 Depth=2
	v_cmp_ne_u16_e64 vcc_lo, 0, v132
	v_mov_b32_e32 v128, 0
	s_and_not1_b32 s11, s11, exec_lo
	s_delay_alu instid0(VALU_DEP_2) | instskip(NEXT) | instid1(SALU_CYCLE_1)
	s_and_b32 s25, vcc_lo, exec_lo
	s_or_b32 s11, s11, s25
	s_or_b32 exec_lo, exec_lo, s26
	s_and_saveexec_b32 s25, s11
	s_cbranch_execnz .LBB4_1022
	s_branch .LBB4_1023
.LBB4_1421:                             ;   in Loop: Header=BB4_142 Depth=2
	s_mov_b32 s11, -1
	s_mov_b32 s27, exec_lo
                                        ; implicit-def: $sgpr25
	v_cmpx_eq_u16_e64 0x80, v128
; %bb.1422:                             ;   in Loop: Header=BB4_142 Depth=2
	s_mov_b32 s25, 0x7f800001
	s_xor_b32 s11, exec_lo, -1
; %bb.1423:                             ;   in Loop: Header=BB4_142 Depth=2
	s_or_b32 exec_lo, exec_lo, s27
	s_delay_alu instid0(SALU_CYCLE_1)
	s_and_b32 s11, s11, exec_lo
	s_or_saveexec_b32 s26, s26
	v_mov_b32_e32 v114, s25
	s_xor_b32 exec_lo, exec_lo, s26
	s_cbranch_execz .LBB4_1033
.LBB4_1424:                             ;   in Loop: Header=BB4_142 Depth=2
	v_cmp_ne_u16_e64 vcc_lo, 0, v128
	v_mov_b32_e32 v114, 0
	s_and_not1_b32 s11, s11, exec_lo
	s_delay_alu instid0(VALU_DEP_2) | instskip(NEXT) | instid1(SALU_CYCLE_1)
	s_and_b32 s25, vcc_lo, exec_lo
	s_or_b32 s11, s11, s25
	s_or_b32 exec_lo, exec_lo, s26
	s_and_saveexec_b32 s25, s11
	s_cbranch_execnz .LBB4_1034
	s_branch .LBB4_1035
.LBB4_1425:                             ;   in Loop: Header=BB4_142 Depth=2
	s_mov_b32 s11, -1
	s_mov_b32 s27, exec_lo
                                        ; implicit-def: $sgpr25
	v_cmpx_eq_u16_e32 0x80, v103
; %bb.1426:                             ;   in Loop: Header=BB4_142 Depth=2
	s_mov_b32 s25, 0x7f800001
	s_xor_b32 s11, exec_lo, -1
; %bb.1427:                             ;   in Loop: Header=BB4_142 Depth=2
	s_or_b32 exec_lo, exec_lo, s27
	s_delay_alu instid0(SALU_CYCLE_1)
	s_and_b32 s11, s11, exec_lo
	s_or_saveexec_b32 s26, s26
	v_mov_b32_e32 v128, s25
	s_xor_b32 exec_lo, exec_lo, s26
	s_cbranch_execz .LBB4_1037
.LBB4_1428:                             ;   in Loop: Header=BB4_142 Depth=2
	v_cmp_ne_u16_e32 vcc_lo, 0, v103
	v_mov_b32_e32 v128, 0
	s_and_not1_b32 s11, s11, exec_lo
	s_and_b32 s25, vcc_lo, exec_lo
	s_delay_alu instid0(SALU_CYCLE_1)
	s_or_b32 s11, s11, s25
	s_or_b32 exec_lo, exec_lo, s26
	s_and_saveexec_b32 s25, s11
	s_cbranch_execnz .LBB4_1038
	s_branch .LBB4_1039
.LBB4_1429:                             ;   in Loop: Header=BB4_53 Depth=1
	s_or_b32 exec_lo, exec_lo, s23
.LBB4_1430:                             ;   in Loop: Header=BB4_53 Depth=1
	s_delay_alu instid0(SALU_CYCLE_1) | instskip(SKIP_3) | instid1(VALU_DEP_1)
	s_or_b32 exec_lo, exec_lo, s12
	v_dual_mov_b32 v50, 0 :: v_dual_and_b32 v11, 0x3ffffc00, v36
	s_mov_b32 s11, 0
	s_mov_b32 s23, exec_lo
                                        ; implicit-def: $vgpr51
                                        ; implicit-def: $vgpr52
                                        ; implicit-def: $vgpr10
	v_cmpx_ne_u32_e64 v11, v36
	s_cbranch_execz .LBB4_2088
; %bb.1431:                             ;   in Loop: Header=BB4_53 Depth=1
	v_lshlrev_b32_e32 v10, 5, v96
	v_bfe_u32 v15, v36, 9, 1
	s_mov_b32 s24, exec_lo
	s_delay_alu instid0(VALU_DEP_2) | instskip(NEXT) | instid1(VALU_DEP_1)
	v_sub_nc_u32_e32 v10, v70, v10
	v_ashrrev_i32_e32 v12, 31, v10
	s_delay_alu instid0(VALU_DEP_1) | instskip(NEXT) | instid1(VALU_DEP_1)
	v_lshrrev_b32_e32 v12, 27, v12
	v_add_nc_u32_e32 v12, v10, v12
	s_delay_alu instid0(VALU_DEP_1) | instskip(SKIP_1) | instid1(VALU_DEP_2)
	v_and_b32_e32 v13, 0xffffffe0, v12
	v_ashrrev_i32_e32 v12, 5, v12
	v_sub_nc_u32_e32 v53, v10, v13
	v_and_b32_e32 v13, 0x3ff, v36
	v_and_b32_e32 v10, 0x200, v36
	s_delay_alu instid0(VALU_DEP_3) | instskip(NEXT) | instid1(VALU_DEP_2)
	v_lshlrev_b32_e32 v14, 4, v53
	v_sub_nc_u32_e32 v54, v13, v10
	s_delay_alu instid0(VALU_DEP_2) | instskip(NEXT) | instid1(VALU_DEP_2)
	v_lshl_add_u32 v10, v12, 9, v14
	v_cmp_lt_i32_e64 s11, 15, v54
	s_delay_alu instid0(VALU_DEP_2) | instskip(NEXT) | instid1(VALU_DEP_2)
	v_sub_nc_u32_e32 v52, v13, v10
	v_add_co_ci_u32_e64 v14, vcc_lo, 0, v15, s11
	s_delay_alu instid0(VALU_DEP_1) | instskip(NEXT) | instid1(VALU_DEP_3)
	v_sub_nc_u32_e32 v55, v14, v12
	v_cmpx_lt_i32_e32 15, v52
	s_cbranch_execz .LBB4_2085
; %bb.1432:                             ;   in Loop: Header=BB4_53 Depth=1
	s_cbranch_execz .LBB4_1433
; %bb.7885:
	s_getpc_b64 s[34:35]
.Lpost_getpc78:
	s_add_u32 s34, s34, (.LBB4_7771-.Lpost_getpc78)&4294967295
	s_addc_u32 s35, s35, (.LBB4_7771-.Lpost_getpc78)>>32
	s_setpc_b64 s[34:35]
.LBB4_1433:                             ;   in Loop: Header=BB4_53 Depth=1
	ds_load_b64 v[12:13], v0
	ds_load_b128 v[14:17], v0
	v_add_nc_u32_e32 v10, v10, v11
	s_delay_alu instid0(VALU_DEP_1)
	v_ashrrev_i32_e32 v11, 31, v10
	s_waitcnt lgkmcnt(1)
	v_readfirstlane_b32 s12, v12
	s_waitcnt lgkmcnt(0)
	v_add_co_u32 v14, vcc_lo, v14, v10
	v_add_co_ci_u32_e32 v15, vcc_lo, v15, v11, vcc_lo
	s_delay_alu instid0(VALU_DEP_3)
	s_and_b32 s25, s12, 7
	s_bfe_u32 s28, s12, 0x40003
	s_clz_i32_u32 s26, s25
	v_add_co_u32 v16, vcc_lo, v16, v10
	s_min_u32 s26, s26, 32
	v_add_co_ci_u32_e32 v17, vcc_lo, v17, v11, vcc_lo
	s_sub_i32 s27, s26, 28
	s_sub_i32 s26, 29, s26
	s_lshl_b32 s27, s12, s27
	v_add_co_u32 v50, vcc_lo, v12, v10
	s_and_b32 s27, s27, 7
	s_cmp_eq_u32 s28, 0
	v_add_co_ci_u32_e32 v51, vcc_lo, v13, v11, vcc_lo
	s_cselect_b32 s26, s26, s28
	s_cselect_b32 s25, s27, s25
	s_lshl_b32 s12, s12, 24
	s_lshl_b32 s27, s25, 20
	;; [unrolled: 1-line block ×3, first 2 shown]
	s_and_b32 s12, s12, 0x80000000
	s_add_i32 s25, s25, 0x3b800000
	v_and_b32_e32 v96, 0xff, v12
	s_or_b32 s12, s12, s25
	s_mov_b32 s25, 0
	s_or_b32 s26, s12, s27
	s_branch .LBB4_1437
.LBB4_1434:                             ;   in Loop: Header=BB4_1437 Depth=2
	s_or_b32 exec_lo, exec_lo, s12
	s_delay_alu instid0(VALU_DEP_1) | instskip(NEXT) | instid1(VALU_DEP_2)
	v_lshrrev_b32_e32 v102, 20, v102
	v_cmp_gt_i32_e32 vcc_lo, 16, v100
	v_min_i32_e32 v119, 15, v100
	v_lshrrev_b32_e32 v13, 24, v13
	s_delay_alu instid0(VALU_DEP_2) | instskip(NEXT) | instid1(VALU_DEP_2)
	v_dual_cndmask_b32 v102, 7, v102 :: v_dual_lshlrev_b32 v119, 3, v119
	v_and_b32_e32 v13, 0x80, v13
	s_delay_alu instid0(VALU_DEP_2) | instskip(SKIP_1) | instid1(VALU_DEP_2)
	v_or_b32_e32 v100, v100, v102
	v_and_b32_e32 v128, 7, v102
	v_cmp_ne_u32_e32 vcc_lo, 0, v100
	v_and_b32_e32 v119, 0xf8, v119
	s_delay_alu instid0(VALU_DEP_1) | instskip(NEXT) | instid1(VALU_DEP_1)
	v_or3_b32 v13, v13, v119, v128
	v_lshlrev_b32_e32 v13, 8, v13
	s_delay_alu instid0(VALU_DEP_1)
	v_cndmask_b32_e32 v100, 0, v13, vcc_lo
.LBB4_1435:                             ;   in Loop: Header=BB4_1437 Depth=2
	s_or_b32 exec_lo, exec_lo, s28
.LBB4_1436:                             ;   in Loop: Header=BB4_1437 Depth=2
	s_delay_alu instid0(SALU_CYCLE_1)
	s_or_b32 exec_lo, exec_lo, s27
	v_or_b32_e32 v11, v11, v116
	v_and_b32_e32 v13, 0xff, v115
	v_lshlrev_b32_e32 v101, 8, v101
	v_and_b32_e32 v103, 0xff, v103
	v_lshlrev_b32_e32 v112, 8, v112
	v_or_b32_e32 v98, v100, v98
	v_and_b32_e32 v102, 0xff, v117
	v_lshlrev_b32_e32 v10, 24, v10
	v_lshlrev_b32_e32 v11, 16, v11
	;; [unrolled: 1-line block ×3, first 2 shown]
	v_perm_b32 v97, v101, v97, 0xc0c0500
	v_lshlrev_b32_e32 v12, 24, v12
	v_lshlrev_b32_e32 v100, 16, v103
	v_perm_b32 v101, v112, v114, 0xc0c0500
	v_and_b32_e32 v99, 0xff, v99
	v_lshlrev_b32_e32 v98, 16, v98
	v_add_co_u32 v14, vcc_lo, v14, v84
	v_or3_b32 v11, v118, v102, v11
	v_or3_b32 v10, v10, v13, v97
	;; [unrolled: 1-line block ×4, first 2 shown]
	v_sub_nc_u32_e32 v52, v52, v69
	v_add_co_ci_u32_e32 v15, vcc_lo, v15, v85, vcc_lo
	v_add_co_u32 v16, vcc_lo, v16, v84
	v_add_co_ci_u32_e32 v17, vcc_lo, v17, v85, vcc_lo
	global_store_b128 v[50:51], v[10:13], off glc slc dlc
	v_cmp_gt_i32_e32 vcc_lo, 16, v52
	v_add_co_u32 v50, s12, v50, v84
	s_delay_alu instid0(VALU_DEP_1) | instskip(SKIP_2) | instid1(SALU_CYCLE_1)
	v_add_co_ci_u32_e64 v51, s12, v51, v85, s12
	v_sub_nc_u32_e32 v55, v55, v67
	s_or_b32 s25, vcc_lo, s25
	s_and_not1_b32 exec_lo, exec_lo, s25
	s_cbranch_execz .LBB4_2084
.LBB4_1437:                             ;   Parent Loop BB4_53 Depth=1
                                        ; =>  This Inner Loop Header: Depth=2
	v_cmp_gt_i16_e32 vcc_lo, 0x80, v96
	s_cbranch_vccnz .LBB4_1441
; %bb.1438:                             ;   in Loop: Header=BB4_1437 Depth=2
	v_cmp_eq_u16_e32 vcc_lo, 0x80, v96
	s_mov_b32 s12, -1
                                        ; implicit-def: $sgpr27
	s_cbranch_vccz .LBB4_1440
; %bb.1439:                             ;   in Loop: Header=BB4_1437 Depth=2
	s_mov_b32 s12, 0
	s_mov_b32 s27, 0x7f800001
.LBB4_1440:                             ;   in Loop: Header=BB4_1437 Depth=2
	s_mov_b32 s28, 0
	s_branch .LBB4_1442
.LBB4_1441:                             ;   in Loop: Header=BB4_1437 Depth=2
	s_mov_b32 s28, -1
	s_mov_b32 s12, 0
                                        ; implicit-def: $sgpr27
.LBB4_1442:                             ;   in Loop: Header=BB4_1437 Depth=2
	s_and_b32 vcc_lo, exec_lo, s28
	s_cbranch_vccz .LBB4_1444
; %bb.1443:                             ;   in Loop: Header=BB4_1437 Depth=2
	v_cmp_ne_u16_e64 s12, 0, v96
	s_mov_b32 s27, 0
.LBB4_1444:                             ;   in Loop: Header=BB4_1437 Depth=2
	s_delay_alu instid0(VALU_DEP_1)
	s_and_not1_b32 vcc_lo, exec_lo, s12
	s_cbranch_vccnz .LBB4_1446
; %bb.1445:                             ;   in Loop: Header=BB4_1437 Depth=2
	s_mov_b32 s27, s26
.LBB4_1446:                             ;   in Loop: Header=BB4_1437 Depth=2
	global_load_b128 v[10:13], v[14:15], off slc dlc
	s_mov_b32 s12, 0
	s_mov_b32 s29, exec_lo
                                        ; implicit-def: $sgpr28
	s_waitcnt vmcnt(0)
	v_and_b32_e32 v98, 0xff, v10
	s_delay_alu instid0(VALU_DEP_1)
	v_cmpx_lt_i16_e32 0x7f, v98
	s_xor_b32 s29, exec_lo, s29
	s_cbranch_execnz .LBB4_1892
; %bb.1447:                             ;   in Loop: Header=BB4_1437 Depth=2
	s_or_saveexec_b32 s29, s29
	v_mov_b32_e32 v97, s28
	s_xor_b32 exec_lo, exec_lo, s29
	s_cbranch_execnz .LBB4_1895
.LBB4_1448:                             ;   in Loop: Header=BB4_1437 Depth=2
	s_or_b32 exec_lo, exec_lo, s29
	s_and_saveexec_b32 s28, s12
	s_cbranch_execz .LBB4_1450
.LBB4_1449:                             ;   in Loop: Header=BB4_1437 Depth=2
	v_and_b32_e32 v97, 7, v10
	v_bfe_u32 v100, v10, 3, 4
	v_lshlrev_b32_e32 v101, 24, v10
	s_delay_alu instid0(VALU_DEP_3) | instskip(NEXT) | instid1(VALU_DEP_3)
	v_clz_i32_u32_e32 v98, v97
	v_cmp_eq_u32_e32 vcc_lo, 0, v100
	s_delay_alu instid0(VALU_DEP_2) | instskip(NEXT) | instid1(VALU_DEP_1)
	v_min_u32_e32 v98, 32, v98
	v_subrev_nc_u32_e32 v99, 28, v98
	v_sub_nc_u32_e32 v98, 29, v98
	s_delay_alu instid0(VALU_DEP_2) | instskip(NEXT) | instid1(VALU_DEP_1)
	v_lshlrev_b32_e32 v99, v99, v10
	v_dual_cndmask_b32 v98, v100, v98 :: v_dual_and_b32 v99, 7, v99
	s_delay_alu instid0(VALU_DEP_1) | instskip(NEXT) | instid1(VALU_DEP_2)
	v_lshl_add_u32 v98, v98, 23, 0x3b800000
	v_cndmask_b32_e32 v97, v97, v99, vcc_lo
	v_and_b32_e32 v99, 0x80000000, v101
	s_delay_alu instid0(VALU_DEP_2) | instskip(NEXT) | instid1(VALU_DEP_1)
	v_lshlrev_b32_e32 v97, 20, v97
	v_or3_b32 v97, v99, v98, v97
.LBB4_1450:                             ;   in Loop: Header=BB4_1437 Depth=2
	s_or_b32 exec_lo, exec_lo, s28
	s_delay_alu instid0(VALU_DEP_1) | instskip(NEXT) | instid1(VALU_DEP_1)
	v_mul_f32_e32 v98, s27, v97
	v_and_b32_e32 v97, 0x7f800000, v98
	s_delay_alu instid0(VALU_DEP_1)
	v_cmp_ne_u32_e32 vcc_lo, 0x7f800000, v97
	v_mov_b32_e32 v97, 0x80
	s_and_saveexec_b32 s28, vcc_lo
	s_cbranch_execz .LBB4_1458
; %bb.1451:                             ;   in Loop: Header=BB4_1437 Depth=2
	v_mov_b32_e32 v97, 0
	s_mov_b32 s29, exec_lo
	v_cmpx_ne_u32_e32 0, v98
	s_cbranch_execz .LBB4_1457
; %bb.1452:                             ;   in Loop: Header=BB4_1437 Depth=2
	v_bfe_u32 v97, v98, 23, 8
	s_delay_alu instid0(VALU_DEP_1) | instskip(SKIP_1) | instid1(VALU_DEP_2)
	v_sub_nc_u32_e32 v100, 0x78, v97
	v_cmp_gt_u32_e32 vcc_lo, 0x79, v97
	v_dual_cndmask_b32 v100, 0, v100 :: v_dual_and_b32 v99, 0x7fffff, v98
	s_delay_alu instid0(VALU_DEP_1) | instskip(SKIP_2) | instid1(VALU_DEP_4)
	v_or_b32_e32 v101, 0x800000, v99
	v_cmp_eq_u32_e32 vcc_lo, 0, v97
	v_add_nc_u32_e32 v97, 0xffffff89, v97
	v_cndmask_b32_e64 v100, v100, 0x77, vcc_lo
	s_delay_alu instid0(VALU_DEP_2) | instskip(SKIP_1) | instid1(VALU_DEP_3)
	v_cndmask_b32_e64 v97, v97, 0xffffff8a, vcc_lo
	v_cndmask_b32_e32 v99, v101, v99, vcc_lo
	v_lshl_add_u32 v101, 0x100000, v100, -1
	v_lshlrev_b32_e64 v112, v100, 0x80000
	s_delay_alu instid0(VALU_DEP_3) | instskip(SKIP_1) | instid1(VALU_DEP_4)
	v_lshrrev_b32_e32 v102, v100, v99
	v_add_nc_u32_e32 v100, v100, v97
	v_and_b32_e32 v99, v101, v99
	s_delay_alu instid0(VALU_DEP_3) | instskip(NEXT) | instid1(VALU_DEP_2)
	v_bfe_u32 v103, v102, 20, 1
	v_cmp_eq_u32_e64 s12, v99, v112
	s_delay_alu instid0(VALU_DEP_2) | instskip(NEXT) | instid1(VALU_DEP_1)
	v_add_nc_u32_e32 v101, -1, v103
	v_cndmask_b32_e64 v99, 0, v101, s12
	v_lshrrev_b32_e32 v101, 23, v102
	s_mov_b32 s12, exec_lo
	s_delay_alu instid0(VALU_DEP_2) | instskip(NEXT) | instid1(VALU_DEP_2)
	v_add_nc_u32_e32 v99, v99, v102
	v_xor_b32_e32 v101, 1, v101
	s_delay_alu instid0(VALU_DEP_2) | instskip(NEXT) | instid1(VALU_DEP_1)
	v_and_b32_e32 v97, 0xfffff, v99
	v_add_nc_u32_e32 v99, v97, v102
                                        ; implicit-def: $vgpr97
	s_delay_alu instid0(VALU_DEP_3)
	v_cmpx_ne_u32_e64 v100, v101
	s_xor_b32 s12, exec_lo, s12
; %bb.1453:                             ;   in Loop: Header=BB4_1437 Depth=2
	s_delay_alu instid0(VALU_DEP_2) | instskip(SKIP_2) | instid1(VALU_DEP_2)
	v_cmp_lt_u32_e32 vcc_lo, 0xffffff, v99
	v_sub_nc_u32_e32 v97, v100, v101
	v_cndmask_b32_e64 v100, 0, 1, vcc_lo
	v_add_co_ci_u32_e32 v97, vcc_lo, 0, v97, vcc_lo
	s_delay_alu instid0(VALU_DEP_2)
	v_lshrrev_b32_e32 v99, v100, v99
; %bb.1454:                             ;   in Loop: Header=BB4_1437 Depth=2
	s_and_not1_saveexec_b32 s12, s12
; %bb.1455:                             ;   in Loop: Header=BB4_1437 Depth=2
	s_delay_alu instid0(VALU_DEP_1)
	v_bfe_u32 v97, v99, 23, 1
; %bb.1456:                             ;   in Loop: Header=BB4_1437 Depth=2
	s_or_b32 exec_lo, exec_lo, s12
	v_lshrrev_b32_e32 v99, 20, v99
	s_delay_alu instid0(VALU_DEP_2) | instskip(SKIP_2) | instid1(VALU_DEP_2)
	v_cmp_gt_i32_e32 vcc_lo, 16, v97
	v_lshrrev_b32_e32 v98, 24, v98
	v_min_i32_e32 v100, 15, v97
	v_dual_cndmask_b32 v99, 7, v99 :: v_dual_and_b32 v98, 0x80, v98
	s_delay_alu instid0(VALU_DEP_1) | instskip(SKIP_1) | instid1(VALU_DEP_2)
	v_or_b32_e32 v97, v97, v99
	v_and_b32_e32 v101, 7, v99
	v_cmp_ne_u32_e32 vcc_lo, 0, v97
	v_lshlrev_b32_e32 v100, 3, v100
	s_delay_alu instid0(VALU_DEP_1) | instskip(NEXT) | instid1(VALU_DEP_1)
	v_or3_b32 v98, v100, v98, v101
	v_cndmask_b32_e32 v97, 0, v98, vcc_lo
.LBB4_1457:                             ;   in Loop: Header=BB4_1437 Depth=2
	s_or_b32 exec_lo, exec_lo, s29
.LBB4_1458:                             ;   in Loop: Header=BB4_1437 Depth=2
	s_delay_alu instid0(SALU_CYCLE_1) | instskip(SKIP_3) | instid1(VALU_DEP_1)
	s_or_b32 exec_lo, exec_lo, s28
	v_lshrrev_b16 v98, 8, v10
	s_mov_b32 s12, 0
	s_mov_b32 s29, exec_lo
                                        ; implicit-def: $sgpr28
	v_cmpx_lt_i16_e32 0x7f, v98
	s_xor_b32 s29, exec_lo, s29
	s_cbranch_execnz .LBB4_1896
; %bb.1459:                             ;   in Loop: Header=BB4_1437 Depth=2
	s_or_saveexec_b32 s29, s29
	v_mov_b32_e32 v99, s28
	s_xor_b32 exec_lo, exec_lo, s29
	s_cbranch_execnz .LBB4_1899
.LBB4_1460:                             ;   in Loop: Header=BB4_1437 Depth=2
	s_or_b32 exec_lo, exec_lo, s29
	s_and_saveexec_b32 s28, s12
	s_cbranch_execz .LBB4_1462
.LBB4_1461:                             ;   in Loop: Header=BB4_1437 Depth=2
	v_and_b32_e32 v99, 0xffff, v98
	v_lshlrev_b32_e32 v98, 24, v98
	s_delay_alu instid0(VALU_DEP_2) | instskip(NEXT) | instid1(VALU_DEP_2)
	v_and_b32_e32 v100, 7, v99
	v_and_b32_e32 v98, 0x80000000, v98
	s_delay_alu instid0(VALU_DEP_2) | instskip(NEXT) | instid1(VALU_DEP_1)
	v_clz_i32_u32_e32 v101, v100
	v_min_u32_e32 v101, 32, v101
	s_delay_alu instid0(VALU_DEP_1) | instskip(SKIP_1) | instid1(VALU_DEP_2)
	v_subrev_nc_u32_e32 v102, 28, v101
	v_sub_nc_u32_e32 v101, 29, v101
	v_lshlrev_b32_e32 v102, v102, v99
	v_bfe_u32 v99, v99, 3, 4
	s_delay_alu instid0(VALU_DEP_2) | instskip(NEXT) | instid1(VALU_DEP_2)
	v_and_b32_e32 v102, 7, v102
	v_cmp_eq_u32_e32 vcc_lo, 0, v99
	s_delay_alu instid0(VALU_DEP_2) | instskip(NEXT) | instid1(VALU_DEP_1)
	v_dual_cndmask_b32 v99, v99, v101 :: v_dual_cndmask_b32 v100, v100, v102
	v_lshl_add_u32 v99, v99, 23, 0x3b800000
	s_delay_alu instid0(VALU_DEP_2) | instskip(NEXT) | instid1(VALU_DEP_1)
	v_lshlrev_b32_e32 v100, 20, v100
	v_or3_b32 v99, v98, v99, v100
.LBB4_1462:                             ;   in Loop: Header=BB4_1437 Depth=2
	s_or_b32 exec_lo, exec_lo, s28
	s_delay_alu instid0(VALU_DEP_1) | instskip(SKIP_1) | instid1(VALU_DEP_1)
	v_dual_mul_f32 v98, s27, v99 :: v_dual_mov_b32 v101, 0x80
	s_mov_b32 s28, exec_lo
	v_and_b32_e32 v99, 0x7f800000, v98
	s_delay_alu instid0(VALU_DEP_1)
	v_cmpx_ne_u32_e32 0x7f800000, v99
	s_cbranch_execz .LBB4_1470
; %bb.1463:                             ;   in Loop: Header=BB4_1437 Depth=2
	v_mov_b32_e32 v101, 0
	s_mov_b32 s29, exec_lo
	v_cmpx_ne_u32_e32 0, v98
	s_cbranch_execz .LBB4_1469
; %bb.1464:                             ;   in Loop: Header=BB4_1437 Depth=2
	v_bfe_u32 v99, v98, 23, 8
	s_delay_alu instid0(VALU_DEP_1) | instskip(SKIP_1) | instid1(VALU_DEP_2)
	v_sub_nc_u32_e32 v101, 0x78, v99
	v_cmp_gt_u32_e32 vcc_lo, 0x79, v99
	v_dual_cndmask_b32 v101, 0, v101 :: v_dual_and_b32 v100, 0x7fffff, v98
	s_delay_alu instid0(VALU_DEP_1) | instskip(SKIP_2) | instid1(VALU_DEP_4)
	v_or_b32_e32 v102, 0x800000, v100
	v_cmp_eq_u32_e32 vcc_lo, 0, v99
	v_add_nc_u32_e32 v99, 0xffffff89, v99
	v_cndmask_b32_e64 v101, v101, 0x77, vcc_lo
	s_delay_alu instid0(VALU_DEP_4) | instskip(NEXT) | instid1(VALU_DEP_3)
	v_cndmask_b32_e32 v100, v102, v100, vcc_lo
	v_cndmask_b32_e64 v99, v99, 0xffffff8a, vcc_lo
	s_delay_alu instid0(VALU_DEP_3) | instskip(NEXT) | instid1(VALU_DEP_3)
	v_lshl_add_u32 v102, 0x100000, v101, -1
	v_lshrrev_b32_e32 v103, v101, v100
	v_lshlrev_b32_e64 v113, v101, 0x80000
	s_delay_alu instid0(VALU_DEP_4) | instskip(NEXT) | instid1(VALU_DEP_4)
	v_add_nc_u32_e32 v101, v101, v99
	v_and_b32_e32 v100, v102, v100
	s_delay_alu instid0(VALU_DEP_4) | instskip(NEXT) | instid1(VALU_DEP_2)
	v_bfe_u32 v112, v103, 20, 1
	v_cmp_eq_u32_e64 s12, v100, v113
	s_delay_alu instid0(VALU_DEP_2) | instskip(NEXT) | instid1(VALU_DEP_1)
	v_add_nc_u32_e32 v102, -1, v112
	v_cndmask_b32_e64 v100, 0, v102, s12
	v_lshrrev_b32_e32 v102, 23, v103
	s_mov_b32 s12, exec_lo
	s_delay_alu instid0(VALU_DEP_2) | instskip(NEXT) | instid1(VALU_DEP_2)
	v_add_nc_u32_e32 v100, v100, v103
	v_xor_b32_e32 v102, 1, v102
	s_delay_alu instid0(VALU_DEP_2) | instskip(NEXT) | instid1(VALU_DEP_1)
	v_and_b32_e32 v99, 0xfffff, v100
	v_add_nc_u32_e32 v100, v99, v103
                                        ; implicit-def: $vgpr99
	s_delay_alu instid0(VALU_DEP_3)
	v_cmpx_ne_u32_e64 v101, v102
	s_xor_b32 s12, exec_lo, s12
; %bb.1465:                             ;   in Loop: Header=BB4_1437 Depth=2
	s_delay_alu instid0(VALU_DEP_2) | instskip(SKIP_2) | instid1(VALU_DEP_2)
	v_cmp_lt_u32_e32 vcc_lo, 0xffffff, v100
	v_sub_nc_u32_e32 v99, v101, v102
	v_cndmask_b32_e64 v101, 0, 1, vcc_lo
	v_add_co_ci_u32_e32 v99, vcc_lo, 0, v99, vcc_lo
	s_delay_alu instid0(VALU_DEP_2)
	v_lshrrev_b32_e32 v100, v101, v100
; %bb.1466:                             ;   in Loop: Header=BB4_1437 Depth=2
	s_and_not1_saveexec_b32 s12, s12
; %bb.1467:                             ;   in Loop: Header=BB4_1437 Depth=2
	s_delay_alu instid0(VALU_DEP_1)
	v_bfe_u32 v99, v100, 23, 1
; %bb.1468:                             ;   in Loop: Header=BB4_1437 Depth=2
	s_or_b32 exec_lo, exec_lo, s12
	v_lshrrev_b32_e32 v100, 20, v100
	s_delay_alu instid0(VALU_DEP_2) | instskip(SKIP_2) | instid1(VALU_DEP_2)
	v_cmp_gt_i32_e32 vcc_lo, 16, v99
	v_min_i32_e32 v101, 15, v99
	v_lshrrev_b32_e32 v98, 24, v98
	v_dual_cndmask_b32 v100, 7, v100 :: v_dual_lshlrev_b32 v101, 3, v101
	s_delay_alu instid0(VALU_DEP_2) | instskip(NEXT) | instid1(VALU_DEP_2)
	v_and_b32_e32 v98, 0x80, v98
	v_or_b32_e32 v99, v99, v100
	s_delay_alu instid0(VALU_DEP_1) | instskip(SKIP_1) | instid1(VALU_DEP_1)
	v_cmp_ne_u32_e32 vcc_lo, 0, v99
	v_and_b32_e32 v102, 7, v100
	v_or3_b32 v98, v101, v98, v102
	s_delay_alu instid0(VALU_DEP_1)
	v_cndmask_b32_e32 v101, 0, v98, vcc_lo
.LBB4_1469:                             ;   in Loop: Header=BB4_1437 Depth=2
	s_or_b32 exec_lo, exec_lo, s29
.LBB4_1470:                             ;   in Loop: Header=BB4_1437 Depth=2
	s_delay_alu instid0(SALU_CYCLE_1) | instskip(SKIP_3) | instid1(VALU_DEP_1)
	s_or_b32 exec_lo, exec_lo, s28
	v_lshrrev_b32_e32 v98, 16, v10
	s_mov_b32 s12, 0
	s_mov_b32 s29, exec_lo
                                        ; implicit-def: $sgpr28
	v_and_b32_e32 v100, 0xff, v98
	s_delay_alu instid0(VALU_DEP_1)
	v_cmpx_lt_i16_e32 0x7f, v100
	s_xor_b32 s29, exec_lo, s29
	s_cbranch_execnz .LBB4_1900
; %bb.1471:                             ;   in Loop: Header=BB4_1437 Depth=2
	s_or_saveexec_b32 s29, s29
	v_mov_b32_e32 v99, s28
	s_xor_b32 exec_lo, exec_lo, s29
	s_cbranch_execnz .LBB4_1903
.LBB4_1472:                             ;   in Loop: Header=BB4_1437 Depth=2
	s_or_b32 exec_lo, exec_lo, s29
	s_and_saveexec_b32 s28, s12
	s_cbranch_execz .LBB4_1474
.LBB4_1473:                             ;   in Loop: Header=BB4_1437 Depth=2
	v_bfe_u32 v99, v10, 16, 3
	s_delay_alu instid0(VALU_DEP_1) | instskip(NEXT) | instid1(VALU_DEP_1)
	v_clz_i32_u32_e32 v100, v99
	v_min_u32_e32 v100, 32, v100
	s_delay_alu instid0(VALU_DEP_1) | instskip(SKIP_1) | instid1(VALU_DEP_2)
	v_subrev_nc_u32_e32 v102, 28, v100
	v_sub_nc_u32_e32 v100, 29, v100
	v_lshlrev_b32_e32 v98, v102, v98
	v_bfe_u32 v102, v10, 19, 4
	s_delay_alu instid0(VALU_DEP_2) | instskip(NEXT) | instid1(VALU_DEP_2)
	v_and_b32_e32 v98, 7, v98
	v_cmp_eq_u32_e32 vcc_lo, 0, v102
	v_dual_cndmask_b32 v100, v102, v100 :: v_dual_lshlrev_b32 v103, 8, v10
	s_delay_alu instid0(VALU_DEP_1) | instskip(NEXT) | instid1(VALU_DEP_2)
	v_dual_cndmask_b32 v98, v99, v98 :: v_dual_and_b32 v99, 0x80000000, v103
	v_lshl_add_u32 v100, v100, 23, 0x3b800000
	s_delay_alu instid0(VALU_DEP_2) | instskip(NEXT) | instid1(VALU_DEP_1)
	v_lshlrev_b32_e32 v98, 20, v98
	v_or3_b32 v99, v99, v100, v98
.LBB4_1474:                             ;   in Loop: Header=BB4_1437 Depth=2
	s_or_b32 exec_lo, exec_lo, s28
	s_delay_alu instid0(VALU_DEP_1) | instskip(SKIP_1) | instid1(VALU_DEP_1)
	v_dual_mul_f32 v98, s27, v99 :: v_dual_mov_b32 v115, 0x80
	s_mov_b32 s28, exec_lo
	v_and_b32_e32 v99, 0x7f800000, v98
	s_delay_alu instid0(VALU_DEP_1)
	v_cmpx_ne_u32_e32 0x7f800000, v99
	s_cbranch_execz .LBB4_1482
; %bb.1475:                             ;   in Loop: Header=BB4_1437 Depth=2
	v_mov_b32_e32 v115, 0
	s_mov_b32 s29, exec_lo
	v_cmpx_ne_u32_e32 0, v98
	s_cbranch_execz .LBB4_1481
; %bb.1476:                             ;   in Loop: Header=BB4_1437 Depth=2
	v_bfe_u32 v99, v98, 23, 8
	v_and_b32_e32 v100, 0x7fffff, v98
	s_delay_alu instid0(VALU_DEP_2) | instskip(SKIP_1) | instid1(VALU_DEP_3)
	v_sub_nc_u32_e32 v102, 0x78, v99
	v_cmp_gt_u32_e32 vcc_lo, 0x79, v99
	v_or_b32_e32 v103, 0x800000, v100
	s_delay_alu instid0(VALU_DEP_3) | instskip(SKIP_2) | instid1(VALU_DEP_3)
	v_cndmask_b32_e32 v102, 0, v102, vcc_lo
	v_cmp_eq_u32_e32 vcc_lo, 0, v99
	v_add_nc_u32_e32 v99, 0xffffff89, v99
	v_cndmask_b32_e64 v102, v102, 0x77, vcc_lo
	v_cndmask_b32_e32 v100, v103, v100, vcc_lo
	s_delay_alu instid0(VALU_DEP_3) | instskip(NEXT) | instid1(VALU_DEP_3)
	v_cndmask_b32_e64 v99, v99, 0xffffff8a, vcc_lo
	v_lshl_add_u32 v103, 0x100000, v102, -1
	s_delay_alu instid0(VALU_DEP_3) | instskip(SKIP_1) | instid1(VALU_DEP_4)
	v_lshrrev_b32_e32 v112, v102, v100
	v_lshlrev_b32_e64 v114, v102, 0x80000
	v_add_nc_u32_e32 v102, v102, v99
	s_delay_alu instid0(VALU_DEP_4) | instskip(NEXT) | instid1(VALU_DEP_4)
	v_and_b32_e32 v100, v103, v100
	v_bfe_u32 v113, v112, 20, 1
	s_delay_alu instid0(VALU_DEP_2) | instskip(NEXT) | instid1(VALU_DEP_2)
	v_cmp_eq_u32_e64 s12, v100, v114
	v_add_nc_u32_e32 v103, -1, v113
	s_delay_alu instid0(VALU_DEP_1) | instskip(SKIP_2) | instid1(VALU_DEP_2)
	v_cndmask_b32_e64 v100, 0, v103, s12
	v_lshrrev_b32_e32 v103, 23, v112
	s_mov_b32 s12, exec_lo
	v_add_nc_u32_e32 v100, v100, v112
	s_delay_alu instid0(VALU_DEP_2) | instskip(NEXT) | instid1(VALU_DEP_2)
	v_xor_b32_e32 v103, 1, v103
	v_and_b32_e32 v99, 0xfffff, v100
	s_delay_alu instid0(VALU_DEP_1) | instskip(NEXT) | instid1(VALU_DEP_3)
	v_add_nc_u32_e32 v100, v99, v112
                                        ; implicit-def: $vgpr99
	v_cmpx_ne_u32_e64 v102, v103
	s_xor_b32 s12, exec_lo, s12
; %bb.1477:                             ;   in Loop: Header=BB4_1437 Depth=2
	s_delay_alu instid0(VALU_DEP_2) | instskip(SKIP_2) | instid1(VALU_DEP_2)
	v_cmp_lt_u32_e32 vcc_lo, 0xffffff, v100
	v_sub_nc_u32_e32 v99, v102, v103
	v_cndmask_b32_e64 v102, 0, 1, vcc_lo
	v_add_co_ci_u32_e32 v99, vcc_lo, 0, v99, vcc_lo
	s_delay_alu instid0(VALU_DEP_2)
	v_lshrrev_b32_e32 v100, v102, v100
; %bb.1478:                             ;   in Loop: Header=BB4_1437 Depth=2
	s_and_not1_saveexec_b32 s12, s12
; %bb.1479:                             ;   in Loop: Header=BB4_1437 Depth=2
	s_delay_alu instid0(VALU_DEP_1)
	v_bfe_u32 v99, v100, 23, 1
; %bb.1480:                             ;   in Loop: Header=BB4_1437 Depth=2
	s_or_b32 exec_lo, exec_lo, s12
	v_lshrrev_b32_e32 v100, 20, v100
	s_delay_alu instid0(VALU_DEP_2) | instskip(SKIP_2) | instid1(VALU_DEP_4)
	v_cmp_gt_i32_e32 vcc_lo, 16, v99
	v_lshrrev_b32_e32 v98, 24, v98
	v_min_i32_e32 v102, 15, v99
	v_cndmask_b32_e32 v100, 7, v100, vcc_lo
	s_delay_alu instid0(VALU_DEP_3) | instskip(NEXT) | instid1(VALU_DEP_3)
	v_and_b32_e32 v98, 0x80, v98
	v_lshlrev_b32_e32 v102, 3, v102
	s_delay_alu instid0(VALU_DEP_3) | instskip(SKIP_1) | instid1(VALU_DEP_2)
	v_and_b32_e32 v103, 7, v100
	v_or_b32_e32 v99, v99, v100
	v_or3_b32 v98, v102, v98, v103
	s_delay_alu instid0(VALU_DEP_2) | instskip(NEXT) | instid1(VALU_DEP_2)
	v_cmp_ne_u32_e32 vcc_lo, 0, v99
	v_cndmask_b32_e32 v115, 0, v98, vcc_lo
.LBB4_1481:                             ;   in Loop: Header=BB4_1437 Depth=2
	s_or_b32 exec_lo, exec_lo, s29
.LBB4_1482:                             ;   in Loop: Header=BB4_1437 Depth=2
	s_delay_alu instid0(SALU_CYCLE_1) | instskip(SKIP_3) | instid1(VALU_DEP_1)
	s_or_b32 exec_lo, exec_lo, s28
	v_lshrrev_b32_e32 v98, 24, v10
	s_mov_b32 s12, 0
	s_mov_b32 s29, exec_lo
                                        ; implicit-def: $sgpr28
	v_cmpx_lt_i16_e32 0x7f, v98
	s_xor_b32 s29, exec_lo, s29
	s_cbranch_execnz .LBB4_1904
; %bb.1483:                             ;   in Loop: Header=BB4_1437 Depth=2
	s_or_saveexec_b32 s29, s29
	v_mov_b32_e32 v99, s28
	s_xor_b32 exec_lo, exec_lo, s29
	s_cbranch_execnz .LBB4_1907
.LBB4_1484:                             ;   in Loop: Header=BB4_1437 Depth=2
	s_or_b32 exec_lo, exec_lo, s29
	s_and_saveexec_b32 s28, s12
	s_cbranch_execz .LBB4_1486
.LBB4_1485:                             ;   in Loop: Header=BB4_1437 Depth=2
	v_bfe_u32 v99, v10, 24, 3
	s_delay_alu instid0(VALU_DEP_1) | instskip(NEXT) | instid1(VALU_DEP_1)
	v_clz_i32_u32_e32 v100, v99
	v_min_u32_e32 v100, 32, v100
	s_delay_alu instid0(VALU_DEP_1) | instskip(SKIP_1) | instid1(VALU_DEP_2)
	v_subrev_nc_u32_e32 v102, 28, v100
	v_sub_nc_u32_e32 v100, 29, v100
	v_lshlrev_b32_e32 v98, v102, v98
	v_bfe_u32 v102, v10, 27, 4
	v_and_b32_e32 v10, 0x80000000, v10
	s_delay_alu instid0(VALU_DEP_3) | instskip(NEXT) | instid1(VALU_DEP_3)
	v_and_b32_e32 v98, 7, v98
	v_cmp_eq_u32_e32 vcc_lo, 0, v102
	v_cndmask_b32_e32 v100, v102, v100, vcc_lo
	s_delay_alu instid0(VALU_DEP_3) | instskip(NEXT) | instid1(VALU_DEP_2)
	v_cndmask_b32_e32 v98, v99, v98, vcc_lo
	v_lshl_add_u32 v99, v100, 23, 0x3b800000
	s_delay_alu instid0(VALU_DEP_2) | instskip(NEXT) | instid1(VALU_DEP_1)
	v_lshlrev_b32_e32 v98, 20, v98
	v_or3_b32 v99, v10, v99, v98
.LBB4_1486:                             ;   in Loop: Header=BB4_1437 Depth=2
	s_or_b32 exec_lo, exec_lo, s28
	s_delay_alu instid0(VALU_DEP_1) | instskip(SKIP_2) | instid1(VALU_DEP_2)
	v_mul_f32_e32 v10, s27, v99
	v_mov_b32_e32 v118, 0x80
	s_mov_b32 s28, exec_lo
	v_and_b32_e32 v98, 0x7f800000, v10
	s_delay_alu instid0(VALU_DEP_1)
	v_cmpx_ne_u32_e32 0x7f800000, v98
	s_cbranch_execz .LBB4_1494
; %bb.1487:                             ;   in Loop: Header=BB4_1437 Depth=2
	v_mov_b32_e32 v118, 0
	s_mov_b32 s29, exec_lo
	v_cmpx_ne_u32_e32 0, v10
	s_cbranch_execz .LBB4_1493
; %bb.1488:                             ;   in Loop: Header=BB4_1437 Depth=2
	v_bfe_u32 v98, v10, 23, 8
	s_delay_alu instid0(VALU_DEP_1) | instskip(SKIP_1) | instid1(VALU_DEP_2)
	v_sub_nc_u32_e32 v100, 0x78, v98
	v_cmp_gt_u32_e32 vcc_lo, 0x79, v98
	v_dual_cndmask_b32 v100, 0, v100 :: v_dual_and_b32 v99, 0x7fffff, v10
	s_delay_alu instid0(VALU_DEP_1) | instskip(SKIP_2) | instid1(VALU_DEP_4)
	v_or_b32_e32 v102, 0x800000, v99
	v_cmp_eq_u32_e32 vcc_lo, 0, v98
	v_add_nc_u32_e32 v98, 0xffffff89, v98
	v_cndmask_b32_e64 v100, v100, 0x77, vcc_lo
	s_delay_alu instid0(VALU_DEP_4) | instskip(NEXT) | instid1(VALU_DEP_3)
	v_cndmask_b32_e32 v99, v102, v99, vcc_lo
	v_cndmask_b32_e64 v98, v98, 0xffffff8a, vcc_lo
	s_delay_alu instid0(VALU_DEP_3) | instskip(NEXT) | instid1(VALU_DEP_3)
	v_lshl_add_u32 v102, 0x100000, v100, -1
	v_lshrrev_b32_e32 v103, v100, v99
	v_lshlrev_b32_e64 v113, v100, 0x80000
	s_delay_alu instid0(VALU_DEP_4) | instskip(NEXT) | instid1(VALU_DEP_4)
	v_add_nc_u32_e32 v100, v100, v98
	v_and_b32_e32 v99, v102, v99
	s_delay_alu instid0(VALU_DEP_4) | instskip(NEXT) | instid1(VALU_DEP_2)
	v_bfe_u32 v112, v103, 20, 1
	v_cmp_eq_u32_e64 s12, v99, v113
	s_delay_alu instid0(VALU_DEP_2) | instskip(NEXT) | instid1(VALU_DEP_1)
	v_add_nc_u32_e32 v102, -1, v112
	v_cndmask_b32_e64 v99, 0, v102, s12
	v_lshrrev_b32_e32 v102, 23, v103
	s_mov_b32 s12, exec_lo
	s_delay_alu instid0(VALU_DEP_2) | instskip(NEXT) | instid1(VALU_DEP_2)
	v_add_nc_u32_e32 v99, v99, v103
	v_xor_b32_e32 v102, 1, v102
	s_delay_alu instid0(VALU_DEP_2) | instskip(NEXT) | instid1(VALU_DEP_1)
	v_and_b32_e32 v98, 0xfffff, v99
	v_add_nc_u32_e32 v99, v98, v103
                                        ; implicit-def: $vgpr98
	s_delay_alu instid0(VALU_DEP_3)
	v_cmpx_ne_u32_e64 v100, v102
	s_xor_b32 s12, exec_lo, s12
; %bb.1489:                             ;   in Loop: Header=BB4_1437 Depth=2
	s_delay_alu instid0(VALU_DEP_2) | instskip(SKIP_2) | instid1(VALU_DEP_2)
	v_cmp_lt_u32_e32 vcc_lo, 0xffffff, v99
	v_sub_nc_u32_e32 v98, v100, v102
	v_cndmask_b32_e64 v100, 0, 1, vcc_lo
	v_add_co_ci_u32_e32 v98, vcc_lo, 0, v98, vcc_lo
	s_delay_alu instid0(VALU_DEP_2)
	v_lshrrev_b32_e32 v99, v100, v99
; %bb.1490:                             ;   in Loop: Header=BB4_1437 Depth=2
	s_and_not1_saveexec_b32 s12, s12
; %bb.1491:                             ;   in Loop: Header=BB4_1437 Depth=2
	s_delay_alu instid0(VALU_DEP_1)
	v_bfe_u32 v98, v99, 23, 1
; %bb.1492:                             ;   in Loop: Header=BB4_1437 Depth=2
	s_or_b32 exec_lo, exec_lo, s12
	v_lshrrev_b32_e32 v99, 20, v99
	s_delay_alu instid0(VALU_DEP_2) | instskip(SKIP_2) | instid1(VALU_DEP_2)
	v_cmp_gt_i32_e32 vcc_lo, 16, v98
	v_lshrrev_b32_e32 v10, 24, v10
	v_min_i32_e32 v100, 15, v98
	v_dual_cndmask_b32 v99, 7, v99 :: v_dual_and_b32 v10, 0x80, v10
	s_delay_alu instid0(VALU_DEP_2) | instskip(NEXT) | instid1(VALU_DEP_2)
	v_lshlrev_b32_e32 v100, 3, v100
	v_and_b32_e32 v102, 7, v99
	v_or_b32_e32 v98, v98, v99
	s_delay_alu instid0(VALU_DEP_2) | instskip(NEXT) | instid1(VALU_DEP_2)
	v_or3_b32 v10, v100, v10, v102
	v_cmp_ne_u32_e32 vcc_lo, 0, v98
	s_delay_alu instid0(VALU_DEP_2)
	v_cndmask_b32_e32 v118, 0, v10, vcc_lo
.LBB4_1493:                             ;   in Loop: Header=BB4_1437 Depth=2
	s_or_b32 exec_lo, exec_lo, s29
.LBB4_1494:                             ;   in Loop: Header=BB4_1437 Depth=2
	s_delay_alu instid0(SALU_CYCLE_1) | instskip(SKIP_3) | instid1(VALU_DEP_1)
	s_or_b32 exec_lo, exec_lo, s28
	v_and_b32_e32 v98, 0xff, v11
	s_mov_b32 s12, 0
	s_mov_b32 s29, exec_lo
                                        ; implicit-def: $sgpr28
	v_cmpx_lt_i16_e32 0x7f, v98
	s_xor_b32 s29, exec_lo, s29
	s_cbranch_execnz .LBB4_1908
; %bb.1495:                             ;   in Loop: Header=BB4_1437 Depth=2
	s_or_saveexec_b32 s29, s29
	v_mov_b32_e32 v10, s28
	s_xor_b32 exec_lo, exec_lo, s29
	s_cbranch_execnz .LBB4_1911
.LBB4_1496:                             ;   in Loop: Header=BB4_1437 Depth=2
	s_or_b32 exec_lo, exec_lo, s29
	s_and_saveexec_b32 s28, s12
	s_cbranch_execz .LBB4_1498
.LBB4_1497:                             ;   in Loop: Header=BB4_1437 Depth=2
	v_and_b32_e32 v10, 7, v11
	v_bfe_u32 v100, v11, 3, 4
	v_lshlrev_b32_e32 v102, 24, v11
	s_delay_alu instid0(VALU_DEP_3) | instskip(NEXT) | instid1(VALU_DEP_3)
	v_clz_i32_u32_e32 v98, v10
	v_cmp_eq_u32_e32 vcc_lo, 0, v100
	s_delay_alu instid0(VALU_DEP_2) | instskip(NEXT) | instid1(VALU_DEP_1)
	v_min_u32_e32 v98, 32, v98
	v_subrev_nc_u32_e32 v99, 28, v98
	v_sub_nc_u32_e32 v98, 29, v98
	s_delay_alu instid0(VALU_DEP_1) | instskip(NEXT) | instid1(VALU_DEP_1)
	v_dual_cndmask_b32 v98, v100, v98 :: v_dual_lshlrev_b32 v99, v99, v11
	v_and_b32_e32 v99, 7, v99
	s_delay_alu instid0(VALU_DEP_2) | instskip(NEXT) | instid1(VALU_DEP_2)
	v_lshl_add_u32 v98, v98, 23, 0x3b800000
	v_dual_cndmask_b32 v10, v10, v99 :: v_dual_and_b32 v99, 0x80000000, v102
	s_delay_alu instid0(VALU_DEP_1) | instskip(NEXT) | instid1(VALU_DEP_1)
	v_lshlrev_b32_e32 v10, 20, v10
	v_or3_b32 v10, v99, v98, v10
.LBB4_1498:                             ;   in Loop: Header=BB4_1437 Depth=2
	s_or_b32 exec_lo, exec_lo, s28
	s_delay_alu instid0(VALU_DEP_1) | instskip(SKIP_1) | instid1(VALU_DEP_1)
	v_dual_mul_f32 v10, s27, v10 :: v_dual_mov_b32 v117, 0x80
	s_mov_b32 s28, exec_lo
	v_and_b32_e32 v98, 0x7f800000, v10
	s_delay_alu instid0(VALU_DEP_1)
	v_cmpx_ne_u32_e32 0x7f800000, v98
	s_cbranch_execz .LBB4_1506
; %bb.1499:                             ;   in Loop: Header=BB4_1437 Depth=2
	v_mov_b32_e32 v117, 0
	s_mov_b32 s29, exec_lo
	v_cmpx_ne_u32_e32 0, v10
	s_cbranch_execz .LBB4_1505
; %bb.1500:                             ;   in Loop: Header=BB4_1437 Depth=2
	v_bfe_u32 v98, v10, 23, 8
	s_delay_alu instid0(VALU_DEP_1) | instskip(SKIP_1) | instid1(VALU_DEP_2)
	v_sub_nc_u32_e32 v100, 0x78, v98
	v_cmp_gt_u32_e32 vcc_lo, 0x79, v98
	v_dual_cndmask_b32 v100, 0, v100 :: v_dual_and_b32 v99, 0x7fffff, v10
	s_delay_alu instid0(VALU_DEP_1) | instskip(SKIP_2) | instid1(VALU_DEP_4)
	v_or_b32_e32 v102, 0x800000, v99
	v_cmp_eq_u32_e32 vcc_lo, 0, v98
	v_add_nc_u32_e32 v98, 0xffffff89, v98
	v_cndmask_b32_e64 v100, v100, 0x77, vcc_lo
	s_delay_alu instid0(VALU_DEP_4) | instskip(NEXT) | instid1(VALU_DEP_3)
	v_cndmask_b32_e32 v99, v102, v99, vcc_lo
	v_cndmask_b32_e64 v98, v98, 0xffffff8a, vcc_lo
	s_delay_alu instid0(VALU_DEP_3) | instskip(NEXT) | instid1(VALU_DEP_3)
	v_lshl_add_u32 v102, 0x100000, v100, -1
	v_lshrrev_b32_e32 v103, v100, v99
	v_lshlrev_b32_e64 v113, v100, 0x80000
	s_delay_alu instid0(VALU_DEP_4) | instskip(NEXT) | instid1(VALU_DEP_4)
	v_add_nc_u32_e32 v100, v100, v98
	v_and_b32_e32 v99, v102, v99
	s_delay_alu instid0(VALU_DEP_4) | instskip(NEXT) | instid1(VALU_DEP_2)
	v_bfe_u32 v112, v103, 20, 1
	v_cmp_eq_u32_e64 s12, v99, v113
	s_delay_alu instid0(VALU_DEP_2) | instskip(NEXT) | instid1(VALU_DEP_1)
	v_add_nc_u32_e32 v102, -1, v112
	v_cndmask_b32_e64 v99, 0, v102, s12
	v_lshrrev_b32_e32 v102, 23, v103
	s_mov_b32 s12, exec_lo
	s_delay_alu instid0(VALU_DEP_2) | instskip(NEXT) | instid1(VALU_DEP_2)
	v_add_nc_u32_e32 v99, v99, v103
	v_xor_b32_e32 v102, 1, v102
	s_delay_alu instid0(VALU_DEP_2) | instskip(NEXT) | instid1(VALU_DEP_1)
	v_and_b32_e32 v98, 0xfffff, v99
	v_add_nc_u32_e32 v99, v98, v103
                                        ; implicit-def: $vgpr98
	s_delay_alu instid0(VALU_DEP_3)
	v_cmpx_ne_u32_e64 v100, v102
	s_xor_b32 s12, exec_lo, s12
; %bb.1501:                             ;   in Loop: Header=BB4_1437 Depth=2
	s_delay_alu instid0(VALU_DEP_2) | instskip(SKIP_2) | instid1(VALU_DEP_2)
	v_cmp_lt_u32_e32 vcc_lo, 0xffffff, v99
	v_sub_nc_u32_e32 v98, v100, v102
	v_cndmask_b32_e64 v100, 0, 1, vcc_lo
	v_add_co_ci_u32_e32 v98, vcc_lo, 0, v98, vcc_lo
	s_delay_alu instid0(VALU_DEP_2)
	v_lshrrev_b32_e32 v99, v100, v99
; %bb.1502:                             ;   in Loop: Header=BB4_1437 Depth=2
	s_and_not1_saveexec_b32 s12, s12
; %bb.1503:                             ;   in Loop: Header=BB4_1437 Depth=2
	s_delay_alu instid0(VALU_DEP_1)
	v_bfe_u32 v98, v99, 23, 1
; %bb.1504:                             ;   in Loop: Header=BB4_1437 Depth=2
	s_or_b32 exec_lo, exec_lo, s12
	v_lshrrev_b32_e32 v99, 20, v99
	s_delay_alu instid0(VALU_DEP_2) | instskip(SKIP_2) | instid1(VALU_DEP_2)
	v_cmp_gt_i32_e32 vcc_lo, 16, v98
	v_min_i32_e32 v100, 15, v98
	v_lshrrev_b32_e32 v10, 24, v10
	v_dual_cndmask_b32 v99, 7, v99 :: v_dual_lshlrev_b32 v100, 3, v100
	s_delay_alu instid0(VALU_DEP_2) | instskip(NEXT) | instid1(VALU_DEP_2)
	v_and_b32_e32 v10, 0x80, v10
	v_or_b32_e32 v98, v98, v99
	s_delay_alu instid0(VALU_DEP_3) | instskip(NEXT) | instid1(VALU_DEP_2)
	v_and_b32_e32 v100, 0xf8, v100
	v_cmp_ne_u32_e32 vcc_lo, 0, v98
	v_and_b32_e32 v102, 7, v99
	s_delay_alu instid0(VALU_DEP_1) | instskip(NEXT) | instid1(VALU_DEP_1)
	v_or3_b32 v10, v100, v10, v102
	v_cndmask_b32_e32 v117, 0, v10, vcc_lo
.LBB4_1505:                             ;   in Loop: Header=BB4_1437 Depth=2
	s_or_b32 exec_lo, exec_lo, s29
.LBB4_1506:                             ;   in Loop: Header=BB4_1437 Depth=2
	s_delay_alu instid0(SALU_CYCLE_1) | instskip(SKIP_3) | instid1(VALU_DEP_1)
	s_or_b32 exec_lo, exec_lo, s28
	v_lshrrev_b16 v10, 8, v11
	s_mov_b32 s12, 0
	s_mov_b32 s29, exec_lo
                                        ; implicit-def: $sgpr28
	v_cmpx_lt_i16_e32 0x7f, v10
	s_xor_b32 s29, exec_lo, s29
	s_cbranch_execnz .LBB4_1912
; %bb.1507:                             ;   in Loop: Header=BB4_1437 Depth=2
	s_or_saveexec_b32 s29, s29
	v_mov_b32_e32 v98, s28
	s_xor_b32 exec_lo, exec_lo, s29
	s_cbranch_execnz .LBB4_1915
.LBB4_1508:                             ;   in Loop: Header=BB4_1437 Depth=2
	s_or_b32 exec_lo, exec_lo, s29
	s_and_saveexec_b32 s28, s12
	s_cbranch_execz .LBB4_1510
.LBB4_1509:                             ;   in Loop: Header=BB4_1437 Depth=2
	v_and_b32_e32 v98, 0xffff, v10
	v_lshlrev_b32_e32 v10, 24, v10
	s_delay_alu instid0(VALU_DEP_2) | instskip(NEXT) | instid1(VALU_DEP_2)
	v_and_b32_e32 v99, 7, v98
	v_and_b32_e32 v10, 0x80000000, v10
	s_delay_alu instid0(VALU_DEP_2) | instskip(NEXT) | instid1(VALU_DEP_1)
	v_clz_i32_u32_e32 v100, v99
	v_min_u32_e32 v100, 32, v100
	s_delay_alu instid0(VALU_DEP_1) | instskip(SKIP_1) | instid1(VALU_DEP_2)
	v_subrev_nc_u32_e32 v102, 28, v100
	v_sub_nc_u32_e32 v100, 29, v100
	v_lshlrev_b32_e32 v102, v102, v98
	v_bfe_u32 v98, v98, 3, 4
	s_delay_alu instid0(VALU_DEP_2) | instskip(NEXT) | instid1(VALU_DEP_2)
	v_and_b32_e32 v102, 7, v102
	v_cmp_eq_u32_e32 vcc_lo, 0, v98
	s_delay_alu instid0(VALU_DEP_2) | instskip(NEXT) | instid1(VALU_DEP_1)
	v_dual_cndmask_b32 v98, v98, v100 :: v_dual_cndmask_b32 v99, v99, v102
	v_lshl_add_u32 v98, v98, 23, 0x3b800000
	s_delay_alu instid0(VALU_DEP_2) | instskip(NEXT) | instid1(VALU_DEP_1)
	v_lshlrev_b32_e32 v99, 20, v99
	v_or3_b32 v98, v10, v98, v99
.LBB4_1510:                             ;   in Loop: Header=BB4_1437 Depth=2
	s_or_b32 exec_lo, exec_lo, s28
	s_delay_alu instid0(VALU_DEP_1) | instskip(SKIP_2) | instid1(VALU_DEP_2)
	v_mul_f32_e32 v10, s27, v98
	v_mov_b32_e32 v128, 0x8000
	s_mov_b32 s28, exec_lo
	v_and_b32_e32 v98, 0x7f800000, v10
	s_delay_alu instid0(VALU_DEP_1)
	v_cmpx_ne_u32_e32 0x7f800000, v98
	s_cbranch_execz .LBB4_1518
; %bb.1511:                             ;   in Loop: Header=BB4_1437 Depth=2
	v_mov_b32_e32 v128, 0
	s_mov_b32 s29, exec_lo
	v_cmpx_ne_u32_e32 0, v10
	s_cbranch_execz .LBB4_1517
; %bb.1512:                             ;   in Loop: Header=BB4_1437 Depth=2
	v_bfe_u32 v98, v10, 23, 8
	s_delay_alu instid0(VALU_DEP_1) | instskip(SKIP_1) | instid1(VALU_DEP_2)
	v_sub_nc_u32_e32 v100, 0x78, v98
	v_cmp_gt_u32_e32 vcc_lo, 0x79, v98
	v_dual_cndmask_b32 v100, 0, v100 :: v_dual_and_b32 v99, 0x7fffff, v10
	s_delay_alu instid0(VALU_DEP_1) | instskip(SKIP_2) | instid1(VALU_DEP_4)
	v_or_b32_e32 v102, 0x800000, v99
	v_cmp_eq_u32_e32 vcc_lo, 0, v98
	v_add_nc_u32_e32 v98, 0xffffff89, v98
	v_cndmask_b32_e64 v100, v100, 0x77, vcc_lo
	s_delay_alu instid0(VALU_DEP_4) | instskip(NEXT) | instid1(VALU_DEP_3)
	v_cndmask_b32_e32 v99, v102, v99, vcc_lo
	v_cndmask_b32_e64 v98, v98, 0xffffff8a, vcc_lo
	s_delay_alu instid0(VALU_DEP_3) | instskip(NEXT) | instid1(VALU_DEP_3)
	v_lshl_add_u32 v102, 0x100000, v100, -1
	v_lshrrev_b32_e32 v103, v100, v99
	v_lshlrev_b32_e64 v113, v100, 0x80000
	s_delay_alu instid0(VALU_DEP_4) | instskip(NEXT) | instid1(VALU_DEP_4)
	v_add_nc_u32_e32 v100, v100, v98
	v_and_b32_e32 v99, v102, v99
	s_delay_alu instid0(VALU_DEP_4) | instskip(NEXT) | instid1(VALU_DEP_2)
	v_bfe_u32 v112, v103, 20, 1
	v_cmp_eq_u32_e64 s12, v99, v113
	s_delay_alu instid0(VALU_DEP_2) | instskip(NEXT) | instid1(VALU_DEP_1)
	v_add_nc_u32_e32 v102, -1, v112
	v_cndmask_b32_e64 v99, 0, v102, s12
	v_lshrrev_b32_e32 v102, 23, v103
	s_mov_b32 s12, exec_lo
	s_delay_alu instid0(VALU_DEP_2) | instskip(NEXT) | instid1(VALU_DEP_2)
	v_add_nc_u32_e32 v99, v99, v103
	v_xor_b32_e32 v102, 1, v102
	s_delay_alu instid0(VALU_DEP_2) | instskip(NEXT) | instid1(VALU_DEP_1)
	v_and_b32_e32 v98, 0xfffff, v99
	v_add_nc_u32_e32 v99, v98, v103
                                        ; implicit-def: $vgpr98
	s_delay_alu instid0(VALU_DEP_3)
	v_cmpx_ne_u32_e64 v100, v102
	s_xor_b32 s12, exec_lo, s12
; %bb.1513:                             ;   in Loop: Header=BB4_1437 Depth=2
	s_delay_alu instid0(VALU_DEP_2) | instskip(SKIP_2) | instid1(VALU_DEP_2)
	v_cmp_lt_u32_e32 vcc_lo, 0xffffff, v99
	v_sub_nc_u32_e32 v98, v100, v102
	v_cndmask_b32_e64 v100, 0, 1, vcc_lo
	v_add_co_ci_u32_e32 v98, vcc_lo, 0, v98, vcc_lo
	s_delay_alu instid0(VALU_DEP_2)
	v_lshrrev_b32_e32 v99, v100, v99
; %bb.1514:                             ;   in Loop: Header=BB4_1437 Depth=2
	s_and_not1_saveexec_b32 s12, s12
; %bb.1515:                             ;   in Loop: Header=BB4_1437 Depth=2
	s_delay_alu instid0(VALU_DEP_1)
	v_bfe_u32 v98, v99, 23, 1
; %bb.1516:                             ;   in Loop: Header=BB4_1437 Depth=2
	s_or_b32 exec_lo, exec_lo, s12
	v_lshrrev_b32_e32 v99, 20, v99
	s_delay_alu instid0(VALU_DEP_2) | instskip(SKIP_2) | instid1(VALU_DEP_3)
	v_min_i32_e32 v100, 15, v98
	v_cmp_gt_i32_e32 vcc_lo, 16, v98
	v_lshrrev_b32_e32 v10, 24, v10
	v_dual_cndmask_b32 v99, 7, v99 :: v_dual_lshlrev_b32 v100, 3, v100
	s_delay_alu instid0(VALU_DEP_2) | instskip(NEXT) | instid1(VALU_DEP_2)
	v_and_b32_e32 v10, 0x80, v10
	v_and_b32_e32 v100, 0xf8, v100
	s_delay_alu instid0(VALU_DEP_3) | instskip(SKIP_1) | instid1(VALU_DEP_2)
	v_and_b32_e32 v102, 7, v99
	v_or_b32_e32 v98, v98, v99
	v_or3_b32 v10, v10, v100, v102
	s_delay_alu instid0(VALU_DEP_2) | instskip(NEXT) | instid1(VALU_DEP_2)
	v_cmp_ne_u32_e32 vcc_lo, 0, v98
	v_lshlrev_b32_e32 v10, 8, v10
	s_delay_alu instid0(VALU_DEP_1)
	v_cndmask_b32_e32 v128, 0, v10, vcc_lo
.LBB4_1517:                             ;   in Loop: Header=BB4_1437 Depth=2
	s_or_b32 exec_lo, exec_lo, s29
.LBB4_1518:                             ;   in Loop: Header=BB4_1437 Depth=2
	s_delay_alu instid0(SALU_CYCLE_1) | instskip(SKIP_3) | instid1(VALU_DEP_1)
	s_or_b32 exec_lo, exec_lo, s28
	v_lshrrev_b32_e32 v10, 16, v11
	s_mov_b32 s12, 0
	s_mov_b32 s29, exec_lo
                                        ; implicit-def: $sgpr28
	v_and_b32_e32 v99, 0xff, v10
	s_delay_alu instid0(VALU_DEP_1)
	v_cmpx_lt_i16_e32 0x7f, v99
	s_xor_b32 s29, exec_lo, s29
	s_cbranch_execnz .LBB4_1916
; %bb.1519:                             ;   in Loop: Header=BB4_1437 Depth=2
	s_or_saveexec_b32 s29, s29
	v_mov_b32_e32 v98, s28
	s_xor_b32 exec_lo, exec_lo, s29
	s_cbranch_execnz .LBB4_1919
.LBB4_1520:                             ;   in Loop: Header=BB4_1437 Depth=2
	s_or_b32 exec_lo, exec_lo, s29
	s_and_saveexec_b32 s28, s12
	s_cbranch_execz .LBB4_1522
.LBB4_1521:                             ;   in Loop: Header=BB4_1437 Depth=2
	v_bfe_u32 v98, v11, 16, 3
	v_lshlrev_b32_e32 v102, 8, v11
	s_delay_alu instid0(VALU_DEP_2) | instskip(NEXT) | instid1(VALU_DEP_1)
	v_clz_i32_u32_e32 v99, v98
	v_min_u32_e32 v99, 32, v99
	s_delay_alu instid0(VALU_DEP_1) | instskip(SKIP_1) | instid1(VALU_DEP_2)
	v_subrev_nc_u32_e32 v100, 28, v99
	v_sub_nc_u32_e32 v99, 29, v99
	v_lshlrev_b32_e32 v10, v100, v10
	v_bfe_u32 v100, v11, 19, 4
	s_delay_alu instid0(VALU_DEP_1) | instskip(NEXT) | instid1(VALU_DEP_3)
	v_cmp_eq_u32_e32 vcc_lo, 0, v100
	v_dual_cndmask_b32 v99, v100, v99 :: v_dual_and_b32 v10, 7, v10
	s_delay_alu instid0(VALU_DEP_1) | instskip(SKIP_1) | instid1(VALU_DEP_3)
	v_cndmask_b32_e32 v10, v98, v10, vcc_lo
	v_and_b32_e32 v98, 0x80000000, v102
	v_lshl_add_u32 v99, v99, 23, 0x3b800000
	s_delay_alu instid0(VALU_DEP_3) | instskip(NEXT) | instid1(VALU_DEP_1)
	v_lshlrev_b32_e32 v10, 20, v10
	v_or3_b32 v98, v98, v99, v10
.LBB4_1522:                             ;   in Loop: Header=BB4_1437 Depth=2
	s_or_b32 exec_lo, exec_lo, s28
	s_delay_alu instid0(VALU_DEP_1) | instskip(SKIP_2) | instid1(VALU_DEP_2)
	v_mul_f32_e32 v10, s27, v98
	v_mov_b32_e32 v116, 0x80
	s_mov_b32 s28, exec_lo
	v_and_b32_e32 v98, 0x7f800000, v10
	s_delay_alu instid0(VALU_DEP_1)
	v_cmpx_ne_u32_e32 0x7f800000, v98
	s_cbranch_execz .LBB4_1530
; %bb.1523:                             ;   in Loop: Header=BB4_1437 Depth=2
	v_mov_b32_e32 v116, 0
	s_mov_b32 s29, exec_lo
	v_cmpx_ne_u32_e32 0, v10
	s_cbranch_execz .LBB4_1529
; %bb.1524:                             ;   in Loop: Header=BB4_1437 Depth=2
	v_bfe_u32 v98, v10, 23, 8
	s_delay_alu instid0(VALU_DEP_1) | instskip(SKIP_1) | instid1(VALU_DEP_2)
	v_sub_nc_u32_e32 v100, 0x78, v98
	v_cmp_gt_u32_e32 vcc_lo, 0x79, v98
	v_dual_cndmask_b32 v100, 0, v100 :: v_dual_and_b32 v99, 0x7fffff, v10
	s_delay_alu instid0(VALU_DEP_1) | instskip(SKIP_2) | instid1(VALU_DEP_4)
	v_or_b32_e32 v102, 0x800000, v99
	v_cmp_eq_u32_e32 vcc_lo, 0, v98
	v_add_nc_u32_e32 v98, 0xffffff89, v98
	v_cndmask_b32_e64 v100, v100, 0x77, vcc_lo
	s_delay_alu instid0(VALU_DEP_4) | instskip(NEXT) | instid1(VALU_DEP_3)
	v_cndmask_b32_e32 v99, v102, v99, vcc_lo
	v_cndmask_b32_e64 v98, v98, 0xffffff8a, vcc_lo
	s_delay_alu instid0(VALU_DEP_3) | instskip(NEXT) | instid1(VALU_DEP_3)
	v_lshl_add_u32 v102, 0x100000, v100, -1
	v_lshrrev_b32_e32 v103, v100, v99
	v_lshlrev_b32_e64 v113, v100, 0x80000
	s_delay_alu instid0(VALU_DEP_4) | instskip(NEXT) | instid1(VALU_DEP_4)
	v_add_nc_u32_e32 v100, v100, v98
	v_and_b32_e32 v99, v102, v99
	s_delay_alu instid0(VALU_DEP_4) | instskip(NEXT) | instid1(VALU_DEP_2)
	v_bfe_u32 v112, v103, 20, 1
	v_cmp_eq_u32_e64 s12, v99, v113
	s_delay_alu instid0(VALU_DEP_2) | instskip(NEXT) | instid1(VALU_DEP_1)
	v_add_nc_u32_e32 v102, -1, v112
	v_cndmask_b32_e64 v99, 0, v102, s12
	v_lshrrev_b32_e32 v102, 23, v103
	s_mov_b32 s12, exec_lo
	s_delay_alu instid0(VALU_DEP_2) | instskip(NEXT) | instid1(VALU_DEP_2)
	v_add_nc_u32_e32 v99, v99, v103
	v_xor_b32_e32 v102, 1, v102
	s_delay_alu instid0(VALU_DEP_2) | instskip(NEXT) | instid1(VALU_DEP_1)
	v_and_b32_e32 v98, 0xfffff, v99
	v_add_nc_u32_e32 v99, v98, v103
                                        ; implicit-def: $vgpr98
	s_delay_alu instid0(VALU_DEP_3)
	v_cmpx_ne_u32_e64 v100, v102
	s_xor_b32 s12, exec_lo, s12
; %bb.1525:                             ;   in Loop: Header=BB4_1437 Depth=2
	s_delay_alu instid0(VALU_DEP_2) | instskip(SKIP_2) | instid1(VALU_DEP_2)
	v_cmp_lt_u32_e32 vcc_lo, 0xffffff, v99
	v_sub_nc_u32_e32 v98, v100, v102
	v_cndmask_b32_e64 v100, 0, 1, vcc_lo
	v_add_co_ci_u32_e32 v98, vcc_lo, 0, v98, vcc_lo
	s_delay_alu instid0(VALU_DEP_2)
	v_lshrrev_b32_e32 v99, v100, v99
; %bb.1526:                             ;   in Loop: Header=BB4_1437 Depth=2
	s_and_not1_saveexec_b32 s12, s12
; %bb.1527:                             ;   in Loop: Header=BB4_1437 Depth=2
	s_delay_alu instid0(VALU_DEP_1)
	v_bfe_u32 v98, v99, 23, 1
; %bb.1528:                             ;   in Loop: Header=BB4_1437 Depth=2
	s_or_b32 exec_lo, exec_lo, s12
	v_lshrrev_b32_e32 v99, 20, v99
	s_delay_alu instid0(VALU_DEP_2) | instskip(SKIP_2) | instid1(VALU_DEP_3)
	v_min_i32_e32 v100, 15, v98
	v_cmp_gt_i32_e32 vcc_lo, 16, v98
	v_lshrrev_b32_e32 v10, 24, v10
	v_dual_cndmask_b32 v99, 7, v99 :: v_dual_lshlrev_b32 v100, 3, v100
	s_delay_alu instid0(VALU_DEP_2) | instskip(NEXT) | instid1(VALU_DEP_2)
	v_and_b32_e32 v10, 0x80, v10
	v_and_b32_e32 v100, 0xf8, v100
	s_delay_alu instid0(VALU_DEP_3) | instskip(SKIP_1) | instid1(VALU_DEP_2)
	v_and_b32_e32 v102, 7, v99
	v_or_b32_e32 v98, v98, v99
	v_or3_b32 v10, v100, v10, v102
	s_delay_alu instid0(VALU_DEP_2) | instskip(NEXT) | instid1(VALU_DEP_2)
	v_cmp_ne_u32_e32 vcc_lo, 0, v98
	v_cndmask_b32_e32 v116, 0, v10, vcc_lo
.LBB4_1529:                             ;   in Loop: Header=BB4_1437 Depth=2
	s_or_b32 exec_lo, exec_lo, s29
.LBB4_1530:                             ;   in Loop: Header=BB4_1437 Depth=2
	s_delay_alu instid0(SALU_CYCLE_1) | instskip(SKIP_3) | instid1(VALU_DEP_1)
	s_or_b32 exec_lo, exec_lo, s28
	v_lshrrev_b32_e32 v10, 24, v11
	s_mov_b32 s12, 0
	s_mov_b32 s29, exec_lo
                                        ; implicit-def: $sgpr28
	v_cmpx_lt_i16_e32 0x7f, v10
	s_xor_b32 s29, exec_lo, s29
	s_cbranch_execnz .LBB4_1920
; %bb.1531:                             ;   in Loop: Header=BB4_1437 Depth=2
	s_or_saveexec_b32 s29, s29
	v_mov_b32_e32 v98, s28
	s_xor_b32 exec_lo, exec_lo, s29
	s_cbranch_execnz .LBB4_1923
.LBB4_1532:                             ;   in Loop: Header=BB4_1437 Depth=2
	s_or_b32 exec_lo, exec_lo, s29
	s_and_saveexec_b32 s28, s12
	s_cbranch_execz .LBB4_1534
.LBB4_1533:                             ;   in Loop: Header=BB4_1437 Depth=2
	v_bfe_u32 v98, v11, 24, 3
	s_delay_alu instid0(VALU_DEP_1) | instskip(NEXT) | instid1(VALU_DEP_1)
	v_clz_i32_u32_e32 v99, v98
	v_min_u32_e32 v99, 32, v99
	s_delay_alu instid0(VALU_DEP_1) | instskip(SKIP_1) | instid1(VALU_DEP_2)
	v_subrev_nc_u32_e32 v100, 28, v99
	v_sub_nc_u32_e32 v99, 29, v99
	v_lshlrev_b32_e32 v10, v100, v10
	v_bfe_u32 v100, v11, 27, 4
	v_and_b32_e32 v11, 0x80000000, v11
	s_delay_alu instid0(VALU_DEP_2) | instskip(NEXT) | instid1(VALU_DEP_4)
	v_cmp_eq_u32_e32 vcc_lo, 0, v100
	v_dual_cndmask_b32 v99, v100, v99 :: v_dual_and_b32 v10, 7, v10
	s_delay_alu instid0(VALU_DEP_1) | instskip(NEXT) | instid1(VALU_DEP_2)
	v_cndmask_b32_e32 v10, v98, v10, vcc_lo
	v_lshl_add_u32 v98, v99, 23, 0x3b800000
	s_delay_alu instid0(VALU_DEP_2) | instskip(NEXT) | instid1(VALU_DEP_1)
	v_lshlrev_b32_e32 v10, 20, v10
	v_or3_b32 v98, v11, v98, v10
.LBB4_1534:                             ;   in Loop: Header=BB4_1437 Depth=2
	s_or_b32 exec_lo, exec_lo, s28
	s_delay_alu instid0(VALU_DEP_1) | instskip(SKIP_1) | instid1(VALU_DEP_1)
	v_dual_mul_f32 v10, s27, v98 :: v_dual_mov_b32 v119, 0x8000
	s_mov_b32 s28, exec_lo
	v_and_b32_e32 v11, 0x7f800000, v10
	s_delay_alu instid0(VALU_DEP_1)
	v_cmpx_ne_u32_e32 0x7f800000, v11
	s_cbranch_execz .LBB4_1542
; %bb.1535:                             ;   in Loop: Header=BB4_1437 Depth=2
	v_mov_b32_e32 v119, 0
	s_mov_b32 s29, exec_lo
	v_cmpx_ne_u32_e32 0, v10
	s_cbranch_execz .LBB4_1541
; %bb.1536:                             ;   in Loop: Header=BB4_1437 Depth=2
	v_bfe_u32 v11, v10, 23, 8
	s_delay_alu instid0(VALU_DEP_1) | instskip(SKIP_1) | instid1(VALU_DEP_2)
	v_sub_nc_u32_e32 v99, 0x78, v11
	v_cmp_gt_u32_e32 vcc_lo, 0x79, v11
	v_dual_cndmask_b32 v99, 0, v99 :: v_dual_and_b32 v98, 0x7fffff, v10
	s_delay_alu instid0(VALU_DEP_1) | instskip(SKIP_2) | instid1(VALU_DEP_4)
	v_or_b32_e32 v100, 0x800000, v98
	v_cmp_eq_u32_e32 vcc_lo, 0, v11
	v_add_nc_u32_e32 v11, 0xffffff89, v11
	v_cndmask_b32_e64 v99, v99, 0x77, vcc_lo
	s_delay_alu instid0(VALU_DEP_4) | instskip(NEXT) | instid1(VALU_DEP_3)
	v_cndmask_b32_e32 v98, v100, v98, vcc_lo
	v_cndmask_b32_e64 v11, v11, 0xffffff8a, vcc_lo
	s_delay_alu instid0(VALU_DEP_3) | instskip(NEXT) | instid1(VALU_DEP_3)
	v_lshl_add_u32 v100, 0x100000, v99, -1
	v_lshrrev_b32_e32 v102, v99, v98
	v_lshlrev_b32_e64 v112, v99, 0x80000
	s_delay_alu instid0(VALU_DEP_4) | instskip(NEXT) | instid1(VALU_DEP_4)
	v_add_nc_u32_e32 v99, v99, v11
	v_and_b32_e32 v98, v100, v98
	s_delay_alu instid0(VALU_DEP_4) | instskip(NEXT) | instid1(VALU_DEP_2)
	v_bfe_u32 v103, v102, 20, 1
	v_cmp_eq_u32_e64 s12, v98, v112
	s_delay_alu instid0(VALU_DEP_2) | instskip(NEXT) | instid1(VALU_DEP_1)
	v_add_nc_u32_e32 v100, -1, v103
	v_cndmask_b32_e64 v98, 0, v100, s12
	v_lshrrev_b32_e32 v100, 23, v102
	s_mov_b32 s12, exec_lo
	s_delay_alu instid0(VALU_DEP_2) | instskip(NEXT) | instid1(VALU_DEP_2)
	v_add_nc_u32_e32 v98, v98, v102
	v_xor_b32_e32 v100, 1, v100
	s_delay_alu instid0(VALU_DEP_2) | instskip(NEXT) | instid1(VALU_DEP_1)
	v_and_b32_e32 v11, 0xfffff, v98
	v_add_nc_u32_e32 v98, v11, v102
                                        ; implicit-def: $vgpr11
	s_delay_alu instid0(VALU_DEP_3)
	v_cmpx_ne_u32_e64 v99, v100
	s_xor_b32 s12, exec_lo, s12
; %bb.1537:                             ;   in Loop: Header=BB4_1437 Depth=2
	s_delay_alu instid0(VALU_DEP_2) | instskip(SKIP_2) | instid1(VALU_DEP_2)
	v_cmp_lt_u32_e32 vcc_lo, 0xffffff, v98
	v_sub_nc_u32_e32 v11, v99, v100
	v_cndmask_b32_e64 v99, 0, 1, vcc_lo
	v_add_co_ci_u32_e32 v11, vcc_lo, 0, v11, vcc_lo
	s_delay_alu instid0(VALU_DEP_2)
	v_lshrrev_b32_e32 v98, v99, v98
; %bb.1538:                             ;   in Loop: Header=BB4_1437 Depth=2
	s_and_not1_saveexec_b32 s12, s12
; %bb.1539:                             ;   in Loop: Header=BB4_1437 Depth=2
	s_delay_alu instid0(VALU_DEP_1)
	v_bfe_u32 v11, v98, 23, 1
; %bb.1540:                             ;   in Loop: Header=BB4_1437 Depth=2
	s_or_b32 exec_lo, exec_lo, s12
	v_lshrrev_b32_e32 v98, 20, v98
	s_delay_alu instid0(VALU_DEP_2) | instskip(SKIP_2) | instid1(VALU_DEP_3)
	v_min_i32_e32 v99, 15, v11
	v_cmp_gt_i32_e32 vcc_lo, 16, v11
	v_lshrrev_b32_e32 v10, 24, v10
	v_dual_cndmask_b32 v98, 7, v98 :: v_dual_lshlrev_b32 v99, 3, v99
	s_delay_alu instid0(VALU_DEP_2) | instskip(NEXT) | instid1(VALU_DEP_2)
	v_and_b32_e32 v10, 0x80, v10
	v_and_b32_e32 v99, 0xf8, v99
	s_delay_alu instid0(VALU_DEP_3) | instskip(SKIP_1) | instid1(VALU_DEP_2)
	v_and_b32_e32 v100, 7, v98
	v_or_b32_e32 v11, v11, v98
	v_or3_b32 v10, v10, v99, v100
	s_delay_alu instid0(VALU_DEP_2) | instskip(NEXT) | instid1(VALU_DEP_2)
	v_cmp_ne_u32_e32 vcc_lo, 0, v11
	v_lshlrev_b32_e32 v10, 8, v10
	s_delay_alu instid0(VALU_DEP_1)
	v_cndmask_b32_e32 v119, 0, v10, vcc_lo
.LBB4_1541:                             ;   in Loop: Header=BB4_1437 Depth=2
	s_or_b32 exec_lo, exec_lo, s29
.LBB4_1542:                             ;   in Loop: Header=BB4_1437 Depth=2
	s_delay_alu instid0(SALU_CYCLE_1) | instskip(SKIP_3) | instid1(VALU_DEP_1)
	s_or_b32 exec_lo, exec_lo, s28
	v_and_b32_e32 v11, 0xff, v12
	s_mov_b32 s12, 0
	s_mov_b32 s29, exec_lo
                                        ; implicit-def: $sgpr28
	v_cmpx_lt_i16_e32 0x7f, v11
	s_xor_b32 s29, exec_lo, s29
	s_cbranch_execnz .LBB4_1924
; %bb.1543:                             ;   in Loop: Header=BB4_1437 Depth=2
	s_or_saveexec_b32 s29, s29
	v_mov_b32_e32 v10, s28
	s_xor_b32 exec_lo, exec_lo, s29
	s_cbranch_execnz .LBB4_1927
.LBB4_1544:                             ;   in Loop: Header=BB4_1437 Depth=2
	s_or_b32 exec_lo, exec_lo, s29
	s_and_saveexec_b32 s28, s12
	s_cbranch_execz .LBB4_1546
.LBB4_1545:                             ;   in Loop: Header=BB4_1437 Depth=2
	v_bfe_u32 v99, v12, 3, 4
	v_lshlrev_b32_e32 v100, 24, v12
	s_delay_alu instid0(VALU_DEP_2) | instskip(SKIP_1) | instid1(VALU_DEP_1)
	v_cmp_eq_u32_e32 vcc_lo, 0, v99
	v_and_b32_e32 v10, 7, v12
	v_clz_i32_u32_e32 v11, v10
	s_delay_alu instid0(VALU_DEP_1) | instskip(NEXT) | instid1(VALU_DEP_1)
	v_min_u32_e32 v11, 32, v11
	v_subrev_nc_u32_e32 v98, 28, v11
	v_sub_nc_u32_e32 v11, 29, v11
	s_delay_alu instid0(VALU_DEP_1) | instskip(NEXT) | instid1(VALU_DEP_1)
	v_dual_cndmask_b32 v11, v99, v11 :: v_dual_lshlrev_b32 v98, v98, v12
	v_and_b32_e32 v98, 7, v98
	s_delay_alu instid0(VALU_DEP_2) | instskip(NEXT) | instid1(VALU_DEP_2)
	v_lshl_add_u32 v11, v11, 23, 0x3b800000
	v_cndmask_b32_e32 v10, v10, v98, vcc_lo
	v_and_b32_e32 v98, 0x80000000, v100
	s_delay_alu instid0(VALU_DEP_2) | instskip(NEXT) | instid1(VALU_DEP_1)
	v_lshlrev_b32_e32 v10, 20, v10
	v_or3_b32 v10, v98, v11, v10
.LBB4_1546:                             ;   in Loop: Header=BB4_1437 Depth=2
	s_or_b32 exec_lo, exec_lo, s28
	s_delay_alu instid0(VALU_DEP_1) | instskip(SKIP_2) | instid1(VALU_DEP_2)
	v_mul_f32_e32 v10, s27, v10
	v_mov_b32_e32 v114, 0x80
	s_mov_b32 s28, exec_lo
	v_and_b32_e32 v11, 0x7f800000, v10
	s_delay_alu instid0(VALU_DEP_1)
	v_cmpx_ne_u32_e32 0x7f800000, v11
	s_cbranch_execz .LBB4_1554
; %bb.1547:                             ;   in Loop: Header=BB4_1437 Depth=2
	v_mov_b32_e32 v114, 0
	s_mov_b32 s29, exec_lo
	v_cmpx_ne_u32_e32 0, v10
	s_cbranch_execz .LBB4_1553
; %bb.1548:                             ;   in Loop: Header=BB4_1437 Depth=2
	v_bfe_u32 v11, v10, 23, 8
	s_delay_alu instid0(VALU_DEP_1) | instskip(SKIP_1) | instid1(VALU_DEP_2)
	v_sub_nc_u32_e32 v99, 0x78, v11
	v_cmp_gt_u32_e32 vcc_lo, 0x79, v11
	v_dual_cndmask_b32 v99, 0, v99 :: v_dual_and_b32 v98, 0x7fffff, v10
	s_delay_alu instid0(VALU_DEP_1) | instskip(SKIP_2) | instid1(VALU_DEP_4)
	v_or_b32_e32 v100, 0x800000, v98
	v_cmp_eq_u32_e32 vcc_lo, 0, v11
	v_add_nc_u32_e32 v11, 0xffffff89, v11
	v_cndmask_b32_e64 v99, v99, 0x77, vcc_lo
	s_delay_alu instid0(VALU_DEP_4) | instskip(NEXT) | instid1(VALU_DEP_3)
	v_cndmask_b32_e32 v98, v100, v98, vcc_lo
	v_cndmask_b32_e64 v11, v11, 0xffffff8a, vcc_lo
	s_delay_alu instid0(VALU_DEP_3) | instskip(NEXT) | instid1(VALU_DEP_3)
	v_lshl_add_u32 v100, 0x100000, v99, -1
	v_lshrrev_b32_e32 v102, v99, v98
	v_lshlrev_b32_e64 v112, v99, 0x80000
	s_delay_alu instid0(VALU_DEP_4) | instskip(NEXT) | instid1(VALU_DEP_4)
	v_add_nc_u32_e32 v99, v99, v11
	v_and_b32_e32 v98, v100, v98
	s_delay_alu instid0(VALU_DEP_4) | instskip(NEXT) | instid1(VALU_DEP_2)
	v_bfe_u32 v103, v102, 20, 1
	v_cmp_eq_u32_e64 s12, v98, v112
	s_delay_alu instid0(VALU_DEP_2) | instskip(NEXT) | instid1(VALU_DEP_1)
	v_add_nc_u32_e32 v100, -1, v103
	v_cndmask_b32_e64 v98, 0, v100, s12
	v_lshrrev_b32_e32 v100, 23, v102
	s_mov_b32 s12, exec_lo
	s_delay_alu instid0(VALU_DEP_2) | instskip(NEXT) | instid1(VALU_DEP_2)
	v_add_nc_u32_e32 v98, v98, v102
	v_xor_b32_e32 v100, 1, v100
	s_delay_alu instid0(VALU_DEP_2) | instskip(NEXT) | instid1(VALU_DEP_1)
	v_and_b32_e32 v11, 0xfffff, v98
	v_add_nc_u32_e32 v98, v11, v102
                                        ; implicit-def: $vgpr11
	s_delay_alu instid0(VALU_DEP_3)
	v_cmpx_ne_u32_e64 v99, v100
	s_xor_b32 s12, exec_lo, s12
; %bb.1549:                             ;   in Loop: Header=BB4_1437 Depth=2
	s_delay_alu instid0(VALU_DEP_2) | instskip(SKIP_2) | instid1(VALU_DEP_2)
	v_cmp_lt_u32_e32 vcc_lo, 0xffffff, v98
	v_sub_nc_u32_e32 v11, v99, v100
	v_cndmask_b32_e64 v99, 0, 1, vcc_lo
	v_add_co_ci_u32_e32 v11, vcc_lo, 0, v11, vcc_lo
	s_delay_alu instid0(VALU_DEP_2)
	v_lshrrev_b32_e32 v98, v99, v98
; %bb.1550:                             ;   in Loop: Header=BB4_1437 Depth=2
	s_and_not1_saveexec_b32 s12, s12
; %bb.1551:                             ;   in Loop: Header=BB4_1437 Depth=2
	s_delay_alu instid0(VALU_DEP_1)
	v_bfe_u32 v11, v98, 23, 1
; %bb.1552:                             ;   in Loop: Header=BB4_1437 Depth=2
	s_or_b32 exec_lo, exec_lo, s12
	v_lshrrev_b32_e32 v98, 20, v98
	s_delay_alu instid0(VALU_DEP_2) | instskip(SKIP_2) | instid1(VALU_DEP_4)
	v_cmp_gt_i32_e32 vcc_lo, 16, v11
	v_lshrrev_b32_e32 v10, 24, v10
	v_min_i32_e32 v99, 15, v11
	v_cndmask_b32_e32 v98, 7, v98, vcc_lo
	s_delay_alu instid0(VALU_DEP_3) | instskip(NEXT) | instid1(VALU_DEP_3)
	v_and_b32_e32 v10, 0x80, v10
	v_lshlrev_b32_e32 v99, 3, v99
	s_delay_alu instid0(VALU_DEP_3) | instskip(SKIP_1) | instid1(VALU_DEP_2)
	v_and_b32_e32 v100, 7, v98
	v_or_b32_e32 v11, v11, v98
	v_or3_b32 v10, v99, v10, v100
	s_delay_alu instid0(VALU_DEP_2) | instskip(NEXT) | instid1(VALU_DEP_2)
	v_cmp_ne_u32_e32 vcc_lo, 0, v11
	v_cndmask_b32_e32 v114, 0, v10, vcc_lo
.LBB4_1553:                             ;   in Loop: Header=BB4_1437 Depth=2
	s_or_b32 exec_lo, exec_lo, s29
.LBB4_1554:                             ;   in Loop: Header=BB4_1437 Depth=2
	s_delay_alu instid0(SALU_CYCLE_1) | instskip(SKIP_3) | instid1(VALU_DEP_1)
	s_or_b32 exec_lo, exec_lo, s28
	v_lshrrev_b16 v10, 8, v12
	s_mov_b32 s12, 0
	s_mov_b32 s29, exec_lo
                                        ; implicit-def: $sgpr28
	v_cmpx_lt_i16_e32 0x7f, v10
	s_xor_b32 s29, exec_lo, s29
	s_cbranch_execnz .LBB4_1928
; %bb.1555:                             ;   in Loop: Header=BB4_1437 Depth=2
	s_or_saveexec_b32 s29, s29
	v_mov_b32_e32 v11, s28
	s_xor_b32 exec_lo, exec_lo, s29
	s_cbranch_execnz .LBB4_1931
.LBB4_1556:                             ;   in Loop: Header=BB4_1437 Depth=2
	s_or_b32 exec_lo, exec_lo, s29
	s_and_saveexec_b32 s28, s12
	s_cbranch_execz .LBB4_1558
.LBB4_1557:                             ;   in Loop: Header=BB4_1437 Depth=2
	v_and_b32_e32 v11, 0xffff, v10
	v_lshlrev_b32_e32 v10, 24, v10
	s_delay_alu instid0(VALU_DEP_2) | instskip(NEXT) | instid1(VALU_DEP_2)
	v_and_b32_e32 v98, 7, v11
	v_and_b32_e32 v10, 0x80000000, v10
	s_delay_alu instid0(VALU_DEP_2) | instskip(NEXT) | instid1(VALU_DEP_1)
	v_clz_i32_u32_e32 v99, v98
	v_min_u32_e32 v99, 32, v99
	s_delay_alu instid0(VALU_DEP_1) | instskip(SKIP_1) | instid1(VALU_DEP_2)
	v_subrev_nc_u32_e32 v100, 28, v99
	v_sub_nc_u32_e32 v99, 29, v99
	v_lshlrev_b32_e32 v100, v100, v11
	v_bfe_u32 v11, v11, 3, 4
	s_delay_alu instid0(VALU_DEP_1) | instskip(NEXT) | instid1(VALU_DEP_3)
	v_cmp_eq_u32_e32 vcc_lo, 0, v11
	v_dual_cndmask_b32 v11, v11, v99 :: v_dual_and_b32 v100, 7, v100
	s_delay_alu instid0(VALU_DEP_1) | instskip(NEXT) | instid1(VALU_DEP_2)
	v_cndmask_b32_e32 v98, v98, v100, vcc_lo
	v_lshl_add_u32 v11, v11, 23, 0x3b800000
	s_delay_alu instid0(VALU_DEP_2) | instskip(NEXT) | instid1(VALU_DEP_1)
	v_lshlrev_b32_e32 v98, 20, v98
	v_or3_b32 v11, v10, v11, v98
.LBB4_1558:                             ;   in Loop: Header=BB4_1437 Depth=2
	s_or_b32 exec_lo, exec_lo, s28
	s_delay_alu instid0(VALU_DEP_1) | instskip(SKIP_2) | instid1(VALU_DEP_2)
	v_mul_f32_e32 v10, s27, v11
	v_mov_b32_e32 v112, 0x80
	s_mov_b32 s28, exec_lo
	v_and_b32_e32 v11, 0x7f800000, v10
	s_delay_alu instid0(VALU_DEP_1)
	v_cmpx_ne_u32_e32 0x7f800000, v11
	s_cbranch_execz .LBB4_1566
; %bb.1559:                             ;   in Loop: Header=BB4_1437 Depth=2
	v_mov_b32_e32 v112, 0
	s_mov_b32 s29, exec_lo
	v_cmpx_ne_u32_e32 0, v10
	s_cbranch_execz .LBB4_1565
; %bb.1560:                             ;   in Loop: Header=BB4_1437 Depth=2
	v_bfe_u32 v11, v10, 23, 8
	s_delay_alu instid0(VALU_DEP_1) | instskip(SKIP_1) | instid1(VALU_DEP_2)
	v_sub_nc_u32_e32 v99, 0x78, v11
	v_cmp_gt_u32_e32 vcc_lo, 0x79, v11
	v_dual_cndmask_b32 v99, 0, v99 :: v_dual_and_b32 v98, 0x7fffff, v10
	s_delay_alu instid0(VALU_DEP_1) | instskip(SKIP_2) | instid1(VALU_DEP_4)
	v_or_b32_e32 v100, 0x800000, v98
	v_cmp_eq_u32_e32 vcc_lo, 0, v11
	v_add_nc_u32_e32 v11, 0xffffff89, v11
	v_cndmask_b32_e64 v99, v99, 0x77, vcc_lo
	s_delay_alu instid0(VALU_DEP_4) | instskip(NEXT) | instid1(VALU_DEP_3)
	v_cndmask_b32_e32 v98, v100, v98, vcc_lo
	v_cndmask_b32_e64 v11, v11, 0xffffff8a, vcc_lo
	s_delay_alu instid0(VALU_DEP_3) | instskip(NEXT) | instid1(VALU_DEP_3)
	v_lshl_add_u32 v100, 0x100000, v99, -1
	v_lshrrev_b32_e32 v102, v99, v98
	v_lshlrev_b32_e64 v112, v99, 0x80000
	s_delay_alu instid0(VALU_DEP_4) | instskip(NEXT) | instid1(VALU_DEP_4)
	v_add_nc_u32_e32 v99, v99, v11
	v_and_b32_e32 v98, v100, v98
	s_delay_alu instid0(VALU_DEP_4) | instskip(NEXT) | instid1(VALU_DEP_2)
	v_bfe_u32 v103, v102, 20, 1
	v_cmp_eq_u32_e64 s12, v98, v112
	s_delay_alu instid0(VALU_DEP_2) | instskip(NEXT) | instid1(VALU_DEP_1)
	v_add_nc_u32_e32 v100, -1, v103
	v_cndmask_b32_e64 v98, 0, v100, s12
	v_lshrrev_b32_e32 v100, 23, v102
	s_mov_b32 s12, exec_lo
	s_delay_alu instid0(VALU_DEP_2) | instskip(NEXT) | instid1(VALU_DEP_2)
	v_add_nc_u32_e32 v98, v98, v102
	v_xor_b32_e32 v100, 1, v100
	s_delay_alu instid0(VALU_DEP_2) | instskip(NEXT) | instid1(VALU_DEP_1)
	v_and_b32_e32 v11, 0xfffff, v98
	v_add_nc_u32_e32 v98, v11, v102
                                        ; implicit-def: $vgpr11
	s_delay_alu instid0(VALU_DEP_3)
	v_cmpx_ne_u32_e64 v99, v100
	s_xor_b32 s12, exec_lo, s12
; %bb.1561:                             ;   in Loop: Header=BB4_1437 Depth=2
	s_delay_alu instid0(VALU_DEP_2) | instskip(SKIP_2) | instid1(VALU_DEP_2)
	v_cmp_lt_u32_e32 vcc_lo, 0xffffff, v98
	v_sub_nc_u32_e32 v11, v99, v100
	v_cndmask_b32_e64 v99, 0, 1, vcc_lo
	v_add_co_ci_u32_e32 v11, vcc_lo, 0, v11, vcc_lo
	s_delay_alu instid0(VALU_DEP_2)
	v_lshrrev_b32_e32 v98, v99, v98
; %bb.1562:                             ;   in Loop: Header=BB4_1437 Depth=2
	s_and_not1_saveexec_b32 s12, s12
; %bb.1563:                             ;   in Loop: Header=BB4_1437 Depth=2
	s_delay_alu instid0(VALU_DEP_1)
	v_bfe_u32 v11, v98, 23, 1
; %bb.1564:                             ;   in Loop: Header=BB4_1437 Depth=2
	s_or_b32 exec_lo, exec_lo, s12
	v_lshrrev_b32_e32 v98, 20, v98
	s_delay_alu instid0(VALU_DEP_2) | instskip(SKIP_2) | instid1(VALU_DEP_4)
	v_cmp_gt_i32_e32 vcc_lo, 16, v11
	v_lshrrev_b32_e32 v10, 24, v10
	v_min_i32_e32 v99, 15, v11
	v_cndmask_b32_e32 v98, 7, v98, vcc_lo
	s_delay_alu instid0(VALU_DEP_3) | instskip(NEXT) | instid1(VALU_DEP_3)
	v_and_b32_e32 v10, 0x80, v10
	v_lshlrev_b32_e32 v99, 3, v99
	s_delay_alu instid0(VALU_DEP_3) | instskip(SKIP_1) | instid1(VALU_DEP_2)
	v_and_b32_e32 v100, 7, v98
	v_or_b32_e32 v11, v11, v98
	v_or3_b32 v10, v99, v10, v100
	s_delay_alu instid0(VALU_DEP_2) | instskip(NEXT) | instid1(VALU_DEP_2)
	v_cmp_ne_u32_e32 vcc_lo, 0, v11
	v_cndmask_b32_e32 v112, 0, v10, vcc_lo
.LBB4_1565:                             ;   in Loop: Header=BB4_1437 Depth=2
	s_or_b32 exec_lo, exec_lo, s29
.LBB4_1566:                             ;   in Loop: Header=BB4_1437 Depth=2
	s_delay_alu instid0(SALU_CYCLE_1) | instskip(SKIP_3) | instid1(VALU_DEP_1)
	s_or_b32 exec_lo, exec_lo, s28
	v_lshrrev_b32_e32 v10, 16, v12
	s_mov_b32 s12, 0
	s_mov_b32 s29, exec_lo
                                        ; implicit-def: $sgpr28
	v_and_b32_e32 v98, 0xff, v10
	s_delay_alu instid0(VALU_DEP_1)
	v_cmpx_lt_i16_e32 0x7f, v98
	s_xor_b32 s29, exec_lo, s29
	s_cbranch_execnz .LBB4_1932
; %bb.1567:                             ;   in Loop: Header=BB4_1437 Depth=2
	s_or_saveexec_b32 s29, s29
	v_mov_b32_e32 v11, s28
	s_xor_b32 exec_lo, exec_lo, s29
	s_cbranch_execnz .LBB4_1935
.LBB4_1568:                             ;   in Loop: Header=BB4_1437 Depth=2
	s_or_b32 exec_lo, exec_lo, s29
	s_and_saveexec_b32 s28, s12
	s_cbranch_execz .LBB4_1570
.LBB4_1569:                             ;   in Loop: Header=BB4_1437 Depth=2
	v_bfe_u32 v11, v12, 16, 3
	v_lshlrev_b32_e32 v100, 8, v12
	s_delay_alu instid0(VALU_DEP_2) | instskip(NEXT) | instid1(VALU_DEP_1)
	v_clz_i32_u32_e32 v98, v11
	v_min_u32_e32 v98, 32, v98
	s_delay_alu instid0(VALU_DEP_1) | instskip(SKIP_1) | instid1(VALU_DEP_2)
	v_subrev_nc_u32_e32 v99, 28, v98
	v_sub_nc_u32_e32 v98, 29, v98
	v_lshlrev_b32_e32 v10, v99, v10
	v_bfe_u32 v99, v12, 19, 4
	s_delay_alu instid0(VALU_DEP_2) | instskip(NEXT) | instid1(VALU_DEP_2)
	v_and_b32_e32 v10, 7, v10
	v_cmp_eq_u32_e32 vcc_lo, 0, v99
	v_cndmask_b32_e32 v98, v99, v98, vcc_lo
	s_delay_alu instid0(VALU_DEP_3) | instskip(NEXT) | instid1(VALU_DEP_2)
	v_dual_cndmask_b32 v10, v11, v10 :: v_dual_and_b32 v11, 0x80000000, v100
	v_lshl_add_u32 v98, v98, 23, 0x3b800000
	s_delay_alu instid0(VALU_DEP_2) | instskip(NEXT) | instid1(VALU_DEP_1)
	v_lshlrev_b32_e32 v10, 20, v10
	v_or3_b32 v11, v11, v98, v10
.LBB4_1570:                             ;   in Loop: Header=BB4_1437 Depth=2
	s_or_b32 exec_lo, exec_lo, s28
	s_delay_alu instid0(VALU_DEP_1) | instskip(SKIP_1) | instid1(VALU_DEP_1)
	v_dual_mul_f32 v10, s27, v11 :: v_dual_mov_b32 v103, 0x80
	s_mov_b32 s28, exec_lo
	v_and_b32_e32 v11, 0x7f800000, v10
	s_delay_alu instid0(VALU_DEP_1)
	v_cmpx_ne_u32_e32 0x7f800000, v11
	s_cbranch_execz .LBB4_1578
; %bb.1571:                             ;   in Loop: Header=BB4_1437 Depth=2
	v_mov_b32_e32 v103, 0
	s_mov_b32 s29, exec_lo
	v_cmpx_ne_u32_e32 0, v10
	s_cbranch_execz .LBB4_1577
; %bb.1572:                             ;   in Loop: Header=BB4_1437 Depth=2
	v_bfe_u32 v11, v10, 23, 8
	s_delay_alu instid0(VALU_DEP_1) | instskip(SKIP_1) | instid1(VALU_DEP_2)
	v_sub_nc_u32_e32 v99, 0x78, v11
	v_cmp_gt_u32_e32 vcc_lo, 0x79, v11
	v_dual_cndmask_b32 v99, 0, v99 :: v_dual_and_b32 v98, 0x7fffff, v10
	s_delay_alu instid0(VALU_DEP_1) | instskip(SKIP_2) | instid1(VALU_DEP_4)
	v_or_b32_e32 v100, 0x800000, v98
	v_cmp_eq_u32_e32 vcc_lo, 0, v11
	v_add_nc_u32_e32 v11, 0xffffff89, v11
	v_cndmask_b32_e64 v99, v99, 0x77, vcc_lo
	s_delay_alu instid0(VALU_DEP_4) | instskip(NEXT) | instid1(VALU_DEP_3)
	v_cndmask_b32_e32 v98, v100, v98, vcc_lo
	v_cndmask_b32_e64 v11, v11, 0xffffff8a, vcc_lo
	s_delay_alu instid0(VALU_DEP_3) | instskip(NEXT) | instid1(VALU_DEP_3)
	v_lshl_add_u32 v100, 0x100000, v99, -1
	v_lshrrev_b32_e32 v102, v99, v98
	v_lshlrev_b32_e64 v113, v99, 0x80000
	s_delay_alu instid0(VALU_DEP_4) | instskip(NEXT) | instid1(VALU_DEP_4)
	v_add_nc_u32_e32 v99, v99, v11
	v_and_b32_e32 v98, v100, v98
	s_delay_alu instid0(VALU_DEP_4) | instskip(NEXT) | instid1(VALU_DEP_2)
	v_bfe_u32 v103, v102, 20, 1
	v_cmp_eq_u32_e64 s12, v98, v113
	s_delay_alu instid0(VALU_DEP_2) | instskip(NEXT) | instid1(VALU_DEP_1)
	v_add_nc_u32_e32 v100, -1, v103
	v_cndmask_b32_e64 v98, 0, v100, s12
	v_lshrrev_b32_e32 v100, 23, v102
	s_mov_b32 s12, exec_lo
	s_delay_alu instid0(VALU_DEP_2) | instskip(NEXT) | instid1(VALU_DEP_2)
	v_add_nc_u32_e32 v98, v98, v102
	v_xor_b32_e32 v100, 1, v100
	s_delay_alu instid0(VALU_DEP_2) | instskip(NEXT) | instid1(VALU_DEP_1)
	v_and_b32_e32 v11, 0xfffff, v98
	v_add_nc_u32_e32 v98, v11, v102
                                        ; implicit-def: $vgpr11
	s_delay_alu instid0(VALU_DEP_3)
	v_cmpx_ne_u32_e64 v99, v100
	s_xor_b32 s12, exec_lo, s12
; %bb.1573:                             ;   in Loop: Header=BB4_1437 Depth=2
	s_delay_alu instid0(VALU_DEP_2) | instskip(SKIP_2) | instid1(VALU_DEP_2)
	v_cmp_lt_u32_e32 vcc_lo, 0xffffff, v98
	v_sub_nc_u32_e32 v11, v99, v100
	v_cndmask_b32_e64 v99, 0, 1, vcc_lo
	v_add_co_ci_u32_e32 v11, vcc_lo, 0, v11, vcc_lo
	s_delay_alu instid0(VALU_DEP_2)
	v_lshrrev_b32_e32 v98, v99, v98
; %bb.1574:                             ;   in Loop: Header=BB4_1437 Depth=2
	s_and_not1_saveexec_b32 s12, s12
; %bb.1575:                             ;   in Loop: Header=BB4_1437 Depth=2
	s_delay_alu instid0(VALU_DEP_1)
	v_bfe_u32 v11, v98, 23, 1
; %bb.1576:                             ;   in Loop: Header=BB4_1437 Depth=2
	s_or_b32 exec_lo, exec_lo, s12
	v_lshrrev_b32_e32 v98, 20, v98
	s_delay_alu instid0(VALU_DEP_2) | instskip(SKIP_2) | instid1(VALU_DEP_4)
	v_cmp_gt_i32_e32 vcc_lo, 16, v11
	v_lshrrev_b32_e32 v10, 24, v10
	v_min_i32_e32 v99, 15, v11
	v_cndmask_b32_e32 v98, 7, v98, vcc_lo
	s_delay_alu instid0(VALU_DEP_3) | instskip(NEXT) | instid1(VALU_DEP_3)
	v_and_b32_e32 v10, 0x80, v10
	v_lshlrev_b32_e32 v99, 3, v99
	s_delay_alu instid0(VALU_DEP_3) | instskip(SKIP_1) | instid1(VALU_DEP_2)
	v_and_b32_e32 v100, 7, v98
	v_or_b32_e32 v11, v11, v98
	v_or3_b32 v10, v99, v10, v100
	s_delay_alu instid0(VALU_DEP_2) | instskip(NEXT) | instid1(VALU_DEP_2)
	v_cmp_ne_u32_e32 vcc_lo, 0, v11
	v_cndmask_b32_e32 v103, 0, v10, vcc_lo
.LBB4_1577:                             ;   in Loop: Header=BB4_1437 Depth=2
	s_or_b32 exec_lo, exec_lo, s29
.LBB4_1578:                             ;   in Loop: Header=BB4_1437 Depth=2
	s_delay_alu instid0(SALU_CYCLE_1) | instskip(SKIP_3) | instid1(VALU_DEP_1)
	s_or_b32 exec_lo, exec_lo, s28
	v_lshrrev_b32_e32 v10, 24, v12
	s_mov_b32 s12, 0
	s_mov_b32 s29, exec_lo
                                        ; implicit-def: $sgpr28
	v_cmpx_lt_i16_e32 0x7f, v10
	s_xor_b32 s29, exec_lo, s29
	s_cbranch_execnz .LBB4_1936
; %bb.1579:                             ;   in Loop: Header=BB4_1437 Depth=2
	s_or_saveexec_b32 s29, s29
	v_mov_b32_e32 v11, s28
	s_xor_b32 exec_lo, exec_lo, s29
	s_cbranch_execnz .LBB4_1939
.LBB4_1580:                             ;   in Loop: Header=BB4_1437 Depth=2
	s_or_b32 exec_lo, exec_lo, s29
	s_and_saveexec_b32 s28, s12
	s_cbranch_execz .LBB4_1582
.LBB4_1581:                             ;   in Loop: Header=BB4_1437 Depth=2
	v_bfe_u32 v11, v12, 24, 3
	s_delay_alu instid0(VALU_DEP_1) | instskip(NEXT) | instid1(VALU_DEP_1)
	v_clz_i32_u32_e32 v98, v11
	v_min_u32_e32 v98, 32, v98
	s_delay_alu instid0(VALU_DEP_1) | instskip(SKIP_1) | instid1(VALU_DEP_2)
	v_subrev_nc_u32_e32 v99, 28, v98
	v_sub_nc_u32_e32 v98, 29, v98
	v_lshlrev_b32_e32 v10, v99, v10
	v_bfe_u32 v99, v12, 27, 4
	s_delay_alu instid0(VALU_DEP_2) | instskip(NEXT) | instid1(VALU_DEP_2)
	v_and_b32_e32 v10, 7, v10
	v_cmp_eq_u32_e32 vcc_lo, 0, v99
	v_cndmask_b32_e32 v98, v99, v98, vcc_lo
	s_delay_alu instid0(VALU_DEP_3) | instskip(NEXT) | instid1(VALU_DEP_2)
	v_dual_cndmask_b32 v10, v11, v10 :: v_dual_and_b32 v11, 0x80000000, v12
	v_lshl_add_u32 v12, v98, 23, 0x3b800000
	s_delay_alu instid0(VALU_DEP_2) | instskip(NEXT) | instid1(VALU_DEP_1)
	v_lshlrev_b32_e32 v10, 20, v10
	v_or3_b32 v11, v11, v12, v10
.LBB4_1582:                             ;   in Loop: Header=BB4_1437 Depth=2
	s_or_b32 exec_lo, exec_lo, s28
	s_delay_alu instid0(VALU_DEP_1) | instskip(SKIP_2) | instid1(VALU_DEP_2)
	v_mul_f32_e32 v10, s27, v11
	v_mov_b32_e32 v100, 0x80
	s_mov_b32 s28, exec_lo
	v_and_b32_e32 v11, 0x7f800000, v10
	s_delay_alu instid0(VALU_DEP_1)
	v_cmpx_ne_u32_e32 0x7f800000, v11
	s_cbranch_execz .LBB4_1590
; %bb.1583:                             ;   in Loop: Header=BB4_1437 Depth=2
	v_mov_b32_e32 v100, 0
	s_mov_b32 s29, exec_lo
	v_cmpx_ne_u32_e32 0, v10
	s_cbranch_execz .LBB4_1589
; %bb.1584:                             ;   in Loop: Header=BB4_1437 Depth=2
	v_bfe_u32 v11, v10, 23, 8
	v_and_b32_e32 v12, 0x7fffff, v10
	s_delay_alu instid0(VALU_DEP_2) | instskip(SKIP_1) | instid1(VALU_DEP_3)
	v_sub_nc_u32_e32 v98, 0x78, v11
	v_cmp_gt_u32_e32 vcc_lo, 0x79, v11
	v_or_b32_e32 v99, 0x800000, v12
	s_delay_alu instid0(VALU_DEP_3) | instskip(SKIP_2) | instid1(VALU_DEP_3)
	v_cndmask_b32_e32 v98, 0, v98, vcc_lo
	v_cmp_eq_u32_e32 vcc_lo, 0, v11
	v_add_nc_u32_e32 v11, 0xffffff89, v11
	v_cndmask_b32_e64 v98, v98, 0x77, vcc_lo
	v_cndmask_b32_e32 v12, v99, v12, vcc_lo
	s_delay_alu instid0(VALU_DEP_3) | instskip(NEXT) | instid1(VALU_DEP_3)
	v_cndmask_b32_e64 v11, v11, 0xffffff8a, vcc_lo
	v_lshl_add_u32 v99, 0x100000, v98, -1
	s_delay_alu instid0(VALU_DEP_3) | instskip(SKIP_1) | instid1(VALU_DEP_4)
	v_lshrrev_b32_e32 v100, v98, v12
	v_lshlrev_b32_e64 v113, v98, 0x80000
	v_add_nc_u32_e32 v98, v98, v11
	s_delay_alu instid0(VALU_DEP_4) | instskip(NEXT) | instid1(VALU_DEP_4)
	v_and_b32_e32 v12, v99, v12
	v_bfe_u32 v102, v100, 20, 1
	s_delay_alu instid0(VALU_DEP_2) | instskip(NEXT) | instid1(VALU_DEP_2)
	v_cmp_eq_u32_e64 s12, v12, v113
	v_add_nc_u32_e32 v99, -1, v102
	s_delay_alu instid0(VALU_DEP_1) | instskip(SKIP_2) | instid1(VALU_DEP_2)
	v_cndmask_b32_e64 v12, 0, v99, s12
	v_lshrrev_b32_e32 v99, 23, v100
	s_mov_b32 s12, exec_lo
	v_add_nc_u32_e32 v12, v12, v100
	s_delay_alu instid0(VALU_DEP_2) | instskip(NEXT) | instid1(VALU_DEP_2)
	v_xor_b32_e32 v99, 1, v99
	v_and_b32_e32 v11, 0xfffff, v12
	s_delay_alu instid0(VALU_DEP_1) | instskip(NEXT) | instid1(VALU_DEP_3)
	v_add_nc_u32_e32 v12, v11, v100
                                        ; implicit-def: $vgpr11
	v_cmpx_ne_u32_e64 v98, v99
	s_xor_b32 s12, exec_lo, s12
; %bb.1585:                             ;   in Loop: Header=BB4_1437 Depth=2
	s_delay_alu instid0(VALU_DEP_2) | instskip(SKIP_2) | instid1(VALU_DEP_2)
	v_cmp_lt_u32_e32 vcc_lo, 0xffffff, v12
	v_sub_nc_u32_e32 v11, v98, v99
	v_cndmask_b32_e64 v98, 0, 1, vcc_lo
	v_add_co_ci_u32_e32 v11, vcc_lo, 0, v11, vcc_lo
	s_delay_alu instid0(VALU_DEP_2)
	v_lshrrev_b32_e32 v12, v98, v12
; %bb.1586:                             ;   in Loop: Header=BB4_1437 Depth=2
	s_and_not1_saveexec_b32 s12, s12
; %bb.1587:                             ;   in Loop: Header=BB4_1437 Depth=2
	s_delay_alu instid0(VALU_DEP_1)
	v_bfe_u32 v11, v12, 23, 1
; %bb.1588:                             ;   in Loop: Header=BB4_1437 Depth=2
	s_or_b32 exec_lo, exec_lo, s12
	v_lshrrev_b32_e32 v12, 20, v12
	s_delay_alu instid0(VALU_DEP_2) | instskip(SKIP_2) | instid1(VALU_DEP_4)
	v_cmp_gt_i32_e32 vcc_lo, 16, v11
	v_lshrrev_b32_e32 v10, 24, v10
	v_min_i32_e32 v98, 15, v11
	v_cndmask_b32_e32 v12, 7, v12, vcc_lo
	s_delay_alu instid0(VALU_DEP_3) | instskip(NEXT) | instid1(VALU_DEP_3)
	v_and_b32_e32 v10, 0x80, v10
	v_lshlrev_b32_e32 v98, 3, v98
	s_delay_alu instid0(VALU_DEP_3) | instskip(NEXT) | instid1(VALU_DEP_1)
	v_or_b32_e32 v11, v11, v12
	v_cmp_ne_u32_e32 vcc_lo, 0, v11
	v_and_b32_e32 v99, 7, v12
	s_delay_alu instid0(VALU_DEP_1) | instskip(NEXT) | instid1(VALU_DEP_1)
	v_or3_b32 v10, v98, v10, v99
	v_cndmask_b32_e32 v100, 0, v10, vcc_lo
.LBB4_1589:                             ;   in Loop: Header=BB4_1437 Depth=2
	s_or_b32 exec_lo, exec_lo, s29
.LBB4_1590:                             ;   in Loop: Header=BB4_1437 Depth=2
	s_delay_alu instid0(SALU_CYCLE_1) | instskip(SKIP_3) | instid1(VALU_DEP_1)
	s_or_b32 exec_lo, exec_lo, s28
	v_and_b32_e32 v11, 0xff, v13
	s_mov_b32 s12, 0
	s_mov_b32 s29, exec_lo
                                        ; implicit-def: $sgpr28
	v_cmpx_lt_i16_e32 0x7f, v11
	s_xor_b32 s29, exec_lo, s29
	s_cbranch_execnz .LBB4_1940
; %bb.1591:                             ;   in Loop: Header=BB4_1437 Depth=2
	s_or_saveexec_b32 s29, s29
	v_mov_b32_e32 v10, s28
	s_xor_b32 exec_lo, exec_lo, s29
	s_cbranch_execnz .LBB4_1943
.LBB4_1592:                             ;   in Loop: Header=BB4_1437 Depth=2
	s_or_b32 exec_lo, exec_lo, s29
	s_and_saveexec_b32 s28, s12
	s_cbranch_execz .LBB4_1594
.LBB4_1593:                             ;   in Loop: Header=BB4_1437 Depth=2
	v_bfe_u32 v98, v13, 3, 4
	s_delay_alu instid0(VALU_DEP_1) | instskip(SKIP_1) | instid1(VALU_DEP_1)
	v_cmp_eq_u32_e32 vcc_lo, 0, v98
	v_and_b32_e32 v10, 7, v13
	v_clz_i32_u32_e32 v11, v10
	s_delay_alu instid0(VALU_DEP_1) | instskip(NEXT) | instid1(VALU_DEP_1)
	v_min_u32_e32 v11, 32, v11
	v_subrev_nc_u32_e32 v12, 28, v11
	v_sub_nc_u32_e32 v11, 29, v11
	s_delay_alu instid0(VALU_DEP_1) | instskip(NEXT) | instid1(VALU_DEP_1)
	v_dual_cndmask_b32 v11, v98, v11 :: v_dual_lshlrev_b32 v12, v12, v13
	v_and_b32_e32 v12, 7, v12
	v_lshlrev_b32_e32 v99, 24, v13
	s_delay_alu instid0(VALU_DEP_3) | instskip(NEXT) | instid1(VALU_DEP_3)
	v_lshl_add_u32 v11, v11, 23, 0x3b800000
	v_cndmask_b32_e32 v10, v10, v12, vcc_lo
	s_delay_alu instid0(VALU_DEP_3) | instskip(NEXT) | instid1(VALU_DEP_2)
	v_and_b32_e32 v12, 0x80000000, v99
	v_lshlrev_b32_e32 v10, 20, v10
	s_delay_alu instid0(VALU_DEP_1)
	v_or3_b32 v10, v12, v11, v10
.LBB4_1594:                             ;   in Loop: Header=BB4_1437 Depth=2
	s_or_b32 exec_lo, exec_lo, s28
	s_delay_alu instid0(VALU_DEP_1) | instskip(SKIP_1) | instid1(VALU_DEP_1)
	v_dual_mul_f32 v10, s27, v10 :: v_dual_mov_b32 v99, 0x80
	s_mov_b32 s28, exec_lo
	v_and_b32_e32 v11, 0x7f800000, v10
	s_delay_alu instid0(VALU_DEP_1)
	v_cmpx_ne_u32_e32 0x7f800000, v11
	s_cbranch_execz .LBB4_1602
; %bb.1595:                             ;   in Loop: Header=BB4_1437 Depth=2
	v_mov_b32_e32 v99, 0
	s_mov_b32 s29, exec_lo
	v_cmpx_ne_u32_e32 0, v10
	s_cbranch_execz .LBB4_1601
; %bb.1596:                             ;   in Loop: Header=BB4_1437 Depth=2
	v_bfe_u32 v11, v10, 23, 8
	v_and_b32_e32 v12, 0x7fffff, v10
	s_delay_alu instid0(VALU_DEP_2) | instskip(SKIP_1) | instid1(VALU_DEP_3)
	v_sub_nc_u32_e32 v98, 0x78, v11
	v_cmp_gt_u32_e32 vcc_lo, 0x79, v11
	v_or_b32_e32 v99, 0x800000, v12
	s_delay_alu instid0(VALU_DEP_3) | instskip(SKIP_2) | instid1(VALU_DEP_3)
	v_cndmask_b32_e32 v98, 0, v98, vcc_lo
	v_cmp_eq_u32_e32 vcc_lo, 0, v11
	v_add_nc_u32_e32 v11, 0xffffff89, v11
	v_cndmask_b32_e64 v98, v98, 0x77, vcc_lo
	v_cndmask_b32_e32 v12, v99, v12, vcc_lo
	s_delay_alu instid0(VALU_DEP_3) | instskip(NEXT) | instid1(VALU_DEP_3)
	v_cndmask_b32_e64 v11, v11, 0xffffff8a, vcc_lo
	v_lshl_add_u32 v99, 0x100000, v98, -1
	s_delay_alu instid0(VALU_DEP_3) | instskip(SKIP_1) | instid1(VALU_DEP_4)
	v_lshrrev_b32_e32 v102, v98, v12
	v_lshlrev_b32_e64 v129, v98, 0x80000
	v_add_nc_u32_e32 v98, v98, v11
	s_delay_alu instid0(VALU_DEP_4) | instskip(NEXT) | instid1(VALU_DEP_4)
	v_and_b32_e32 v12, v99, v12
	v_bfe_u32 v113, v102, 20, 1
	s_delay_alu instid0(VALU_DEP_2) | instskip(NEXT) | instid1(VALU_DEP_2)
	v_cmp_eq_u32_e64 s12, v12, v129
	v_add_nc_u32_e32 v99, -1, v113
	s_delay_alu instid0(VALU_DEP_1) | instskip(SKIP_2) | instid1(VALU_DEP_2)
	v_cndmask_b32_e64 v12, 0, v99, s12
	v_lshrrev_b32_e32 v99, 23, v102
	s_mov_b32 s12, exec_lo
	v_add_nc_u32_e32 v12, v12, v102
	s_delay_alu instid0(VALU_DEP_2) | instskip(NEXT) | instid1(VALU_DEP_2)
	v_xor_b32_e32 v99, 1, v99
	v_and_b32_e32 v11, 0xfffff, v12
	s_delay_alu instid0(VALU_DEP_1) | instskip(NEXT) | instid1(VALU_DEP_3)
	v_add_nc_u32_e32 v12, v11, v102
                                        ; implicit-def: $vgpr11
	v_cmpx_ne_u32_e64 v98, v99
	s_xor_b32 s12, exec_lo, s12
; %bb.1597:                             ;   in Loop: Header=BB4_1437 Depth=2
	s_delay_alu instid0(VALU_DEP_2) | instskip(SKIP_2) | instid1(VALU_DEP_2)
	v_cmp_lt_u32_e32 vcc_lo, 0xffffff, v12
	v_sub_nc_u32_e32 v11, v98, v99
	v_cndmask_b32_e64 v98, 0, 1, vcc_lo
	v_add_co_ci_u32_e32 v11, vcc_lo, 0, v11, vcc_lo
	s_delay_alu instid0(VALU_DEP_2)
	v_lshrrev_b32_e32 v12, v98, v12
; %bb.1598:                             ;   in Loop: Header=BB4_1437 Depth=2
	s_and_not1_saveexec_b32 s12, s12
; %bb.1599:                             ;   in Loop: Header=BB4_1437 Depth=2
	s_delay_alu instid0(VALU_DEP_1)
	v_bfe_u32 v11, v12, 23, 1
; %bb.1600:                             ;   in Loop: Header=BB4_1437 Depth=2
	s_or_b32 exec_lo, exec_lo, s12
	v_lshrrev_b32_e32 v12, 20, v12
	s_delay_alu instid0(VALU_DEP_2) | instskip(SKIP_2) | instid1(VALU_DEP_3)
	v_min_i32_e32 v98, 15, v11
	v_cmp_gt_i32_e32 vcc_lo, 16, v11
	v_lshrrev_b32_e32 v10, 24, v10
	v_lshlrev_b32_e32 v98, 3, v98
	v_cndmask_b32_e32 v12, 7, v12, vcc_lo
	s_delay_alu instid0(VALU_DEP_3) | instskip(NEXT) | instid1(VALU_DEP_3)
	v_and_b32_e32 v10, 0x80, v10
	v_and_b32_e32 v98, 0xf8, v98
	s_delay_alu instid0(VALU_DEP_3) | instskip(SKIP_1) | instid1(VALU_DEP_2)
	v_and_b32_e32 v99, 7, v12
	v_or_b32_e32 v11, v11, v12
	v_or3_b32 v10, v98, v10, v99
	s_delay_alu instid0(VALU_DEP_2) | instskip(NEXT) | instid1(VALU_DEP_2)
	v_cmp_ne_u32_e32 vcc_lo, 0, v11
	v_cndmask_b32_e32 v99, 0, v10, vcc_lo
.LBB4_1601:                             ;   in Loop: Header=BB4_1437 Depth=2
	s_or_b32 exec_lo, exec_lo, s29
.LBB4_1602:                             ;   in Loop: Header=BB4_1437 Depth=2
	s_delay_alu instid0(SALU_CYCLE_1) | instskip(SKIP_3) | instid1(VALU_DEP_1)
	s_or_b32 exec_lo, exec_lo, s28
	v_lshrrev_b16 v10, 8, v13
	s_mov_b32 s12, 0
	s_mov_b32 s29, exec_lo
                                        ; implicit-def: $sgpr28
	v_cmpx_lt_i16_e32 0x7f, v10
	s_xor_b32 s29, exec_lo, s29
	s_cbranch_execnz .LBB4_1944
; %bb.1603:                             ;   in Loop: Header=BB4_1437 Depth=2
	s_or_saveexec_b32 s29, s29
	v_mov_b32_e32 v11, s28
	s_xor_b32 exec_lo, exec_lo, s29
	s_cbranch_execnz .LBB4_1947
.LBB4_1604:                             ;   in Loop: Header=BB4_1437 Depth=2
	s_or_b32 exec_lo, exec_lo, s29
	s_and_saveexec_b32 s28, s12
	s_cbranch_execz .LBB4_1606
.LBB4_1605:                             ;   in Loop: Header=BB4_1437 Depth=2
	v_and_b32_e32 v11, 0xffff, v10
	v_lshlrev_b32_e32 v10, 24, v10
	s_delay_alu instid0(VALU_DEP_2) | instskip(NEXT) | instid1(VALU_DEP_2)
	v_and_b32_e32 v12, 7, v11
	v_and_b32_e32 v10, 0x80000000, v10
	s_delay_alu instid0(VALU_DEP_2) | instskip(NEXT) | instid1(VALU_DEP_1)
	v_clz_i32_u32_e32 v98, v12
	v_min_u32_e32 v98, 32, v98
	s_delay_alu instid0(VALU_DEP_1) | instskip(SKIP_1) | instid1(VALU_DEP_2)
	v_subrev_nc_u32_e32 v102, 28, v98
	v_sub_nc_u32_e32 v98, 29, v98
	v_lshlrev_b32_e32 v102, v102, v11
	v_bfe_u32 v11, v11, 3, 4
	s_delay_alu instid0(VALU_DEP_2) | instskip(NEXT) | instid1(VALU_DEP_2)
	v_and_b32_e32 v102, 7, v102
	v_cmp_eq_u32_e32 vcc_lo, 0, v11
	v_cndmask_b32_e32 v11, v11, v98, vcc_lo
	s_delay_alu instid0(VALU_DEP_3) | instskip(NEXT) | instid1(VALU_DEP_2)
	v_cndmask_b32_e32 v12, v12, v102, vcc_lo
	v_lshl_add_u32 v11, v11, 23, 0x3b800000
	s_delay_alu instid0(VALU_DEP_2) | instskip(NEXT) | instid1(VALU_DEP_1)
	v_lshlrev_b32_e32 v12, 20, v12
	v_or3_b32 v11, v10, v11, v12
.LBB4_1606:                             ;   in Loop: Header=BB4_1437 Depth=2
	s_or_b32 exec_lo, exec_lo, s28
	s_delay_alu instid0(VALU_DEP_1) | instskip(SKIP_1) | instid1(VALU_DEP_1)
	v_dual_mul_f32 v10, s27, v11 :: v_dual_mov_b32 v113, 0x8000
	s_mov_b32 s28, exec_lo
	v_and_b32_e32 v11, 0x7f800000, v10
	s_delay_alu instid0(VALU_DEP_1)
	v_cmpx_ne_u32_e32 0x7f800000, v11
	s_cbranch_execz .LBB4_1614
; %bb.1607:                             ;   in Loop: Header=BB4_1437 Depth=2
	v_mov_b32_e32 v113, 0
	s_mov_b32 s29, exec_lo
	v_cmpx_ne_u32_e32 0, v10
	s_cbranch_execz .LBB4_1613
; %bb.1608:                             ;   in Loop: Header=BB4_1437 Depth=2
	v_bfe_u32 v11, v10, 23, 8
	v_and_b32_e32 v12, 0x7fffff, v10
	s_delay_alu instid0(VALU_DEP_2) | instskip(SKIP_1) | instid1(VALU_DEP_3)
	v_sub_nc_u32_e32 v98, 0x78, v11
	v_cmp_gt_u32_e32 vcc_lo, 0x79, v11
	v_or_b32_e32 v102, 0x800000, v12
	s_delay_alu instid0(VALU_DEP_3) | instskip(SKIP_2) | instid1(VALU_DEP_3)
	v_cndmask_b32_e32 v98, 0, v98, vcc_lo
	v_cmp_eq_u32_e32 vcc_lo, 0, v11
	v_add_nc_u32_e32 v11, 0xffffff89, v11
	v_cndmask_b32_e64 v98, v98, 0x77, vcc_lo
	v_cndmask_b32_e32 v12, v102, v12, vcc_lo
	s_delay_alu instid0(VALU_DEP_3) | instskip(NEXT) | instid1(VALU_DEP_3)
	v_cndmask_b32_e64 v11, v11, 0xffffff8a, vcc_lo
	v_lshl_add_u32 v102, 0x100000, v98, -1
	s_delay_alu instid0(VALU_DEP_3) | instskip(SKIP_1) | instid1(VALU_DEP_4)
	v_lshrrev_b32_e32 v113, v98, v12
	v_lshlrev_b32_e64 v130, v98, 0x80000
	v_add_nc_u32_e32 v98, v98, v11
	s_delay_alu instid0(VALU_DEP_4) | instskip(NEXT) | instid1(VALU_DEP_4)
	v_and_b32_e32 v12, v102, v12
	v_bfe_u32 v129, v113, 20, 1
	s_delay_alu instid0(VALU_DEP_2) | instskip(NEXT) | instid1(VALU_DEP_2)
	v_cmp_eq_u32_e64 s12, v12, v130
	v_add_nc_u32_e32 v102, -1, v129
	s_delay_alu instid0(VALU_DEP_1) | instskip(SKIP_2) | instid1(VALU_DEP_2)
	v_cndmask_b32_e64 v12, 0, v102, s12
	v_lshrrev_b32_e32 v102, 23, v113
	s_mov_b32 s12, exec_lo
	v_add_nc_u32_e32 v12, v12, v113
	s_delay_alu instid0(VALU_DEP_2) | instskip(NEXT) | instid1(VALU_DEP_2)
	v_xor_b32_e32 v102, 1, v102
	v_and_b32_e32 v11, 0xfffff, v12
	s_delay_alu instid0(VALU_DEP_1) | instskip(NEXT) | instid1(VALU_DEP_3)
	v_add_nc_u32_e32 v12, v11, v113
                                        ; implicit-def: $vgpr11
	v_cmpx_ne_u32_e64 v98, v102
	s_xor_b32 s12, exec_lo, s12
; %bb.1609:                             ;   in Loop: Header=BB4_1437 Depth=2
	s_delay_alu instid0(VALU_DEP_2) | instskip(SKIP_2) | instid1(VALU_DEP_2)
	v_cmp_lt_u32_e32 vcc_lo, 0xffffff, v12
	v_sub_nc_u32_e32 v11, v98, v102
	v_cndmask_b32_e64 v98, 0, 1, vcc_lo
	v_add_co_ci_u32_e32 v11, vcc_lo, 0, v11, vcc_lo
	s_delay_alu instid0(VALU_DEP_2)
	v_lshrrev_b32_e32 v12, v98, v12
; %bb.1610:                             ;   in Loop: Header=BB4_1437 Depth=2
	s_and_not1_saveexec_b32 s12, s12
; %bb.1611:                             ;   in Loop: Header=BB4_1437 Depth=2
	s_delay_alu instid0(VALU_DEP_1)
	v_bfe_u32 v11, v12, 23, 1
; %bb.1612:                             ;   in Loop: Header=BB4_1437 Depth=2
	s_or_b32 exec_lo, exec_lo, s12
	v_lshrrev_b32_e32 v12, 20, v12
	s_delay_alu instid0(VALU_DEP_2) | instskip(SKIP_2) | instid1(VALU_DEP_3)
	v_min_i32_e32 v98, 15, v11
	v_cmp_gt_i32_e32 vcc_lo, 16, v11
	v_lshrrev_b32_e32 v10, 24, v10
	v_lshlrev_b32_e32 v98, 3, v98
	v_cndmask_b32_e32 v12, 7, v12, vcc_lo
	s_delay_alu instid0(VALU_DEP_3) | instskip(NEXT) | instid1(VALU_DEP_3)
	v_and_b32_e32 v10, 0x80, v10
	v_and_b32_e32 v98, 0xf8, v98
	s_delay_alu instid0(VALU_DEP_3) | instskip(SKIP_1) | instid1(VALU_DEP_2)
	v_and_b32_e32 v102, 7, v12
	v_or_b32_e32 v11, v11, v12
	v_or3_b32 v10, v10, v98, v102
	s_delay_alu instid0(VALU_DEP_2) | instskip(NEXT) | instid1(VALU_DEP_2)
	v_cmp_ne_u32_e32 vcc_lo, 0, v11
	v_lshlrev_b32_e32 v10, 8, v10
	s_delay_alu instid0(VALU_DEP_1)
	v_cndmask_b32_e32 v113, 0, v10, vcc_lo
.LBB4_1613:                             ;   in Loop: Header=BB4_1437 Depth=2
	s_or_b32 exec_lo, exec_lo, s29
.LBB4_1614:                             ;   in Loop: Header=BB4_1437 Depth=2
	s_delay_alu instid0(SALU_CYCLE_1) | instskip(SKIP_3) | instid1(VALU_DEP_1)
	s_or_b32 exec_lo, exec_lo, s28
	v_lshrrev_b32_e32 v10, 16, v13
	s_mov_b32 s12, 0
	s_mov_b32 s29, exec_lo
                                        ; implicit-def: $sgpr28
	v_and_b32_e32 v12, 0xff, v10
	s_delay_alu instid0(VALU_DEP_1)
	v_cmpx_lt_i16_e32 0x7f, v12
	s_xor_b32 s29, exec_lo, s29
	s_cbranch_execnz .LBB4_1948
; %bb.1615:                             ;   in Loop: Header=BB4_1437 Depth=2
	s_or_saveexec_b32 s29, s29
	v_mov_b32_e32 v11, s28
	s_xor_b32 exec_lo, exec_lo, s29
	s_cbranch_execnz .LBB4_1951
.LBB4_1616:                             ;   in Loop: Header=BB4_1437 Depth=2
	s_or_b32 exec_lo, exec_lo, s29
	s_and_saveexec_b32 s28, s12
	s_cbranch_execz .LBB4_1618
.LBB4_1617:                             ;   in Loop: Header=BB4_1437 Depth=2
	v_bfe_u32 v11, v13, 16, 3
	v_lshlrev_b32_e32 v102, 8, v13
	s_delay_alu instid0(VALU_DEP_2) | instskip(NEXT) | instid1(VALU_DEP_1)
	v_clz_i32_u32_e32 v12, v11
	v_min_u32_e32 v12, 32, v12
	s_delay_alu instid0(VALU_DEP_1) | instskip(SKIP_1) | instid1(VALU_DEP_2)
	v_subrev_nc_u32_e32 v98, 28, v12
	v_sub_nc_u32_e32 v12, 29, v12
	v_lshlrev_b32_e32 v10, v98, v10
	v_bfe_u32 v98, v13, 19, 4
	s_delay_alu instid0(VALU_DEP_2) | instskip(NEXT) | instid1(VALU_DEP_2)
	v_and_b32_e32 v10, 7, v10
	v_cmp_eq_u32_e32 vcc_lo, 0, v98
	v_cndmask_b32_e32 v12, v98, v12, vcc_lo
	s_delay_alu instid0(VALU_DEP_3) | instskip(SKIP_1) | instid1(VALU_DEP_3)
	v_cndmask_b32_e32 v10, v11, v10, vcc_lo
	v_and_b32_e32 v11, 0x80000000, v102
	v_lshl_add_u32 v12, v12, 23, 0x3b800000
	s_delay_alu instid0(VALU_DEP_3) | instskip(NEXT) | instid1(VALU_DEP_1)
	v_lshlrev_b32_e32 v10, 20, v10
	v_or3_b32 v11, v11, v12, v10
.LBB4_1618:                             ;   in Loop: Header=BB4_1437 Depth=2
	s_or_b32 exec_lo, exec_lo, s28
	s_delay_alu instid0(VALU_DEP_1) | instskip(SKIP_2) | instid1(VALU_DEP_2)
	v_mul_f32_e32 v10, s27, v11
	v_mov_b32_e32 v98, 0x80
	s_mov_b32 s28, exec_lo
	v_and_b32_e32 v11, 0x7f800000, v10
	s_delay_alu instid0(VALU_DEP_1)
	v_cmpx_ne_u32_e32 0x7f800000, v11
	s_cbranch_execz .LBB4_1626
; %bb.1619:                             ;   in Loop: Header=BB4_1437 Depth=2
	v_mov_b32_e32 v98, 0
	s_mov_b32 s29, exec_lo
	v_cmpx_ne_u32_e32 0, v10
	s_cbranch_execz .LBB4_1625
; %bb.1620:                             ;   in Loop: Header=BB4_1437 Depth=2
	v_bfe_u32 v11, v10, 23, 8
	v_and_b32_e32 v12, 0x7fffff, v10
	s_delay_alu instid0(VALU_DEP_2) | instskip(SKIP_1) | instid1(VALU_DEP_3)
	v_sub_nc_u32_e32 v98, 0x78, v11
	v_cmp_gt_u32_e32 vcc_lo, 0x79, v11
	v_or_b32_e32 v102, 0x800000, v12
	s_delay_alu instid0(VALU_DEP_3) | instskip(SKIP_2) | instid1(VALU_DEP_3)
	v_cndmask_b32_e32 v98, 0, v98, vcc_lo
	v_cmp_eq_u32_e32 vcc_lo, 0, v11
	v_add_nc_u32_e32 v11, 0xffffff89, v11
	v_cndmask_b32_e64 v98, v98, 0x77, vcc_lo
	v_cndmask_b32_e32 v12, v102, v12, vcc_lo
	s_delay_alu instid0(VALU_DEP_3) | instskip(NEXT) | instid1(VALU_DEP_3)
	v_cndmask_b32_e64 v11, v11, 0xffffff8a, vcc_lo
	v_lshl_add_u32 v102, 0x100000, v98, -1
	s_delay_alu instid0(VALU_DEP_3) | instskip(SKIP_1) | instid1(VALU_DEP_4)
	v_lshrrev_b32_e32 v129, v98, v12
	v_lshlrev_b32_e64 v131, v98, 0x80000
	v_add_nc_u32_e32 v98, v98, v11
	s_delay_alu instid0(VALU_DEP_4) | instskip(NEXT) | instid1(VALU_DEP_4)
	v_and_b32_e32 v12, v102, v12
	v_bfe_u32 v130, v129, 20, 1
	s_delay_alu instid0(VALU_DEP_2) | instskip(NEXT) | instid1(VALU_DEP_2)
	v_cmp_eq_u32_e64 s12, v12, v131
	v_add_nc_u32_e32 v102, -1, v130
	s_delay_alu instid0(VALU_DEP_1) | instskip(SKIP_2) | instid1(VALU_DEP_2)
	v_cndmask_b32_e64 v12, 0, v102, s12
	v_lshrrev_b32_e32 v102, 23, v129
	s_mov_b32 s12, exec_lo
	v_add_nc_u32_e32 v12, v12, v129
	s_delay_alu instid0(VALU_DEP_2) | instskip(NEXT) | instid1(VALU_DEP_2)
	v_xor_b32_e32 v102, 1, v102
	v_and_b32_e32 v11, 0xfffff, v12
	s_delay_alu instid0(VALU_DEP_1) | instskip(NEXT) | instid1(VALU_DEP_3)
	v_add_nc_u32_e32 v12, v11, v129
                                        ; implicit-def: $vgpr11
	v_cmpx_ne_u32_e64 v98, v102
	s_xor_b32 s12, exec_lo, s12
; %bb.1621:                             ;   in Loop: Header=BB4_1437 Depth=2
	s_delay_alu instid0(VALU_DEP_2) | instskip(SKIP_2) | instid1(VALU_DEP_2)
	v_cmp_lt_u32_e32 vcc_lo, 0xffffff, v12
	v_sub_nc_u32_e32 v11, v98, v102
	v_cndmask_b32_e64 v98, 0, 1, vcc_lo
	v_add_co_ci_u32_e32 v11, vcc_lo, 0, v11, vcc_lo
	s_delay_alu instid0(VALU_DEP_2)
	v_lshrrev_b32_e32 v12, v98, v12
; %bb.1622:                             ;   in Loop: Header=BB4_1437 Depth=2
	s_and_not1_saveexec_b32 s12, s12
; %bb.1623:                             ;   in Loop: Header=BB4_1437 Depth=2
	s_delay_alu instid0(VALU_DEP_1)
	v_bfe_u32 v11, v12, 23, 1
; %bb.1624:                             ;   in Loop: Header=BB4_1437 Depth=2
	s_or_b32 exec_lo, exec_lo, s12
	v_lshrrev_b32_e32 v12, 20, v12
	s_delay_alu instid0(VALU_DEP_2) | instskip(SKIP_2) | instid1(VALU_DEP_3)
	v_min_i32_e32 v98, 15, v11
	v_cmp_gt_i32_e32 vcc_lo, 16, v11
	v_lshrrev_b32_e32 v10, 24, v10
	v_lshlrev_b32_e32 v98, 3, v98
	v_cndmask_b32_e32 v12, 7, v12, vcc_lo
	s_delay_alu instid0(VALU_DEP_3) | instskip(NEXT) | instid1(VALU_DEP_3)
	v_and_b32_e32 v10, 0x80, v10
	v_and_b32_e32 v98, 0xf8, v98
	s_delay_alu instid0(VALU_DEP_3) | instskip(SKIP_1) | instid1(VALU_DEP_2)
	v_and_b32_e32 v102, 7, v12
	v_or_b32_e32 v11, v11, v12
	v_or3_b32 v10, v98, v10, v102
	s_delay_alu instid0(VALU_DEP_2) | instskip(NEXT) | instid1(VALU_DEP_2)
	v_cmp_ne_u32_e32 vcc_lo, 0, v11
	v_cndmask_b32_e32 v98, 0, v10, vcc_lo
.LBB4_1625:                             ;   in Loop: Header=BB4_1437 Depth=2
	s_or_b32 exec_lo, exec_lo, s29
.LBB4_1626:                             ;   in Loop: Header=BB4_1437 Depth=2
	s_delay_alu instid0(SALU_CYCLE_1) | instskip(SKIP_3) | instid1(VALU_DEP_1)
	s_or_b32 exec_lo, exec_lo, s28
	v_lshrrev_b32_e32 v10, 24, v13
	s_mov_b32 s12, 0
	s_mov_b32 s29, exec_lo
                                        ; implicit-def: $sgpr28
	v_cmpx_lt_i16_e32 0x7f, v10
	s_xor_b32 s29, exec_lo, s29
	s_cbranch_execnz .LBB4_1952
; %bb.1627:                             ;   in Loop: Header=BB4_1437 Depth=2
	s_or_saveexec_b32 s29, s29
	v_mov_b32_e32 v11, s28
	s_xor_b32 exec_lo, exec_lo, s29
	s_cbranch_execnz .LBB4_1955
.LBB4_1628:                             ;   in Loop: Header=BB4_1437 Depth=2
	s_or_b32 exec_lo, exec_lo, s29
	s_and_saveexec_b32 s28, s12
	s_cbranch_execz .LBB4_1630
.LBB4_1629:                             ;   in Loop: Header=BB4_1437 Depth=2
	v_bfe_u32 v11, v13, 24, 3
	s_delay_alu instid0(VALU_DEP_1) | instskip(NEXT) | instid1(VALU_DEP_1)
	v_clz_i32_u32_e32 v12, v11
	v_min_u32_e32 v12, 32, v12
	s_delay_alu instid0(VALU_DEP_1) | instskip(SKIP_1) | instid1(VALU_DEP_2)
	v_subrev_nc_u32_e32 v102, 28, v12
	v_sub_nc_u32_e32 v12, 29, v12
	v_lshlrev_b32_e32 v10, v102, v10
	v_bfe_u32 v102, v13, 27, 4
	s_delay_alu instid0(VALU_DEP_2) | instskip(NEXT) | instid1(VALU_DEP_2)
	v_and_b32_e32 v10, 7, v10
	v_cmp_eq_u32_e32 vcc_lo, 0, v102
	v_cndmask_b32_e32 v12, v102, v12, vcc_lo
	s_delay_alu instid0(VALU_DEP_3) | instskip(NEXT) | instid1(VALU_DEP_2)
	v_dual_cndmask_b32 v10, v11, v10 :: v_dual_and_b32 v11, 0x80000000, v13
	v_lshl_add_u32 v12, v12, 23, 0x3b800000
	s_delay_alu instid0(VALU_DEP_2) | instskip(NEXT) | instid1(VALU_DEP_1)
	v_lshlrev_b32_e32 v10, 20, v10
	v_or3_b32 v11, v11, v12, v10
.LBB4_1630:                             ;   in Loop: Header=BB4_1437 Depth=2
	s_or_b32 exec_lo, exec_lo, s28
	s_delay_alu instid0(VALU_DEP_1) | instskip(SKIP_2) | instid1(VALU_DEP_2)
	v_mul_f32_e32 v10, s27, v11
	v_mov_b32_e32 v102, 0x8000
	s_mov_b32 s27, exec_lo
	v_and_b32_e32 v11, 0x7f800000, v10
	s_delay_alu instid0(VALU_DEP_1)
	v_cmpx_ne_u32_e32 0x7f800000, v11
	s_cbranch_execz .LBB4_1638
; %bb.1631:                             ;   in Loop: Header=BB4_1437 Depth=2
	v_mov_b32_e32 v102, 0
	s_mov_b32 s28, exec_lo
	v_cmpx_ne_u32_e32 0, v10
	s_cbranch_execz .LBB4_1637
; %bb.1632:                             ;   in Loop: Header=BB4_1437 Depth=2
	v_bfe_u32 v11, v10, 23, 8
	s_delay_alu instid0(VALU_DEP_1) | instskip(SKIP_1) | instid1(VALU_DEP_2)
	v_sub_nc_u32_e32 v13, 0x78, v11
	v_cmp_gt_u32_e32 vcc_lo, 0x79, v11
	v_dual_cndmask_b32 v13, 0, v13 :: v_dual_and_b32 v12, 0x7fffff, v10
	s_delay_alu instid0(VALU_DEP_1) | instskip(SKIP_2) | instid1(VALU_DEP_4)
	v_or_b32_e32 v102, 0x800000, v12
	v_cmp_eq_u32_e32 vcc_lo, 0, v11
	v_add_nc_u32_e32 v11, 0xffffff89, v11
	v_cndmask_b32_e64 v13, v13, 0x77, vcc_lo
	s_delay_alu instid0(VALU_DEP_4) | instskip(NEXT) | instid1(VALU_DEP_3)
	v_cndmask_b32_e32 v12, v102, v12, vcc_lo
	v_cndmask_b32_e64 v11, v11, 0xffffff8a, vcc_lo
	s_delay_alu instid0(VALU_DEP_3) | instskip(NEXT) | instid1(VALU_DEP_3)
	v_lshl_add_u32 v102, 0x100000, v13, -1
	v_lshrrev_b32_e32 v129, v13, v12
	v_lshlrev_b32_e64 v131, v13, 0x80000
	s_delay_alu instid0(VALU_DEP_4) | instskip(NEXT) | instid1(VALU_DEP_4)
	v_add_nc_u32_e32 v13, v13, v11
	v_and_b32_e32 v12, v102, v12
	s_delay_alu instid0(VALU_DEP_4) | instskip(NEXT) | instid1(VALU_DEP_2)
	v_bfe_u32 v130, v129, 20, 1
	v_cmp_eq_u32_e64 s12, v12, v131
	s_delay_alu instid0(VALU_DEP_2) | instskip(NEXT) | instid1(VALU_DEP_1)
	v_add_nc_u32_e32 v102, -1, v130
	v_cndmask_b32_e64 v12, 0, v102, s12
	v_lshrrev_b32_e32 v102, 23, v129
	s_mov_b32 s12, exec_lo
	s_delay_alu instid0(VALU_DEP_2) | instskip(NEXT) | instid1(VALU_DEP_2)
	v_add_nc_u32_e32 v12, v12, v129
	v_xor_b32_e32 v102, 1, v102
	s_delay_alu instid0(VALU_DEP_2) | instskip(NEXT) | instid1(VALU_DEP_1)
	v_and_b32_e32 v11, 0xfffff, v12
	v_add_nc_u32_e32 v12, v11, v129
                                        ; implicit-def: $vgpr11
	s_delay_alu instid0(VALU_DEP_3)
	v_cmpx_ne_u32_e64 v13, v102
	s_xor_b32 s12, exec_lo, s12
; %bb.1633:                             ;   in Loop: Header=BB4_1437 Depth=2
	s_delay_alu instid0(VALU_DEP_2) | instskip(SKIP_2) | instid1(VALU_DEP_2)
	v_cmp_lt_u32_e32 vcc_lo, 0xffffff, v12
	v_sub_nc_u32_e32 v11, v13, v102
	v_cndmask_b32_e64 v13, 0, 1, vcc_lo
	v_add_co_ci_u32_e32 v11, vcc_lo, 0, v11, vcc_lo
	s_delay_alu instid0(VALU_DEP_2)
	v_lshrrev_b32_e32 v12, v13, v12
; %bb.1634:                             ;   in Loop: Header=BB4_1437 Depth=2
	s_and_not1_saveexec_b32 s12, s12
; %bb.1635:                             ;   in Loop: Header=BB4_1437 Depth=2
	s_delay_alu instid0(VALU_DEP_1)
	v_bfe_u32 v11, v12, 23, 1
; %bb.1636:                             ;   in Loop: Header=BB4_1437 Depth=2
	s_or_b32 exec_lo, exec_lo, s12
	v_lshrrev_b32_e32 v12, 20, v12
	s_delay_alu instid0(VALU_DEP_2) | instskip(SKIP_2) | instid1(VALU_DEP_2)
	v_cmp_gt_i32_e32 vcc_lo, 16, v11
	v_min_i32_e32 v13, 15, v11
	v_lshrrev_b32_e32 v10, 24, v10
	v_dual_cndmask_b32 v12, 7, v12 :: v_dual_lshlrev_b32 v13, 3, v13
	s_delay_alu instid0(VALU_DEP_2) | instskip(NEXT) | instid1(VALU_DEP_2)
	v_and_b32_e32 v10, 0x80, v10
	v_or_b32_e32 v11, v11, v12
	v_and_b32_e32 v102, 7, v12
	s_delay_alu instid0(VALU_DEP_2) | instskip(SKIP_1) | instid1(VALU_DEP_1)
	v_cmp_ne_u32_e32 vcc_lo, 0, v11
	v_and_b32_e32 v13, 0xf8, v13
	v_or3_b32 v10, v10, v13, v102
	s_delay_alu instid0(VALU_DEP_1) | instskip(NEXT) | instid1(VALU_DEP_1)
	v_lshlrev_b32_e32 v10, 8, v10
	v_cndmask_b32_e32 v102, 0, v10, vcc_lo
.LBB4_1637:                             ;   in Loop: Header=BB4_1437 Depth=2
	s_or_b32 exec_lo, exec_lo, s28
.LBB4_1638:                             ;   in Loop: Header=BB4_1437 Depth=2
	s_delay_alu instid0(SALU_CYCLE_1) | instskip(SKIP_4) | instid1(VALU_DEP_1)
	s_or_b32 exec_lo, exec_lo, s27
	global_load_b128 v[10:13], v[16:17], off slc dlc
	v_and_b32_e32 v130, 0xff, v97
	s_mov_b32 s12, 0
	s_mov_b32 s28, exec_lo
                                        ; implicit-def: $sgpr27
	v_cmpx_lt_i16_e64 0x7f, v130
	s_xor_b32 s28, exec_lo, s28
	s_cbranch_execnz .LBB4_1956
; %bb.1639:                             ;   in Loop: Header=BB4_1437 Depth=2
	s_or_saveexec_b32 s28, s28
	v_mov_b32_e32 v129, s27
	s_xor_b32 exec_lo, exec_lo, s28
	s_cbranch_execnz .LBB4_1959
.LBB4_1640:                             ;   in Loop: Header=BB4_1437 Depth=2
	s_or_b32 exec_lo, exec_lo, s28
	s_and_saveexec_b32 s27, s12
	s_cbranch_execz .LBB4_1642
.LBB4_1641:                             ;   in Loop: Header=BB4_1437 Depth=2
	v_bfe_u32 v132, v97, 3, 4
	s_delay_alu instid0(VALU_DEP_1) | instskip(SKIP_1) | instid1(VALU_DEP_1)
	v_cmp_eq_u32_e32 vcc_lo, 0, v132
	v_and_b32_e32 v129, 7, v97
	v_clz_i32_u32_e32 v130, v129
	s_delay_alu instid0(VALU_DEP_1) | instskip(NEXT) | instid1(VALU_DEP_1)
	v_min_u32_e32 v130, 32, v130
	v_subrev_nc_u32_e32 v131, 28, v130
	v_sub_nc_u32_e32 v130, 29, v130
	s_delay_alu instid0(VALU_DEP_1) | instskip(SKIP_1) | instid1(VALU_DEP_2)
	v_dual_cndmask_b32 v130, v132, v130 :: v_dual_lshlrev_b32 v131, v131, v97
	v_lshlrev_b32_e32 v97, 24, v97
	v_and_b32_e32 v131, 7, v131
	s_delay_alu instid0(VALU_DEP_3) | instskip(NEXT) | instid1(VALU_DEP_3)
	v_lshl_add_u32 v130, v130, 23, 0x3b800000
	v_and_b32_e32 v97, 0x80000000, v97
	s_delay_alu instid0(VALU_DEP_3) | instskip(NEXT) | instid1(VALU_DEP_1)
	v_cndmask_b32_e32 v129, v129, v131, vcc_lo
	v_lshlrev_b32_e32 v129, 20, v129
	s_delay_alu instid0(VALU_DEP_1)
	v_or3_b32 v129, v97, v130, v129
.LBB4_1642:                             ;   in Loop: Header=BB4_1437 Depth=2
	s_or_b32 exec_lo, exec_lo, s27
	s_waitcnt vmcnt(0)
	v_and_b32_e32 v130, 0xff, v10
	s_mov_b32 s12, 0
	s_mov_b32 s28, exec_lo
                                        ; implicit-def: $sgpr27
	s_delay_alu instid0(VALU_DEP_1)
	v_cmpx_lt_i16_e64 0x7f, v130
	s_xor_b32 s28, exec_lo, s28
	s_cbranch_execnz .LBB4_1960
; %bb.1643:                             ;   in Loop: Header=BB4_1437 Depth=2
	s_or_saveexec_b32 s28, s28
	v_mov_b32_e32 v97, s27
	s_xor_b32 exec_lo, exec_lo, s28
	s_cbranch_execnz .LBB4_1963
.LBB4_1644:                             ;   in Loop: Header=BB4_1437 Depth=2
	s_or_b32 exec_lo, exec_lo, s28
	s_and_saveexec_b32 s27, s12
	s_cbranch_execz .LBB4_1646
.LBB4_1645:                             ;   in Loop: Header=BB4_1437 Depth=2
	v_and_b32_e32 v97, 7, v10
	v_bfe_u32 v132, v10, 3, 4
	v_lshlrev_b32_e32 v133, 24, v10
	s_delay_alu instid0(VALU_DEP_3) | instskip(NEXT) | instid1(VALU_DEP_3)
	v_clz_i32_u32_e32 v130, v97
	v_cmp_eq_u32_e32 vcc_lo, 0, v132
	s_delay_alu instid0(VALU_DEP_2) | instskip(NEXT) | instid1(VALU_DEP_1)
	v_min_u32_e32 v130, 32, v130
	v_subrev_nc_u32_e32 v131, 28, v130
	v_sub_nc_u32_e32 v130, 29, v130
	s_delay_alu instid0(VALU_DEP_2) | instskip(NEXT) | instid1(VALU_DEP_1)
	v_lshlrev_b32_e32 v131, v131, v10
	v_dual_cndmask_b32 v130, v132, v130 :: v_dual_and_b32 v131, 7, v131
	s_delay_alu instid0(VALU_DEP_1) | instskip(NEXT) | instid1(VALU_DEP_2)
	v_lshl_add_u32 v130, v130, 23, 0x3b800000
	v_cndmask_b32_e32 v97, v97, v131, vcc_lo
	v_and_b32_e32 v131, 0x80000000, v133
	s_delay_alu instid0(VALU_DEP_2) | instskip(NEXT) | instid1(VALU_DEP_1)
	v_lshlrev_b32_e32 v97, 20, v97
	v_or3_b32 v97, v131, v130, v97
.LBB4_1646:                             ;   in Loop: Header=BB4_1437 Depth=2
	s_or_b32 exec_lo, exec_lo, s27
	s_delay_alu instid0(VALU_DEP_1) | instskip(NEXT) | instid1(VALU_DEP_1)
	v_add_f32_e32 v129, v129, v97
	v_and_b32_e32 v97, 0x7f800000, v129
	s_delay_alu instid0(VALU_DEP_1)
	v_cmp_ne_u32_e32 vcc_lo, 0x7f800000, v97
	v_mov_b32_e32 v97, 0x80
	s_and_saveexec_b32 s27, vcc_lo
	s_cbranch_execz .LBB4_1654
; %bb.1647:                             ;   in Loop: Header=BB4_1437 Depth=2
	v_mov_b32_e32 v97, 0
	s_mov_b32 s28, exec_lo
	v_cmpx_ne_u32_e32 0, v129
	s_cbranch_execz .LBB4_1653
; %bb.1648:                             ;   in Loop: Header=BB4_1437 Depth=2
	v_bfe_u32 v97, v129, 23, 8
	s_delay_alu instid0(VALU_DEP_1) | instskip(SKIP_1) | instid1(VALU_DEP_2)
	v_sub_nc_u32_e32 v131, 0x78, v97
	v_cmp_gt_u32_e32 vcc_lo, 0x79, v97
	v_dual_cndmask_b32 v131, 0, v131 :: v_dual_and_b32 v130, 0x7fffff, v129
	s_delay_alu instid0(VALU_DEP_1) | instskip(SKIP_2) | instid1(VALU_DEP_4)
	v_or_b32_e32 v132, 0x800000, v130
	v_cmp_eq_u32_e32 vcc_lo, 0, v97
	v_add_nc_u32_e32 v97, 0xffffff89, v97
	v_cndmask_b32_e64 v131, v131, 0x77, vcc_lo
	s_delay_alu instid0(VALU_DEP_4) | instskip(NEXT) | instid1(VALU_DEP_3)
	v_cndmask_b32_e32 v130, v132, v130, vcc_lo
	v_cndmask_b32_e64 v97, v97, 0xffffff8a, vcc_lo
	s_delay_alu instid0(VALU_DEP_3) | instskip(NEXT) | instid1(VALU_DEP_3)
	v_lshl_add_u32 v132, 0x100000, v131, -1
	v_lshrrev_b32_e32 v133, v131, v130
	v_lshlrev_b32_e64 v135, v131, 0x80000
	s_delay_alu instid0(VALU_DEP_4) | instskip(NEXT) | instid1(VALU_DEP_4)
	v_add_nc_u32_e32 v131, v131, v97
	v_and_b32_e32 v130, v132, v130
	s_delay_alu instid0(VALU_DEP_4) | instskip(NEXT) | instid1(VALU_DEP_2)
	v_bfe_u32 v134, v133, 20, 1
	v_cmp_eq_u32_e64 s12, v130, v135
	s_delay_alu instid0(VALU_DEP_2) | instskip(NEXT) | instid1(VALU_DEP_1)
	v_add_nc_u32_e32 v132, -1, v134
	v_cndmask_b32_e64 v130, 0, v132, s12
	v_lshrrev_b32_e32 v132, 23, v133
	s_mov_b32 s12, exec_lo
	s_delay_alu instid0(VALU_DEP_2) | instskip(NEXT) | instid1(VALU_DEP_2)
	v_add_nc_u32_e32 v130, v130, v133
	v_xor_b32_e32 v132, 1, v132
	s_delay_alu instid0(VALU_DEP_2) | instskip(NEXT) | instid1(VALU_DEP_1)
	v_and_b32_e32 v97, 0xfffff, v130
	v_add_nc_u32_e32 v130, v97, v133
                                        ; implicit-def: $vgpr97
	s_delay_alu instid0(VALU_DEP_3)
	v_cmpx_ne_u32_e64 v131, v132
	s_xor_b32 s12, exec_lo, s12
; %bb.1649:                             ;   in Loop: Header=BB4_1437 Depth=2
	s_delay_alu instid0(VALU_DEP_2) | instskip(SKIP_2) | instid1(VALU_DEP_2)
	v_cmp_lt_u32_e32 vcc_lo, 0xffffff, v130
	v_sub_nc_u32_e32 v97, v131, v132
	v_cndmask_b32_e64 v131, 0, 1, vcc_lo
	v_add_co_ci_u32_e32 v97, vcc_lo, 0, v97, vcc_lo
	s_delay_alu instid0(VALU_DEP_2)
	v_lshrrev_b32_e32 v130, v131, v130
; %bb.1650:                             ;   in Loop: Header=BB4_1437 Depth=2
	s_and_not1_saveexec_b32 s12, s12
; %bb.1651:                             ;   in Loop: Header=BB4_1437 Depth=2
	s_delay_alu instid0(VALU_DEP_1)
	v_bfe_u32 v97, v130, 23, 1
; %bb.1652:                             ;   in Loop: Header=BB4_1437 Depth=2
	s_or_b32 exec_lo, exec_lo, s12
	v_lshrrev_b32_e32 v130, 20, v130
	s_delay_alu instid0(VALU_DEP_2) | instskip(SKIP_2) | instid1(VALU_DEP_2)
	v_cmp_gt_i32_e32 vcc_lo, 16, v97
	v_lshrrev_b32_e32 v129, 24, v129
	v_min_i32_e32 v131, 15, v97
	v_dual_cndmask_b32 v130, 7, v130 :: v_dual_and_b32 v129, 0x80, v129
	s_delay_alu instid0(VALU_DEP_2) | instskip(NEXT) | instid1(VALU_DEP_2)
	v_lshlrev_b32_e32 v131, 3, v131
	v_or_b32_e32 v97, v97, v130
	s_delay_alu instid0(VALU_DEP_1) | instskip(SKIP_1) | instid1(VALU_DEP_1)
	v_cmp_ne_u32_e32 vcc_lo, 0, v97
	v_and_b32_e32 v132, 7, v130
	v_or3_b32 v129, v131, v129, v132
	s_delay_alu instid0(VALU_DEP_1)
	v_cndmask_b32_e32 v97, 0, v129, vcc_lo
.LBB4_1653:                             ;   in Loop: Header=BB4_1437 Depth=2
	s_or_b32 exec_lo, exec_lo, s28
.LBB4_1654:                             ;   in Loop: Header=BB4_1437 Depth=2
	s_delay_alu instid0(SALU_CYCLE_1) | instskip(SKIP_3) | instid1(VALU_DEP_1)
	s_or_b32 exec_lo, exec_lo, s27
	v_and_b32_e32 v130, 0xff, v101
	s_mov_b32 s12, 0
	s_mov_b32 s28, exec_lo
                                        ; implicit-def: $sgpr27
	v_cmpx_lt_i16_e64 0x7f, v130
	s_xor_b32 s28, exec_lo, s28
	s_cbranch_execnz .LBB4_1964
; %bb.1655:                             ;   in Loop: Header=BB4_1437 Depth=2
	s_or_saveexec_b32 s28, s28
	v_mov_b32_e32 v129, s27
	s_xor_b32 exec_lo, exec_lo, s28
	s_cbranch_execnz .LBB4_1967
.LBB4_1656:                             ;   in Loop: Header=BB4_1437 Depth=2
	s_or_b32 exec_lo, exec_lo, s28
	s_and_saveexec_b32 s27, s12
	s_cbranch_execz .LBB4_1658
.LBB4_1657:                             ;   in Loop: Header=BB4_1437 Depth=2
	v_bfe_u32 v132, v101, 3, 4
	s_delay_alu instid0(VALU_DEP_1) | instskip(SKIP_1) | instid1(VALU_DEP_1)
	v_cmp_eq_u32_e32 vcc_lo, 0, v132
	v_and_b32_e32 v129, 7, v101
	v_clz_i32_u32_e32 v130, v129
	s_delay_alu instid0(VALU_DEP_1) | instskip(NEXT) | instid1(VALU_DEP_1)
	v_min_u32_e32 v130, 32, v130
	v_subrev_nc_u32_e32 v131, 28, v130
	v_sub_nc_u32_e32 v130, 29, v130
	s_delay_alu instid0(VALU_DEP_1) | instskip(SKIP_1) | instid1(VALU_DEP_2)
	v_dual_cndmask_b32 v130, v132, v130 :: v_dual_lshlrev_b32 v131, v131, v101
	v_lshlrev_b32_e32 v101, 24, v101
	v_and_b32_e32 v131, 7, v131
	s_delay_alu instid0(VALU_DEP_3) | instskip(NEXT) | instid1(VALU_DEP_3)
	v_lshl_add_u32 v130, v130, 23, 0x3b800000
	v_and_b32_e32 v101, 0x80000000, v101
	s_delay_alu instid0(VALU_DEP_3) | instskip(NEXT) | instid1(VALU_DEP_1)
	v_cndmask_b32_e32 v129, v129, v131, vcc_lo
	v_lshlrev_b32_e32 v129, 20, v129
	s_delay_alu instid0(VALU_DEP_1)
	v_or3_b32 v129, v101, v130, v129
.LBB4_1658:                             ;   in Loop: Header=BB4_1437 Depth=2
	s_or_b32 exec_lo, exec_lo, s27
	v_lshrrev_b16 v101, 8, v10
	s_mov_b32 s12, 0
	s_mov_b32 s28, exec_lo
                                        ; implicit-def: $sgpr27
	s_delay_alu instid0(VALU_DEP_1)
	v_cmpx_lt_i16_e32 0x7f, v101
	s_xor_b32 s28, exec_lo, s28
	s_cbranch_execnz .LBB4_1968
; %bb.1659:                             ;   in Loop: Header=BB4_1437 Depth=2
	s_or_saveexec_b32 s28, s28
	v_mov_b32_e32 v130, s27
	s_xor_b32 exec_lo, exec_lo, s28
	s_cbranch_execnz .LBB4_1971
.LBB4_1660:                             ;   in Loop: Header=BB4_1437 Depth=2
	s_or_b32 exec_lo, exec_lo, s28
	s_and_saveexec_b32 s27, s12
	s_cbranch_execz .LBB4_1662
.LBB4_1661:                             ;   in Loop: Header=BB4_1437 Depth=2
	v_and_b32_e32 v130, 0xffff, v101
	v_lshlrev_b32_e32 v101, 24, v101
	s_delay_alu instid0(VALU_DEP_2) | instskip(NEXT) | instid1(VALU_DEP_2)
	v_and_b32_e32 v131, 7, v130
	v_and_b32_e32 v101, 0x80000000, v101
	s_delay_alu instid0(VALU_DEP_2) | instskip(NEXT) | instid1(VALU_DEP_1)
	v_clz_i32_u32_e32 v132, v131
	v_min_u32_e32 v132, 32, v132
	s_delay_alu instid0(VALU_DEP_1) | instskip(SKIP_1) | instid1(VALU_DEP_2)
	v_subrev_nc_u32_e32 v133, 28, v132
	v_sub_nc_u32_e32 v132, 29, v132
	v_lshlrev_b32_e32 v133, v133, v130
	v_bfe_u32 v130, v130, 3, 4
	s_delay_alu instid0(VALU_DEP_2) | instskip(NEXT) | instid1(VALU_DEP_2)
	v_and_b32_e32 v133, 7, v133
	v_cmp_eq_u32_e32 vcc_lo, 0, v130
	s_delay_alu instid0(VALU_DEP_2) | instskip(NEXT) | instid1(VALU_DEP_1)
	v_dual_cndmask_b32 v130, v130, v132 :: v_dual_cndmask_b32 v131, v131, v133
	v_lshl_add_u32 v130, v130, 23, 0x3b800000
	s_delay_alu instid0(VALU_DEP_2) | instskip(NEXT) | instid1(VALU_DEP_1)
	v_lshlrev_b32_e32 v131, 20, v131
	v_or3_b32 v130, v101, v130, v131
.LBB4_1662:                             ;   in Loop: Header=BB4_1437 Depth=2
	s_or_b32 exec_lo, exec_lo, s27
	s_delay_alu instid0(VALU_DEP_1) | instskip(NEXT) | instid1(VALU_DEP_1)
	v_add_f32_e32 v129, v129, v130
	v_and_b32_e32 v101, 0x7f800000, v129
	s_delay_alu instid0(VALU_DEP_1)
	v_cmp_ne_u32_e32 vcc_lo, 0x7f800000, v101
	v_mov_b32_e32 v101, 0x80
	s_and_saveexec_b32 s27, vcc_lo
	s_cbranch_execz .LBB4_1670
; %bb.1663:                             ;   in Loop: Header=BB4_1437 Depth=2
	v_mov_b32_e32 v101, 0
	s_mov_b32 s28, exec_lo
	v_cmpx_ne_u32_e32 0, v129
	s_cbranch_execz .LBB4_1669
; %bb.1664:                             ;   in Loop: Header=BB4_1437 Depth=2
	v_bfe_u32 v101, v129, 23, 8
	s_delay_alu instid0(VALU_DEP_1) | instskip(SKIP_1) | instid1(VALU_DEP_2)
	v_sub_nc_u32_e32 v131, 0x78, v101
	v_cmp_gt_u32_e32 vcc_lo, 0x79, v101
	v_dual_cndmask_b32 v131, 0, v131 :: v_dual_and_b32 v130, 0x7fffff, v129
	s_delay_alu instid0(VALU_DEP_1) | instskip(SKIP_2) | instid1(VALU_DEP_4)
	v_or_b32_e32 v132, 0x800000, v130
	v_cmp_eq_u32_e32 vcc_lo, 0, v101
	v_add_nc_u32_e32 v101, 0xffffff89, v101
	v_cndmask_b32_e64 v131, v131, 0x77, vcc_lo
	s_delay_alu instid0(VALU_DEP_4) | instskip(NEXT) | instid1(VALU_DEP_3)
	v_cndmask_b32_e32 v130, v132, v130, vcc_lo
	v_cndmask_b32_e64 v101, v101, 0xffffff8a, vcc_lo
	s_delay_alu instid0(VALU_DEP_3) | instskip(NEXT) | instid1(VALU_DEP_3)
	v_lshl_add_u32 v132, 0x100000, v131, -1
	v_lshrrev_b32_e32 v133, v131, v130
	v_lshlrev_b32_e64 v135, v131, 0x80000
	s_delay_alu instid0(VALU_DEP_4) | instskip(NEXT) | instid1(VALU_DEP_4)
	v_add_nc_u32_e32 v131, v131, v101
	v_and_b32_e32 v130, v132, v130
	s_delay_alu instid0(VALU_DEP_4) | instskip(NEXT) | instid1(VALU_DEP_2)
	v_bfe_u32 v134, v133, 20, 1
	v_cmp_eq_u32_e64 s12, v130, v135
	s_delay_alu instid0(VALU_DEP_2) | instskip(NEXT) | instid1(VALU_DEP_1)
	v_add_nc_u32_e32 v132, -1, v134
	v_cndmask_b32_e64 v130, 0, v132, s12
	v_lshrrev_b32_e32 v132, 23, v133
	s_mov_b32 s12, exec_lo
	s_delay_alu instid0(VALU_DEP_2) | instskip(NEXT) | instid1(VALU_DEP_2)
	v_add_nc_u32_e32 v130, v130, v133
	v_xor_b32_e32 v132, 1, v132
	s_delay_alu instid0(VALU_DEP_2) | instskip(NEXT) | instid1(VALU_DEP_1)
	v_and_b32_e32 v101, 0xfffff, v130
	v_add_nc_u32_e32 v130, v101, v133
                                        ; implicit-def: $vgpr101
	s_delay_alu instid0(VALU_DEP_3)
	v_cmpx_ne_u32_e64 v131, v132
	s_xor_b32 s12, exec_lo, s12
; %bb.1665:                             ;   in Loop: Header=BB4_1437 Depth=2
	s_delay_alu instid0(VALU_DEP_2) | instskip(SKIP_2) | instid1(VALU_DEP_2)
	v_cmp_lt_u32_e32 vcc_lo, 0xffffff, v130
	v_sub_nc_u32_e32 v101, v131, v132
	v_cndmask_b32_e64 v131, 0, 1, vcc_lo
	v_add_co_ci_u32_e32 v101, vcc_lo, 0, v101, vcc_lo
	s_delay_alu instid0(VALU_DEP_2)
	v_lshrrev_b32_e32 v130, v131, v130
; %bb.1666:                             ;   in Loop: Header=BB4_1437 Depth=2
	s_and_not1_saveexec_b32 s12, s12
; %bb.1667:                             ;   in Loop: Header=BB4_1437 Depth=2
	s_delay_alu instid0(VALU_DEP_1)
	v_bfe_u32 v101, v130, 23, 1
; %bb.1668:                             ;   in Loop: Header=BB4_1437 Depth=2
	s_or_b32 exec_lo, exec_lo, s12
	v_lshrrev_b32_e32 v130, 20, v130
	s_delay_alu instid0(VALU_DEP_2) | instskip(SKIP_2) | instid1(VALU_DEP_2)
	v_cmp_gt_i32_e32 vcc_lo, 16, v101
	v_lshrrev_b32_e32 v129, 24, v129
	v_min_i32_e32 v131, 15, v101
	v_dual_cndmask_b32 v130, 7, v130 :: v_dual_and_b32 v129, 0x80, v129
	s_delay_alu instid0(VALU_DEP_2) | instskip(NEXT) | instid1(VALU_DEP_2)
	v_lshlrev_b32_e32 v131, 3, v131
	v_or_b32_e32 v101, v101, v130
	s_delay_alu instid0(VALU_DEP_1) | instskip(SKIP_1) | instid1(VALU_DEP_1)
	v_cmp_ne_u32_e32 vcc_lo, 0, v101
	v_and_b32_e32 v132, 7, v130
	v_or3_b32 v129, v131, v129, v132
	s_delay_alu instid0(VALU_DEP_1)
	v_cndmask_b32_e32 v101, 0, v129, vcc_lo
.LBB4_1669:                             ;   in Loop: Header=BB4_1437 Depth=2
	s_or_b32 exec_lo, exec_lo, s28
.LBB4_1670:                             ;   in Loop: Header=BB4_1437 Depth=2
	s_delay_alu instid0(SALU_CYCLE_1) | instskip(SKIP_3) | instid1(VALU_DEP_1)
	s_or_b32 exec_lo, exec_lo, s27
	v_and_b32_e32 v130, 0xff, v115
	s_mov_b32 s12, 0
	s_mov_b32 s28, exec_lo
                                        ; implicit-def: $sgpr27
	v_cmpx_lt_i16_e64 0x7f, v130
	s_xor_b32 s28, exec_lo, s28
	s_cbranch_execnz .LBB4_1972
; %bb.1671:                             ;   in Loop: Header=BB4_1437 Depth=2
	s_or_saveexec_b32 s28, s28
	v_mov_b32_e32 v129, s27
	s_xor_b32 exec_lo, exec_lo, s28
	s_cbranch_execnz .LBB4_1975
.LBB4_1672:                             ;   in Loop: Header=BB4_1437 Depth=2
	s_or_b32 exec_lo, exec_lo, s28
	s_and_saveexec_b32 s27, s12
	s_cbranch_execz .LBB4_1674
.LBB4_1673:                             ;   in Loop: Header=BB4_1437 Depth=2
	v_bfe_u32 v132, v115, 3, 4
	s_delay_alu instid0(VALU_DEP_1) | instskip(SKIP_1) | instid1(VALU_DEP_1)
	v_cmp_eq_u32_e32 vcc_lo, 0, v132
	v_and_b32_e32 v129, 7, v115
	v_clz_i32_u32_e32 v130, v129
	s_delay_alu instid0(VALU_DEP_1) | instskip(NEXT) | instid1(VALU_DEP_1)
	v_min_u32_e32 v130, 32, v130
	v_subrev_nc_u32_e32 v131, 28, v130
	v_sub_nc_u32_e32 v130, 29, v130
	s_delay_alu instid0(VALU_DEP_1) | instskip(SKIP_1) | instid1(VALU_DEP_2)
	v_dual_cndmask_b32 v130, v132, v130 :: v_dual_lshlrev_b32 v131, v131, v115
	v_lshlrev_b32_e32 v115, 24, v115
	v_and_b32_e32 v131, 7, v131
	s_delay_alu instid0(VALU_DEP_3) | instskip(NEXT) | instid1(VALU_DEP_3)
	v_lshl_add_u32 v130, v130, 23, 0x3b800000
	v_and_b32_e32 v115, 0x80000000, v115
	s_delay_alu instid0(VALU_DEP_3) | instskip(NEXT) | instid1(VALU_DEP_1)
	v_cndmask_b32_e32 v129, v129, v131, vcc_lo
	v_lshlrev_b32_e32 v129, 20, v129
	s_delay_alu instid0(VALU_DEP_1)
	v_or3_b32 v129, v115, v130, v129
.LBB4_1674:                             ;   in Loop: Header=BB4_1437 Depth=2
	s_or_b32 exec_lo, exec_lo, s27
	v_lshrrev_b32_e32 v115, 16, v10
	s_mov_b32 s12, 0
	s_mov_b32 s28, exec_lo
                                        ; implicit-def: $sgpr27
	s_delay_alu instid0(VALU_DEP_1) | instskip(NEXT) | instid1(VALU_DEP_1)
	v_and_b32_e32 v131, 0xff, v115
	v_cmpx_lt_i16_e64 0x7f, v131
	s_xor_b32 s28, exec_lo, s28
	s_cbranch_execnz .LBB4_1976
; %bb.1675:                             ;   in Loop: Header=BB4_1437 Depth=2
	s_or_saveexec_b32 s28, s28
	v_mov_b32_e32 v130, s27
	s_xor_b32 exec_lo, exec_lo, s28
	s_cbranch_execnz .LBB4_1979
.LBB4_1676:                             ;   in Loop: Header=BB4_1437 Depth=2
	s_or_b32 exec_lo, exec_lo, s28
	s_and_saveexec_b32 s27, s12
	s_cbranch_execz .LBB4_1678
.LBB4_1677:                             ;   in Loop: Header=BB4_1437 Depth=2
	v_bfe_u32 v130, v10, 16, 3
	v_lshlrev_b32_e32 v133, 8, v10
	s_delay_alu instid0(VALU_DEP_2) | instskip(NEXT) | instid1(VALU_DEP_1)
	v_clz_i32_u32_e32 v131, v130
	v_min_u32_e32 v131, 32, v131
	s_delay_alu instid0(VALU_DEP_1) | instskip(SKIP_1) | instid1(VALU_DEP_2)
	v_subrev_nc_u32_e32 v132, 28, v131
	v_sub_nc_u32_e32 v131, 29, v131
	v_lshlrev_b32_e32 v115, v132, v115
	v_bfe_u32 v132, v10, 19, 4
	s_delay_alu instid0(VALU_DEP_2) | instskip(NEXT) | instid1(VALU_DEP_2)
	v_and_b32_e32 v115, 7, v115
	v_cmp_eq_u32_e32 vcc_lo, 0, v132
	v_cndmask_b32_e32 v131, v132, v131, vcc_lo
	s_delay_alu instid0(VALU_DEP_3) | instskip(NEXT) | instid1(VALU_DEP_2)
	v_dual_cndmask_b32 v115, v130, v115 :: v_dual_and_b32 v130, 0x80000000, v133
	v_lshl_add_u32 v131, v131, 23, 0x3b800000
	s_delay_alu instid0(VALU_DEP_2) | instskip(NEXT) | instid1(VALU_DEP_1)
	v_lshlrev_b32_e32 v115, 20, v115
	v_or3_b32 v130, v130, v131, v115
.LBB4_1678:                             ;   in Loop: Header=BB4_1437 Depth=2
	s_or_b32 exec_lo, exec_lo, s27
	s_delay_alu instid0(VALU_DEP_1) | instskip(NEXT) | instid1(VALU_DEP_1)
	v_add_f32_e32 v129, v129, v130
	v_and_b32_e32 v115, 0x7f800000, v129
	s_delay_alu instid0(VALU_DEP_1)
	v_cmp_ne_u32_e32 vcc_lo, 0x7f800000, v115
	v_mov_b32_e32 v115, 0x80
	s_and_saveexec_b32 s27, vcc_lo
	s_cbranch_execz .LBB4_1686
; %bb.1679:                             ;   in Loop: Header=BB4_1437 Depth=2
	v_mov_b32_e32 v115, 0
	s_mov_b32 s28, exec_lo
	v_cmpx_ne_u32_e32 0, v129
	s_cbranch_execz .LBB4_1685
; %bb.1680:                             ;   in Loop: Header=BB4_1437 Depth=2
	v_bfe_u32 v115, v129, 23, 8
	s_delay_alu instid0(VALU_DEP_1) | instskip(SKIP_1) | instid1(VALU_DEP_2)
	v_sub_nc_u32_e32 v131, 0x78, v115
	v_cmp_gt_u32_e32 vcc_lo, 0x79, v115
	v_dual_cndmask_b32 v131, 0, v131 :: v_dual_and_b32 v130, 0x7fffff, v129
	s_delay_alu instid0(VALU_DEP_1) | instskip(SKIP_2) | instid1(VALU_DEP_4)
	v_or_b32_e32 v132, 0x800000, v130
	v_cmp_eq_u32_e32 vcc_lo, 0, v115
	v_add_nc_u32_e32 v115, 0xffffff89, v115
	v_cndmask_b32_e64 v131, v131, 0x77, vcc_lo
	s_delay_alu instid0(VALU_DEP_4) | instskip(NEXT) | instid1(VALU_DEP_3)
	v_cndmask_b32_e32 v130, v132, v130, vcc_lo
	v_cndmask_b32_e64 v115, v115, 0xffffff8a, vcc_lo
	s_delay_alu instid0(VALU_DEP_3) | instskip(NEXT) | instid1(VALU_DEP_3)
	v_lshl_add_u32 v132, 0x100000, v131, -1
	v_lshrrev_b32_e32 v133, v131, v130
	v_lshlrev_b32_e64 v135, v131, 0x80000
	s_delay_alu instid0(VALU_DEP_4) | instskip(NEXT) | instid1(VALU_DEP_4)
	v_add_nc_u32_e32 v131, v131, v115
	v_and_b32_e32 v130, v132, v130
	s_delay_alu instid0(VALU_DEP_4) | instskip(NEXT) | instid1(VALU_DEP_2)
	v_bfe_u32 v134, v133, 20, 1
	v_cmp_eq_u32_e64 s12, v130, v135
	s_delay_alu instid0(VALU_DEP_2) | instskip(NEXT) | instid1(VALU_DEP_1)
	v_add_nc_u32_e32 v132, -1, v134
	v_cndmask_b32_e64 v130, 0, v132, s12
	v_lshrrev_b32_e32 v132, 23, v133
	s_mov_b32 s12, exec_lo
	s_delay_alu instid0(VALU_DEP_2) | instskip(NEXT) | instid1(VALU_DEP_2)
	v_add_nc_u32_e32 v130, v130, v133
	v_xor_b32_e32 v132, 1, v132
	s_delay_alu instid0(VALU_DEP_2) | instskip(NEXT) | instid1(VALU_DEP_1)
	v_and_b32_e32 v115, 0xfffff, v130
	v_add_nc_u32_e32 v130, v115, v133
                                        ; implicit-def: $vgpr115
	s_delay_alu instid0(VALU_DEP_3)
	v_cmpx_ne_u32_e64 v131, v132
	s_xor_b32 s12, exec_lo, s12
; %bb.1681:                             ;   in Loop: Header=BB4_1437 Depth=2
	s_delay_alu instid0(VALU_DEP_2) | instskip(SKIP_2) | instid1(VALU_DEP_2)
	v_cmp_lt_u32_e32 vcc_lo, 0xffffff, v130
	v_sub_nc_u32_e32 v115, v131, v132
	v_cndmask_b32_e64 v131, 0, 1, vcc_lo
	v_add_co_ci_u32_e32 v115, vcc_lo, 0, v115, vcc_lo
	s_delay_alu instid0(VALU_DEP_2)
	v_lshrrev_b32_e32 v130, v131, v130
; %bb.1682:                             ;   in Loop: Header=BB4_1437 Depth=2
	s_and_not1_saveexec_b32 s12, s12
; %bb.1683:                             ;   in Loop: Header=BB4_1437 Depth=2
	s_delay_alu instid0(VALU_DEP_1)
	v_bfe_u32 v115, v130, 23, 1
; %bb.1684:                             ;   in Loop: Header=BB4_1437 Depth=2
	s_or_b32 exec_lo, exec_lo, s12
	v_lshrrev_b32_e32 v130, 20, v130
	s_delay_alu instid0(VALU_DEP_2) | instskip(SKIP_2) | instid1(VALU_DEP_2)
	v_cmp_gt_i32_e32 vcc_lo, 16, v115
	v_lshrrev_b32_e32 v129, 24, v129
	v_min_i32_e32 v131, 15, v115
	v_dual_cndmask_b32 v130, 7, v130 :: v_dual_and_b32 v129, 0x80, v129
	s_delay_alu instid0(VALU_DEP_2) | instskip(NEXT) | instid1(VALU_DEP_2)
	v_lshlrev_b32_e32 v131, 3, v131
	v_or_b32_e32 v115, v115, v130
	s_delay_alu instid0(VALU_DEP_1) | instskip(SKIP_1) | instid1(VALU_DEP_1)
	v_cmp_ne_u32_e32 vcc_lo, 0, v115
	v_and_b32_e32 v132, 7, v130
	v_or3_b32 v129, v131, v129, v132
	s_delay_alu instid0(VALU_DEP_1)
	v_cndmask_b32_e32 v115, 0, v129, vcc_lo
.LBB4_1685:                             ;   in Loop: Header=BB4_1437 Depth=2
	s_or_b32 exec_lo, exec_lo, s28
.LBB4_1686:                             ;   in Loop: Header=BB4_1437 Depth=2
	s_delay_alu instid0(SALU_CYCLE_1) | instskip(SKIP_3) | instid1(VALU_DEP_1)
	s_or_b32 exec_lo, exec_lo, s27
	v_and_b32_e32 v130, 0xff, v118
	s_mov_b32 s12, 0
	s_mov_b32 s28, exec_lo
                                        ; implicit-def: $sgpr27
	v_cmpx_lt_i16_e64 0x7f, v130
	s_xor_b32 s28, exec_lo, s28
	s_cbranch_execnz .LBB4_1980
; %bb.1687:                             ;   in Loop: Header=BB4_1437 Depth=2
	s_or_saveexec_b32 s28, s28
	v_mov_b32_e32 v129, s27
	s_xor_b32 exec_lo, exec_lo, s28
	s_cbranch_execnz .LBB4_1983
.LBB4_1688:                             ;   in Loop: Header=BB4_1437 Depth=2
	s_or_b32 exec_lo, exec_lo, s28
	s_and_saveexec_b32 s27, s12
	s_cbranch_execz .LBB4_1690
.LBB4_1689:                             ;   in Loop: Header=BB4_1437 Depth=2
	v_lshlrev_b32_e32 v118, 8, v118
	s_delay_alu instid0(VALU_DEP_1) | instskip(SKIP_1) | instid1(VALU_DEP_2)
	v_and_b32_e32 v129, 0xff00, v118
	v_bfe_u32 v118, v118, 11, 4
	v_bfe_u32 v131, v129, 8, 3
	s_delay_alu instid0(VALU_DEP_2) | instskip(NEXT) | instid1(VALU_DEP_2)
	v_cmp_eq_u32_e32 vcc_lo, 0, v118
	v_clz_i32_u32_e32 v132, v131
	s_delay_alu instid0(VALU_DEP_1) | instskip(NEXT) | instid1(VALU_DEP_1)
	v_min_u32_e32 v132, 32, v132
	v_subrev_nc_u32_e32 v133, 28, v132
	v_sub_nc_u32_e32 v132, 29, v132
	s_delay_alu instid0(VALU_DEP_2) | instskip(NEXT) | instid1(VALU_DEP_2)
	v_lshlrev_b32_e32 v130, v133, v130
	v_cndmask_b32_e32 v118, v118, v132, vcc_lo
	s_delay_alu instid0(VALU_DEP_2) | instskip(SKIP_1) | instid1(VALU_DEP_3)
	v_and_b32_e32 v130, 7, v130
	v_lshlrev_b32_e32 v129, 16, v129
	v_lshl_add_u32 v118, v118, 23, 0x3b800000
	s_delay_alu instid0(VALU_DEP_2) | instskip(NEXT) | instid1(VALU_DEP_1)
	v_dual_cndmask_b32 v130, v131, v130 :: v_dual_and_b32 v129, 0x80000000, v129
	v_lshlrev_b32_e32 v130, 20, v130
	s_delay_alu instid0(VALU_DEP_1)
	v_or3_b32 v129, v129, v118, v130
.LBB4_1690:                             ;   in Loop: Header=BB4_1437 Depth=2
	s_or_b32 exec_lo, exec_lo, s27
	v_lshrrev_b32_e32 v118, 24, v10
	s_mov_b32 s12, 0
	s_mov_b32 s28, exec_lo
                                        ; implicit-def: $sgpr27
	s_delay_alu instid0(VALU_DEP_1)
	v_cmpx_lt_i16_e32 0x7f, v118
	s_xor_b32 s28, exec_lo, s28
	s_cbranch_execnz .LBB4_1984
; %bb.1691:                             ;   in Loop: Header=BB4_1437 Depth=2
	s_or_saveexec_b32 s28, s28
	v_mov_b32_e32 v130, s27
	s_xor_b32 exec_lo, exec_lo, s28
	s_cbranch_execnz .LBB4_1987
.LBB4_1692:                             ;   in Loop: Header=BB4_1437 Depth=2
	s_or_b32 exec_lo, exec_lo, s28
	s_and_saveexec_b32 s27, s12
	s_cbranch_execz .LBB4_1694
.LBB4_1693:                             ;   in Loop: Header=BB4_1437 Depth=2
	v_bfe_u32 v130, v10, 24, 3
	s_delay_alu instid0(VALU_DEP_1) | instskip(NEXT) | instid1(VALU_DEP_1)
	v_clz_i32_u32_e32 v131, v130
	v_min_u32_e32 v131, 32, v131
	s_delay_alu instid0(VALU_DEP_1) | instskip(SKIP_1) | instid1(VALU_DEP_2)
	v_subrev_nc_u32_e32 v132, 28, v131
	v_sub_nc_u32_e32 v131, 29, v131
	v_lshlrev_b32_e32 v118, v132, v118
	v_bfe_u32 v132, v10, 27, 4
	v_and_b32_e32 v10, 0x80000000, v10
	s_delay_alu instid0(VALU_DEP_2) | instskip(NEXT) | instid1(VALU_DEP_4)
	v_cmp_eq_u32_e32 vcc_lo, 0, v132
	v_dual_cndmask_b32 v131, v132, v131 :: v_dual_and_b32 v118, 7, v118
	s_delay_alu instid0(VALU_DEP_1) | instskip(NEXT) | instid1(VALU_DEP_2)
	v_cndmask_b32_e32 v118, v130, v118, vcc_lo
	v_lshl_add_u32 v130, v131, 23, 0x3b800000
	s_delay_alu instid0(VALU_DEP_2) | instskip(NEXT) | instid1(VALU_DEP_1)
	v_lshlrev_b32_e32 v118, 20, v118
	v_or3_b32 v130, v10, v130, v118
.LBB4_1694:                             ;   in Loop: Header=BB4_1437 Depth=2
	s_or_b32 exec_lo, exec_lo, s27
	s_delay_alu instid0(VALU_DEP_1) | instskip(NEXT) | instid1(VALU_DEP_1)
	v_add_f32_e32 v118, v129, v130
	v_and_b32_e32 v10, 0x7f800000, v118
	s_delay_alu instid0(VALU_DEP_1)
	v_cmp_ne_u32_e32 vcc_lo, 0x7f800000, v10
	v_mov_b32_e32 v10, 0x80
	s_and_saveexec_b32 s27, vcc_lo
	s_cbranch_execz .LBB4_1702
; %bb.1695:                             ;   in Loop: Header=BB4_1437 Depth=2
	v_mov_b32_e32 v10, 0
	s_mov_b32 s28, exec_lo
	v_cmpx_ne_u32_e32 0, v118
	s_cbranch_execz .LBB4_1701
; %bb.1696:                             ;   in Loop: Header=BB4_1437 Depth=2
	v_bfe_u32 v10, v118, 23, 8
	v_and_b32_e32 v129, 0x7fffff, v118
	s_delay_alu instid0(VALU_DEP_2) | instskip(SKIP_1) | instid1(VALU_DEP_3)
	v_sub_nc_u32_e32 v130, 0x78, v10
	v_cmp_gt_u32_e32 vcc_lo, 0x79, v10
	v_or_b32_e32 v131, 0x800000, v129
	s_delay_alu instid0(VALU_DEP_3) | instskip(SKIP_1) | instid1(VALU_DEP_3)
	v_cndmask_b32_e32 v130, 0, v130, vcc_lo
	v_cmp_eq_u32_e32 vcc_lo, 0, v10
	v_dual_cndmask_b32 v129, v131, v129 :: v_dual_add_nc_u32 v10, 0xffffff89, v10
	s_delay_alu instid0(VALU_DEP_3) | instskip(NEXT) | instid1(VALU_DEP_2)
	v_cndmask_b32_e64 v130, v130, 0x77, vcc_lo
	v_cndmask_b32_e64 v10, v10, 0xffffff8a, vcc_lo
	s_delay_alu instid0(VALU_DEP_2) | instskip(SKIP_2) | instid1(VALU_DEP_4)
	v_lshrrev_b32_e32 v132, v130, v129
	v_lshl_add_u32 v131, 0x100000, v130, -1
	v_lshlrev_b32_e64 v134, v130, 0x80000
	v_add_nc_u32_e32 v130, v130, v10
	s_delay_alu instid0(VALU_DEP_4) | instskip(NEXT) | instid1(VALU_DEP_4)
	v_bfe_u32 v133, v132, 20, 1
	v_and_b32_e32 v129, v131, v129
	s_delay_alu instid0(VALU_DEP_2) | instskip(NEXT) | instid1(VALU_DEP_2)
	v_add_nc_u32_e32 v131, -1, v133
	v_cmp_eq_u32_e64 s12, v129, v134
	s_delay_alu instid0(VALU_DEP_1) | instskip(SKIP_2) | instid1(VALU_DEP_2)
	v_cndmask_b32_e64 v129, 0, v131, s12
	v_lshrrev_b32_e32 v131, 23, v132
	s_mov_b32 s12, exec_lo
	v_add_nc_u32_e32 v129, v129, v132
	s_delay_alu instid0(VALU_DEP_2) | instskip(NEXT) | instid1(VALU_DEP_2)
	v_xor_b32_e32 v131, 1, v131
	v_and_b32_e32 v10, 0xfffff, v129
	s_delay_alu instid0(VALU_DEP_1) | instskip(NEXT) | instid1(VALU_DEP_3)
	v_add_nc_u32_e32 v129, v10, v132
                                        ; implicit-def: $vgpr10
	v_cmpx_ne_u32_e64 v130, v131
	s_xor_b32 s12, exec_lo, s12
; %bb.1697:                             ;   in Loop: Header=BB4_1437 Depth=2
	s_delay_alu instid0(VALU_DEP_2) | instskip(SKIP_2) | instid1(VALU_DEP_2)
	v_cmp_lt_u32_e32 vcc_lo, 0xffffff, v129
	v_sub_nc_u32_e32 v10, v130, v131
	v_cndmask_b32_e64 v130, 0, 1, vcc_lo
	v_add_co_ci_u32_e32 v10, vcc_lo, 0, v10, vcc_lo
	s_delay_alu instid0(VALU_DEP_2)
	v_lshrrev_b32_e32 v129, v130, v129
; %bb.1698:                             ;   in Loop: Header=BB4_1437 Depth=2
	s_and_not1_saveexec_b32 s12, s12
; %bb.1699:                             ;   in Loop: Header=BB4_1437 Depth=2
	s_delay_alu instid0(VALU_DEP_1)
	v_bfe_u32 v10, v129, 23, 1
; %bb.1700:                             ;   in Loop: Header=BB4_1437 Depth=2
	s_or_b32 exec_lo, exec_lo, s12
	v_lshrrev_b32_e32 v129, 20, v129
	s_delay_alu instid0(VALU_DEP_2) | instskip(SKIP_2) | instid1(VALU_DEP_2)
	v_cmp_gt_i32_e32 vcc_lo, 16, v10
	v_lshrrev_b32_e32 v118, 24, v118
	v_min_i32_e32 v130, 15, v10
	v_dual_cndmask_b32 v129, 7, v129 :: v_dual_and_b32 v118, 0x80, v118
	s_delay_alu instid0(VALU_DEP_2) | instskip(NEXT) | instid1(VALU_DEP_2)
	v_lshlrev_b32_e32 v130, 3, v130
	v_or_b32_e32 v10, v10, v129
	s_delay_alu instid0(VALU_DEP_1) | instskip(SKIP_1) | instid1(VALU_DEP_1)
	v_cmp_ne_u32_e32 vcc_lo, 0, v10
	v_and_b32_e32 v131, 7, v129
	v_or3_b32 v118, v130, v118, v131
	s_delay_alu instid0(VALU_DEP_1)
	v_cndmask_b32_e32 v10, 0, v118, vcc_lo
.LBB4_1701:                             ;   in Loop: Header=BB4_1437 Depth=2
	s_or_b32 exec_lo, exec_lo, s28
.LBB4_1702:                             ;   in Loop: Header=BB4_1437 Depth=2
	s_delay_alu instid0(SALU_CYCLE_1) | instskip(SKIP_3) | instid1(VALU_DEP_1)
	s_or_b32 exec_lo, exec_lo, s27
	v_or_b32_e32 v128, v128, v117
	s_mov_b32 s12, 0
	s_mov_b32 s28, exec_lo
                                        ; implicit-def: $sgpr27
	v_and_b32_e32 v118, 0xff, v128
	s_delay_alu instid0(VALU_DEP_1)
	v_cmpx_lt_i16_e32 0x7f, v118
	s_xor_b32 s28, exec_lo, s28
	s_cbranch_execnz .LBB4_1988
; %bb.1703:                             ;   in Loop: Header=BB4_1437 Depth=2
	s_or_saveexec_b32 s28, s28
	v_mov_b32_e32 v117, s27
	s_xor_b32 exec_lo, exec_lo, s28
	s_cbranch_execnz .LBB4_1991
.LBB4_1704:                             ;   in Loop: Header=BB4_1437 Depth=2
	s_or_b32 exec_lo, exec_lo, s28
	s_and_saveexec_b32 s27, s12
	s_cbranch_execz .LBB4_1706
.LBB4_1705:                             ;   in Loop: Header=BB4_1437 Depth=2
	v_bfe_u32 v130, v128, 3, 4
	v_lshlrev_b32_e32 v131, 24, v128
	s_delay_alu instid0(VALU_DEP_2) | instskip(SKIP_1) | instid1(VALU_DEP_1)
	v_cmp_eq_u32_e32 vcc_lo, 0, v130
	v_and_b32_e32 v117, 7, v128
	v_clz_i32_u32_e32 v118, v117
	s_delay_alu instid0(VALU_DEP_1) | instskip(NEXT) | instid1(VALU_DEP_1)
	v_min_u32_e32 v118, 32, v118
	v_subrev_nc_u32_e32 v129, 28, v118
	v_sub_nc_u32_e32 v118, 29, v118
	s_delay_alu instid0(VALU_DEP_1) | instskip(NEXT) | instid1(VALU_DEP_1)
	v_dual_cndmask_b32 v118, v130, v118 :: v_dual_lshlrev_b32 v129, v129, v128
	v_and_b32_e32 v129, 7, v129
	s_delay_alu instid0(VALU_DEP_2) | instskip(NEXT) | instid1(VALU_DEP_2)
	v_lshl_add_u32 v118, v118, 23, 0x3b800000
	v_cndmask_b32_e32 v117, v117, v129, vcc_lo
	v_and_b32_e32 v129, 0x80000000, v131
	s_delay_alu instid0(VALU_DEP_2) | instskip(NEXT) | instid1(VALU_DEP_1)
	v_lshlrev_b32_e32 v117, 20, v117
	v_or3_b32 v117, v129, v118, v117
.LBB4_1706:                             ;   in Loop: Header=BB4_1437 Depth=2
	s_or_b32 exec_lo, exec_lo, s27
	v_and_b32_e32 v129, 0xff, v11
	s_mov_b32 s12, 0
	s_mov_b32 s28, exec_lo
                                        ; implicit-def: $sgpr27
	s_delay_alu instid0(VALU_DEP_1)
	v_cmpx_lt_i16_e64 0x7f, v129
	s_xor_b32 s28, exec_lo, s28
	s_cbranch_execnz .LBB4_1992
; %bb.1707:                             ;   in Loop: Header=BB4_1437 Depth=2
	s_or_saveexec_b32 s28, s28
	v_mov_b32_e32 v118, s27
	s_xor_b32 exec_lo, exec_lo, s28
	s_cbranch_execnz .LBB4_1995
.LBB4_1708:                             ;   in Loop: Header=BB4_1437 Depth=2
	s_or_b32 exec_lo, exec_lo, s28
	s_and_saveexec_b32 s27, s12
	s_cbranch_execz .LBB4_1710
.LBB4_1709:                             ;   in Loop: Header=BB4_1437 Depth=2
	v_bfe_u32 v131, v11, 3, 4
	v_lshlrev_b32_e32 v132, 24, v11
	s_delay_alu instid0(VALU_DEP_2) | instskip(SKIP_1) | instid1(VALU_DEP_1)
	v_cmp_eq_u32_e32 vcc_lo, 0, v131
	v_and_b32_e32 v118, 7, v11
	v_clz_i32_u32_e32 v129, v118
	s_delay_alu instid0(VALU_DEP_1) | instskip(NEXT) | instid1(VALU_DEP_1)
	v_min_u32_e32 v129, 32, v129
	v_subrev_nc_u32_e32 v130, 28, v129
	v_sub_nc_u32_e32 v129, 29, v129
	s_delay_alu instid0(VALU_DEP_1) | instskip(NEXT) | instid1(VALU_DEP_1)
	v_dual_cndmask_b32 v129, v131, v129 :: v_dual_lshlrev_b32 v130, v130, v11
	v_and_b32_e32 v130, 7, v130
	s_delay_alu instid0(VALU_DEP_2) | instskip(NEXT) | instid1(VALU_DEP_2)
	v_lshl_add_u32 v129, v129, 23, 0x3b800000
	v_cndmask_b32_e32 v118, v118, v130, vcc_lo
	v_and_b32_e32 v130, 0x80000000, v132
	s_delay_alu instid0(VALU_DEP_2) | instskip(NEXT) | instid1(VALU_DEP_1)
	v_lshlrev_b32_e32 v118, 20, v118
	v_or3_b32 v118, v130, v129, v118
.LBB4_1710:                             ;   in Loop: Header=BB4_1437 Depth=2
	s_or_b32 exec_lo, exec_lo, s27
	s_delay_alu instid0(VALU_DEP_1) | instskip(NEXT) | instid1(VALU_DEP_1)
	v_add_f32_e32 v118, v117, v118
	v_and_b32_e32 v117, 0x7f800000, v118
	s_delay_alu instid0(VALU_DEP_1)
	v_cmp_ne_u32_e32 vcc_lo, 0x7f800000, v117
	v_mov_b32_e32 v117, 0x80
	s_and_saveexec_b32 s27, vcc_lo
	s_cbranch_execz .LBB4_1718
; %bb.1711:                             ;   in Loop: Header=BB4_1437 Depth=2
	v_mov_b32_e32 v117, 0
	s_mov_b32 s28, exec_lo
	v_cmpx_ne_u32_e32 0, v118
	s_cbranch_execz .LBB4_1717
; %bb.1712:                             ;   in Loop: Header=BB4_1437 Depth=2
	v_bfe_u32 v117, v118, 23, 8
	v_and_b32_e32 v129, 0x7fffff, v118
	s_delay_alu instid0(VALU_DEP_2) | instskip(SKIP_1) | instid1(VALU_DEP_3)
	v_sub_nc_u32_e32 v130, 0x78, v117
	v_cmp_gt_u32_e32 vcc_lo, 0x79, v117
	v_or_b32_e32 v131, 0x800000, v129
	s_delay_alu instid0(VALU_DEP_3) | instskip(SKIP_2) | instid1(VALU_DEP_4)
	v_cndmask_b32_e32 v130, 0, v130, vcc_lo
	v_cmp_eq_u32_e32 vcc_lo, 0, v117
	v_add_nc_u32_e32 v117, 0xffffff89, v117
	v_cndmask_b32_e32 v129, v131, v129, vcc_lo
	s_delay_alu instid0(VALU_DEP_4) | instskip(NEXT) | instid1(VALU_DEP_3)
	v_cndmask_b32_e64 v130, v130, 0x77, vcc_lo
	v_cndmask_b32_e64 v117, v117, 0xffffff8a, vcc_lo
	s_delay_alu instid0(VALU_DEP_2) | instskip(SKIP_2) | instid1(VALU_DEP_4)
	v_lshrrev_b32_e32 v132, v130, v129
	v_lshl_add_u32 v131, 0x100000, v130, -1
	v_lshlrev_b32_e64 v134, v130, 0x80000
	v_add_nc_u32_e32 v130, v130, v117
	s_delay_alu instid0(VALU_DEP_4) | instskip(NEXT) | instid1(VALU_DEP_4)
	v_bfe_u32 v133, v132, 20, 1
	v_and_b32_e32 v129, v131, v129
	s_delay_alu instid0(VALU_DEP_2) | instskip(NEXT) | instid1(VALU_DEP_2)
	v_add_nc_u32_e32 v131, -1, v133
	v_cmp_eq_u32_e64 s12, v129, v134
	s_delay_alu instid0(VALU_DEP_1) | instskip(SKIP_2) | instid1(VALU_DEP_2)
	v_cndmask_b32_e64 v129, 0, v131, s12
	v_lshrrev_b32_e32 v131, 23, v132
	s_mov_b32 s12, exec_lo
	v_add_nc_u32_e32 v129, v129, v132
	s_delay_alu instid0(VALU_DEP_2) | instskip(NEXT) | instid1(VALU_DEP_2)
	v_xor_b32_e32 v131, 1, v131
	v_and_b32_e32 v117, 0xfffff, v129
	s_delay_alu instid0(VALU_DEP_1) | instskip(NEXT) | instid1(VALU_DEP_3)
	v_add_nc_u32_e32 v129, v117, v132
                                        ; implicit-def: $vgpr117
	v_cmpx_ne_u32_e64 v130, v131
	s_xor_b32 s12, exec_lo, s12
; %bb.1713:                             ;   in Loop: Header=BB4_1437 Depth=2
	s_delay_alu instid0(VALU_DEP_2) | instskip(SKIP_2) | instid1(VALU_DEP_2)
	v_cmp_lt_u32_e32 vcc_lo, 0xffffff, v129
	v_sub_nc_u32_e32 v117, v130, v131
	v_cndmask_b32_e64 v130, 0, 1, vcc_lo
	v_add_co_ci_u32_e32 v117, vcc_lo, 0, v117, vcc_lo
	s_delay_alu instid0(VALU_DEP_2)
	v_lshrrev_b32_e32 v129, v130, v129
; %bb.1714:                             ;   in Loop: Header=BB4_1437 Depth=2
	s_and_not1_saveexec_b32 s12, s12
; %bb.1715:                             ;   in Loop: Header=BB4_1437 Depth=2
	s_delay_alu instid0(VALU_DEP_1)
	v_bfe_u32 v117, v129, 23, 1
; %bb.1716:                             ;   in Loop: Header=BB4_1437 Depth=2
	s_or_b32 exec_lo, exec_lo, s12
	v_lshrrev_b32_e32 v129, 20, v129
	s_delay_alu instid0(VALU_DEP_2) | instskip(SKIP_2) | instid1(VALU_DEP_2)
	v_cmp_gt_i32_e32 vcc_lo, 16, v117
	v_lshrrev_b32_e32 v118, 24, v118
	v_min_i32_e32 v130, 15, v117
	v_dual_cndmask_b32 v129, 7, v129 :: v_dual_and_b32 v118, 0x80, v118
	s_delay_alu instid0(VALU_DEP_2) | instskip(NEXT) | instid1(VALU_DEP_2)
	v_lshlrev_b32_e32 v130, 3, v130
	v_and_b32_e32 v131, 7, v129
	v_or_b32_e32 v117, v117, v129
	s_delay_alu instid0(VALU_DEP_2) | instskip(NEXT) | instid1(VALU_DEP_2)
	v_or3_b32 v118, v130, v118, v131
	v_cmp_ne_u32_e32 vcc_lo, 0, v117
	s_delay_alu instid0(VALU_DEP_2)
	v_cndmask_b32_e32 v117, 0, v118, vcc_lo
.LBB4_1717:                             ;   in Loop: Header=BB4_1437 Depth=2
	s_or_b32 exec_lo, exec_lo, s28
.LBB4_1718:                             ;   in Loop: Header=BB4_1437 Depth=2
	s_delay_alu instid0(SALU_CYCLE_1) | instskip(SKIP_3) | instid1(VALU_DEP_1)
	s_or_b32 exec_lo, exec_lo, s27
	v_lshrrev_b16 v129, 8, v128
	s_mov_b32 s12, 0
	s_mov_b32 s28, exec_lo
                                        ; implicit-def: $sgpr27
	v_cmpx_lt_i16_e64 0x7f, v129
	s_xor_b32 s28, exec_lo, s28
	s_cbranch_execnz .LBB4_1996
; %bb.1719:                             ;   in Loop: Header=BB4_1437 Depth=2
	s_or_saveexec_b32 s28, s28
	v_mov_b32_e32 v118, s27
	s_xor_b32 exec_lo, exec_lo, s28
	s_cbranch_execnz .LBB4_1999
.LBB4_1720:                             ;   in Loop: Header=BB4_1437 Depth=2
	s_or_b32 exec_lo, exec_lo, s28
	s_and_saveexec_b32 s27, s12
	s_cbranch_execz .LBB4_1722
.LBB4_1721:                             ;   in Loop: Header=BB4_1437 Depth=2
	v_and_b32_e32 v118, 0xffff, v129
	s_delay_alu instid0(VALU_DEP_1) | instskip(NEXT) | instid1(VALU_DEP_1)
	v_and_b32_e32 v130, 7, v118
	v_clz_i32_u32_e32 v131, v130
	s_delay_alu instid0(VALU_DEP_1) | instskip(NEXT) | instid1(VALU_DEP_1)
	v_min_u32_e32 v131, 32, v131
	v_subrev_nc_u32_e32 v132, 28, v131
	v_sub_nc_u32_e32 v131, 29, v131
	s_delay_alu instid0(VALU_DEP_2) | instskip(SKIP_1) | instid1(VALU_DEP_2)
	v_lshlrev_b32_e32 v132, v132, v118
	v_bfe_u32 v118, v118, 3, 4
	v_and_b32_e32 v132, 7, v132
	s_delay_alu instid0(VALU_DEP_2) | instskip(SKIP_1) | instid1(VALU_DEP_1)
	v_cmp_eq_u32_e32 vcc_lo, 0, v118
	v_dual_cndmask_b32 v118, v118, v131 :: v_dual_lshlrev_b32 v129, 24, v129
	v_dual_cndmask_b32 v130, v130, v132 :: v_dual_and_b32 v129, 0x80000000, v129
	s_delay_alu instid0(VALU_DEP_2) | instskip(NEXT) | instid1(VALU_DEP_2)
	v_lshl_add_u32 v118, v118, 23, 0x3b800000
	v_lshlrev_b32_e32 v130, 20, v130
	s_delay_alu instid0(VALU_DEP_1)
	v_or3_b32 v118, v129, v118, v130
.LBB4_1722:                             ;   in Loop: Header=BB4_1437 Depth=2
	s_or_b32 exec_lo, exec_lo, s27
	v_lshrrev_b16 v129, 8, v11
	s_mov_b32 s12, 0
	s_mov_b32 s28, exec_lo
                                        ; implicit-def: $sgpr27
	s_delay_alu instid0(VALU_DEP_1)
	v_cmpx_lt_i16_e64 0x7f, v129
	s_xor_b32 s28, exec_lo, s28
	s_cbranch_execnz .LBB4_2000
; %bb.1723:                             ;   in Loop: Header=BB4_1437 Depth=2
	s_or_saveexec_b32 s28, s28
	v_mov_b32_e32 v130, s27
	s_xor_b32 exec_lo, exec_lo, s28
	s_cbranch_execnz .LBB4_2003
.LBB4_1724:                             ;   in Loop: Header=BB4_1437 Depth=2
	s_or_b32 exec_lo, exec_lo, s28
	s_and_saveexec_b32 s27, s12
	s_cbranch_execz .LBB4_1726
.LBB4_1725:                             ;   in Loop: Header=BB4_1437 Depth=2
	v_and_b32_e32 v130, 0xffff, v129
	v_lshlrev_b32_e32 v129, 24, v129
	s_delay_alu instid0(VALU_DEP_2) | instskip(NEXT) | instid1(VALU_DEP_2)
	v_and_b32_e32 v131, 7, v130
	v_and_b32_e32 v129, 0x80000000, v129
	s_delay_alu instid0(VALU_DEP_2) | instskip(NEXT) | instid1(VALU_DEP_1)
	v_clz_i32_u32_e32 v132, v131
	v_min_u32_e32 v132, 32, v132
	s_delay_alu instid0(VALU_DEP_1) | instskip(SKIP_1) | instid1(VALU_DEP_2)
	v_subrev_nc_u32_e32 v133, 28, v132
	v_sub_nc_u32_e32 v132, 29, v132
	v_lshlrev_b32_e32 v133, v133, v130
	v_bfe_u32 v130, v130, 3, 4
	s_delay_alu instid0(VALU_DEP_2) | instskip(NEXT) | instid1(VALU_DEP_2)
	v_and_b32_e32 v133, 7, v133
	v_cmp_eq_u32_e32 vcc_lo, 0, v130
	s_delay_alu instid0(VALU_DEP_2) | instskip(NEXT) | instid1(VALU_DEP_1)
	v_dual_cndmask_b32 v130, v130, v132 :: v_dual_cndmask_b32 v131, v131, v133
	v_lshl_add_u32 v130, v130, 23, 0x3b800000
	s_delay_alu instid0(VALU_DEP_2) | instskip(NEXT) | instid1(VALU_DEP_1)
	v_lshlrev_b32_e32 v131, 20, v131
	v_or3_b32 v130, v129, v130, v131
.LBB4_1726:                             ;   in Loop: Header=BB4_1437 Depth=2
	s_or_b32 exec_lo, exec_lo, s27
	s_delay_alu instid0(VALU_DEP_1) | instskip(NEXT) | instid1(VALU_DEP_1)
	v_add_f32_e32 v129, v118, v130
	v_and_b32_e32 v118, 0x7f800000, v129
	s_delay_alu instid0(VALU_DEP_1)
	v_cmp_ne_u32_e32 vcc_lo, 0x7f800000, v118
	v_mov_b32_e32 v118, 0x8000
	s_and_saveexec_b32 s27, vcc_lo
	s_cbranch_execz .LBB4_1734
; %bb.1727:                             ;   in Loop: Header=BB4_1437 Depth=2
	v_mov_b32_e32 v118, 0
	s_mov_b32 s28, exec_lo
	v_cmpx_ne_u32_e32 0, v129
	s_cbranch_execz .LBB4_1733
; %bb.1728:                             ;   in Loop: Header=BB4_1437 Depth=2
	v_bfe_u32 v118, v129, 23, 8
	s_delay_alu instid0(VALU_DEP_1) | instskip(SKIP_1) | instid1(VALU_DEP_2)
	v_sub_nc_u32_e32 v131, 0x78, v118
	v_cmp_gt_u32_e32 vcc_lo, 0x79, v118
	v_dual_cndmask_b32 v131, 0, v131 :: v_dual_and_b32 v130, 0x7fffff, v129
	s_delay_alu instid0(VALU_DEP_1) | instskip(SKIP_2) | instid1(VALU_DEP_4)
	v_or_b32_e32 v132, 0x800000, v130
	v_cmp_eq_u32_e32 vcc_lo, 0, v118
	v_add_nc_u32_e32 v118, 0xffffff89, v118
	v_cndmask_b32_e64 v131, v131, 0x77, vcc_lo
	s_delay_alu instid0(VALU_DEP_4) | instskip(NEXT) | instid1(VALU_DEP_3)
	v_cndmask_b32_e32 v130, v132, v130, vcc_lo
	v_cndmask_b32_e64 v118, v118, 0xffffff8a, vcc_lo
	s_delay_alu instid0(VALU_DEP_3) | instskip(NEXT) | instid1(VALU_DEP_3)
	v_lshl_add_u32 v132, 0x100000, v131, -1
	v_lshrrev_b32_e32 v133, v131, v130
	v_lshlrev_b32_e64 v135, v131, 0x80000
	s_delay_alu instid0(VALU_DEP_4) | instskip(NEXT) | instid1(VALU_DEP_4)
	v_add_nc_u32_e32 v131, v131, v118
	v_and_b32_e32 v130, v132, v130
	s_delay_alu instid0(VALU_DEP_4) | instskip(NEXT) | instid1(VALU_DEP_2)
	v_bfe_u32 v134, v133, 20, 1
	v_cmp_eq_u32_e64 s12, v130, v135
	s_delay_alu instid0(VALU_DEP_2) | instskip(NEXT) | instid1(VALU_DEP_1)
	v_add_nc_u32_e32 v132, -1, v134
	v_cndmask_b32_e64 v130, 0, v132, s12
	v_lshrrev_b32_e32 v132, 23, v133
	s_mov_b32 s12, exec_lo
	s_delay_alu instid0(VALU_DEP_2) | instskip(NEXT) | instid1(VALU_DEP_2)
	v_add_nc_u32_e32 v130, v130, v133
	v_xor_b32_e32 v132, 1, v132
	s_delay_alu instid0(VALU_DEP_2) | instskip(NEXT) | instid1(VALU_DEP_1)
	v_and_b32_e32 v118, 0xfffff, v130
	v_add_nc_u32_e32 v130, v118, v133
                                        ; implicit-def: $vgpr118
	s_delay_alu instid0(VALU_DEP_3)
	v_cmpx_ne_u32_e64 v131, v132
	s_xor_b32 s12, exec_lo, s12
; %bb.1729:                             ;   in Loop: Header=BB4_1437 Depth=2
	s_delay_alu instid0(VALU_DEP_2) | instskip(SKIP_2) | instid1(VALU_DEP_2)
	v_cmp_lt_u32_e32 vcc_lo, 0xffffff, v130
	v_sub_nc_u32_e32 v118, v131, v132
	v_cndmask_b32_e64 v131, 0, 1, vcc_lo
	v_add_co_ci_u32_e32 v118, vcc_lo, 0, v118, vcc_lo
	s_delay_alu instid0(VALU_DEP_2)
	v_lshrrev_b32_e32 v130, v131, v130
; %bb.1730:                             ;   in Loop: Header=BB4_1437 Depth=2
	s_and_not1_saveexec_b32 s12, s12
; %bb.1731:                             ;   in Loop: Header=BB4_1437 Depth=2
	s_delay_alu instid0(VALU_DEP_1)
	v_bfe_u32 v118, v130, 23, 1
; %bb.1732:                             ;   in Loop: Header=BB4_1437 Depth=2
	s_or_b32 exec_lo, exec_lo, s12
	v_lshrrev_b32_e32 v130, 20, v130
	s_delay_alu instid0(VALU_DEP_2) | instskip(SKIP_2) | instid1(VALU_DEP_2)
	v_cmp_gt_i32_e32 vcc_lo, 16, v118
	v_min_i32_e32 v131, 15, v118
	v_lshrrev_b32_e32 v129, 24, v129
	v_dual_cndmask_b32 v130, 7, v130 :: v_dual_lshlrev_b32 v131, 3, v131
	s_delay_alu instid0(VALU_DEP_2) | instskip(NEXT) | instid1(VALU_DEP_2)
	v_and_b32_e32 v129, 0x80, v129
	v_or_b32_e32 v118, v118, v130
	v_and_b32_e32 v132, 7, v130
	s_delay_alu instid0(VALU_DEP_2) | instskip(SKIP_1) | instid1(VALU_DEP_1)
	v_cmp_ne_u32_e32 vcc_lo, 0, v118
	v_and_b32_e32 v131, 0xf8, v131
	v_or3_b32 v129, v129, v131, v132
	s_delay_alu instid0(VALU_DEP_1) | instskip(NEXT) | instid1(VALU_DEP_1)
	v_lshlrev_b32_e32 v129, 8, v129
	v_cndmask_b32_e32 v118, 0, v129, vcc_lo
.LBB4_1733:                             ;   in Loop: Header=BB4_1437 Depth=2
	s_or_b32 exec_lo, exec_lo, s28
.LBB4_1734:                             ;   in Loop: Header=BB4_1437 Depth=2
	s_delay_alu instid0(SALU_CYCLE_1) | instskip(SKIP_3) | instid1(VALU_DEP_1)
	s_or_b32 exec_lo, exec_lo, s27
	v_or_b32_e32 v119, v119, v116
	s_mov_b32 s12, 0
	s_mov_b32 s28, exec_lo
                                        ; implicit-def: $sgpr27
	v_and_b32_e32 v129, 0xff, v119
	s_delay_alu instid0(VALU_DEP_1)
	v_cmpx_lt_i16_e64 0x7f, v129
	s_xor_b32 s28, exec_lo, s28
	s_cbranch_execnz .LBB4_2004
; %bb.1735:                             ;   in Loop: Header=BB4_1437 Depth=2
	s_or_saveexec_b32 s28, s28
	v_mov_b32_e32 v116, s27
	s_xor_b32 exec_lo, exec_lo, s28
	s_cbranch_execnz .LBB4_2007
.LBB4_1736:                             ;   in Loop: Header=BB4_1437 Depth=2
	s_or_b32 exec_lo, exec_lo, s28
	v_lshl_or_b32 v119, v119, 16, v128
	s_and_saveexec_b32 s27, s12
	s_cbranch_execz .LBB4_1738
.LBB4_1737:                             ;   in Loop: Header=BB4_1437 Depth=2
	s_delay_alu instid0(VALU_DEP_1) | instskip(SKIP_1) | instid1(VALU_DEP_2)
	v_bfe_u32 v116, v119, 16, 3
	v_lshrrev_b32_e32 v129, 16, v119
	v_clz_i32_u32_e32 v128, v116
	s_delay_alu instid0(VALU_DEP_1) | instskip(NEXT) | instid1(VALU_DEP_1)
	v_min_u32_e32 v128, 32, v128
	v_subrev_nc_u32_e32 v130, 28, v128
	v_sub_nc_u32_e32 v128, 29, v128
	s_delay_alu instid0(VALU_DEP_2) | instskip(SKIP_1) | instid1(VALU_DEP_1)
	v_lshlrev_b32_e32 v129, v130, v129
	v_bfe_u32 v130, v119, 19, 4
	v_cmp_eq_u32_e32 vcc_lo, 0, v130
	s_delay_alu instid0(VALU_DEP_3) | instskip(NEXT) | instid1(VALU_DEP_1)
	v_dual_cndmask_b32 v128, v130, v128 :: v_dual_and_b32 v129, 7, v129
	v_dual_cndmask_b32 v116, v116, v129 :: v_dual_lshlrev_b32 v131, 8, v119
	s_delay_alu instid0(VALU_DEP_2) | instskip(NEXT) | instid1(VALU_DEP_2)
	v_lshl_add_u32 v128, v128, 23, 0x3b800000
	v_and_b32_e32 v129, 0x80000000, v131
	s_delay_alu instid0(VALU_DEP_3) | instskip(NEXT) | instid1(VALU_DEP_1)
	v_lshlrev_b32_e32 v116, 20, v116
	v_or3_b32 v116, v129, v128, v116
.LBB4_1738:                             ;   in Loop: Header=BB4_1437 Depth=2
	s_or_b32 exec_lo, exec_lo, s27
	v_lshrrev_b32_e32 v128, 16, v11
	s_mov_b32 s12, 0
	s_mov_b32 s28, exec_lo
                                        ; implicit-def: $sgpr27
	s_delay_alu instid0(VALU_DEP_1) | instskip(NEXT) | instid1(VALU_DEP_1)
	v_and_b32_e32 v130, 0xff, v128
	v_cmpx_lt_i16_e64 0x7f, v130
	s_xor_b32 s28, exec_lo, s28
	s_cbranch_execnz .LBB4_2008
; %bb.1739:                             ;   in Loop: Header=BB4_1437 Depth=2
	s_or_saveexec_b32 s28, s28
	v_mov_b32_e32 v129, s27
	s_xor_b32 exec_lo, exec_lo, s28
	s_cbranch_execnz .LBB4_2011
.LBB4_1740:                             ;   in Loop: Header=BB4_1437 Depth=2
	s_or_b32 exec_lo, exec_lo, s28
	s_and_saveexec_b32 s27, s12
	s_cbranch_execz .LBB4_1742
.LBB4_1741:                             ;   in Loop: Header=BB4_1437 Depth=2
	v_bfe_u32 v129, v11, 16, 3
	v_lshlrev_b32_e32 v132, 8, v11
	s_delay_alu instid0(VALU_DEP_2) | instskip(NEXT) | instid1(VALU_DEP_1)
	v_clz_i32_u32_e32 v130, v129
	v_min_u32_e32 v130, 32, v130
	s_delay_alu instid0(VALU_DEP_1) | instskip(SKIP_1) | instid1(VALU_DEP_2)
	v_subrev_nc_u32_e32 v131, 28, v130
	v_sub_nc_u32_e32 v130, 29, v130
	v_lshlrev_b32_e32 v128, v131, v128
	v_bfe_u32 v131, v11, 19, 4
	s_delay_alu instid0(VALU_DEP_2) | instskip(NEXT) | instid1(VALU_DEP_2)
	v_and_b32_e32 v128, 7, v128
	v_cmp_eq_u32_e32 vcc_lo, 0, v131
	v_cndmask_b32_e32 v130, v131, v130, vcc_lo
	s_delay_alu instid0(VALU_DEP_3) | instskip(SKIP_1) | instid1(VALU_DEP_3)
	v_cndmask_b32_e32 v128, v129, v128, vcc_lo
	v_and_b32_e32 v129, 0x80000000, v132
	v_lshl_add_u32 v130, v130, 23, 0x3b800000
	s_delay_alu instid0(VALU_DEP_3) | instskip(NEXT) | instid1(VALU_DEP_1)
	v_lshlrev_b32_e32 v128, 20, v128
	v_or3_b32 v129, v129, v130, v128
.LBB4_1742:                             ;   in Loop: Header=BB4_1437 Depth=2
	s_or_b32 exec_lo, exec_lo, s27
	s_delay_alu instid0(VALU_DEP_1) | instskip(NEXT) | instid1(VALU_DEP_1)
	v_add_f32_e32 v128, v116, v129
	v_and_b32_e32 v116, 0x7f800000, v128
	s_delay_alu instid0(VALU_DEP_1)
	v_cmp_ne_u32_e32 vcc_lo, 0x7f800000, v116
	v_mov_b32_e32 v116, 0x80
	s_and_saveexec_b32 s27, vcc_lo
	s_cbranch_execz .LBB4_1750
; %bb.1743:                             ;   in Loop: Header=BB4_1437 Depth=2
	v_mov_b32_e32 v116, 0
	s_mov_b32 s28, exec_lo
	v_cmpx_ne_u32_e32 0, v128
	s_cbranch_execz .LBB4_1749
; %bb.1744:                             ;   in Loop: Header=BB4_1437 Depth=2
	v_bfe_u32 v116, v128, 23, 8
	s_delay_alu instid0(VALU_DEP_1) | instskip(SKIP_1) | instid1(VALU_DEP_2)
	v_sub_nc_u32_e32 v130, 0x78, v116
	v_cmp_gt_u32_e32 vcc_lo, 0x79, v116
	v_dual_cndmask_b32 v130, 0, v130 :: v_dual_and_b32 v129, 0x7fffff, v128
	s_delay_alu instid0(VALU_DEP_1) | instskip(SKIP_2) | instid1(VALU_DEP_4)
	v_or_b32_e32 v131, 0x800000, v129
	v_cmp_eq_u32_e32 vcc_lo, 0, v116
	v_add_nc_u32_e32 v116, 0xffffff89, v116
	v_cndmask_b32_e64 v130, v130, 0x77, vcc_lo
	s_delay_alu instid0(VALU_DEP_4) | instskip(NEXT) | instid1(VALU_DEP_3)
	v_cndmask_b32_e32 v129, v131, v129, vcc_lo
	v_cndmask_b32_e64 v116, v116, 0xffffff8a, vcc_lo
	s_delay_alu instid0(VALU_DEP_3) | instskip(NEXT) | instid1(VALU_DEP_3)
	v_lshl_add_u32 v131, 0x100000, v130, -1
	v_lshrrev_b32_e32 v132, v130, v129
	v_lshlrev_b32_e64 v134, v130, 0x80000
	s_delay_alu instid0(VALU_DEP_4) | instskip(NEXT) | instid1(VALU_DEP_4)
	v_add_nc_u32_e32 v130, v130, v116
	v_and_b32_e32 v129, v131, v129
	s_delay_alu instid0(VALU_DEP_4) | instskip(NEXT) | instid1(VALU_DEP_2)
	v_bfe_u32 v133, v132, 20, 1
	v_cmp_eq_u32_e64 s12, v129, v134
	s_delay_alu instid0(VALU_DEP_2) | instskip(NEXT) | instid1(VALU_DEP_1)
	v_add_nc_u32_e32 v131, -1, v133
	v_cndmask_b32_e64 v129, 0, v131, s12
	v_lshrrev_b32_e32 v131, 23, v132
	s_mov_b32 s12, exec_lo
	s_delay_alu instid0(VALU_DEP_2) | instskip(NEXT) | instid1(VALU_DEP_2)
	v_add_nc_u32_e32 v129, v129, v132
	v_xor_b32_e32 v131, 1, v131
	s_delay_alu instid0(VALU_DEP_2) | instskip(NEXT) | instid1(VALU_DEP_1)
	v_and_b32_e32 v116, 0xfffff, v129
	v_add_nc_u32_e32 v129, v116, v132
                                        ; implicit-def: $vgpr116
	s_delay_alu instid0(VALU_DEP_3)
	v_cmpx_ne_u32_e64 v130, v131
	s_xor_b32 s12, exec_lo, s12
; %bb.1745:                             ;   in Loop: Header=BB4_1437 Depth=2
	s_delay_alu instid0(VALU_DEP_2) | instskip(SKIP_2) | instid1(VALU_DEP_2)
	v_cmp_lt_u32_e32 vcc_lo, 0xffffff, v129
	v_sub_nc_u32_e32 v116, v130, v131
	v_cndmask_b32_e64 v130, 0, 1, vcc_lo
	v_add_co_ci_u32_e32 v116, vcc_lo, 0, v116, vcc_lo
	s_delay_alu instid0(VALU_DEP_2)
	v_lshrrev_b32_e32 v129, v130, v129
; %bb.1746:                             ;   in Loop: Header=BB4_1437 Depth=2
	s_and_not1_saveexec_b32 s12, s12
; %bb.1747:                             ;   in Loop: Header=BB4_1437 Depth=2
	s_delay_alu instid0(VALU_DEP_1)
	v_bfe_u32 v116, v129, 23, 1
; %bb.1748:                             ;   in Loop: Header=BB4_1437 Depth=2
	s_or_b32 exec_lo, exec_lo, s12
	v_lshrrev_b32_e32 v129, 20, v129
	s_delay_alu instid0(VALU_DEP_2) | instskip(SKIP_2) | instid1(VALU_DEP_2)
	v_cmp_gt_i32_e32 vcc_lo, 16, v116
	v_min_i32_e32 v130, 15, v116
	v_lshrrev_b32_e32 v128, 24, v128
	v_dual_cndmask_b32 v129, 7, v129 :: v_dual_lshlrev_b32 v130, 3, v130
	s_delay_alu instid0(VALU_DEP_2) | instskip(NEXT) | instid1(VALU_DEP_2)
	v_and_b32_e32 v128, 0x80, v128
	v_or_b32_e32 v116, v116, v129
	s_delay_alu instid0(VALU_DEP_3) | instskip(NEXT) | instid1(VALU_DEP_2)
	v_and_b32_e32 v130, 0xf8, v130
	v_cmp_ne_u32_e32 vcc_lo, 0, v116
	v_and_b32_e32 v131, 7, v129
	s_delay_alu instid0(VALU_DEP_1) | instskip(NEXT) | instid1(VALU_DEP_1)
	v_or3_b32 v128, v130, v128, v131
	v_cndmask_b32_e32 v116, 0, v128, vcc_lo
.LBB4_1749:                             ;   in Loop: Header=BB4_1437 Depth=2
	s_or_b32 exec_lo, exec_lo, s28
.LBB4_1750:                             ;   in Loop: Header=BB4_1437 Depth=2
	s_delay_alu instid0(SALU_CYCLE_1) | instskip(SKIP_3) | instid1(VALU_DEP_1)
	s_or_b32 exec_lo, exec_lo, s27
	v_lshrrev_b32_e32 v129, 24, v119
	s_mov_b32 s12, 0
	s_mov_b32 s28, exec_lo
                                        ; implicit-def: $sgpr27
	v_cmpx_lt_i16_e64 0x7f, v129
	s_xor_b32 s28, exec_lo, s28
	s_cbranch_execnz .LBB4_2012
; %bb.1751:                             ;   in Loop: Header=BB4_1437 Depth=2
	s_or_saveexec_b32 s28, s28
	v_mov_b32_e32 v128, s27
	s_xor_b32 exec_lo, exec_lo, s28
	s_cbranch_execnz .LBB4_2015
.LBB4_1752:                             ;   in Loop: Header=BB4_1437 Depth=2
	s_or_b32 exec_lo, exec_lo, s28
	s_and_saveexec_b32 s27, s12
	s_cbranch_execz .LBB4_1754
.LBB4_1753:                             ;   in Loop: Header=BB4_1437 Depth=2
	v_bfe_u32 v128, v119, 24, 3
	s_delay_alu instid0(VALU_DEP_1) | instskip(NEXT) | instid1(VALU_DEP_1)
	v_clz_i32_u32_e32 v130, v128
	v_min_u32_e32 v130, 32, v130
	s_delay_alu instid0(VALU_DEP_1) | instskip(SKIP_1) | instid1(VALU_DEP_2)
	v_subrev_nc_u32_e32 v131, 28, v130
	v_sub_nc_u32_e32 v130, 29, v130
	v_lshlrev_b32_e32 v129, v131, v129
	v_bfe_u32 v131, v119, 27, 4
	v_and_b32_e32 v119, 0x80000000, v119
	s_delay_alu instid0(VALU_DEP_2) | instskip(NEXT) | instid1(VALU_DEP_4)
	v_cmp_eq_u32_e32 vcc_lo, 0, v131
	v_dual_cndmask_b32 v130, v131, v130 :: v_dual_and_b32 v129, 7, v129
	s_delay_alu instid0(VALU_DEP_1) | instskip(NEXT) | instid1(VALU_DEP_2)
	v_cndmask_b32_e32 v128, v128, v129, vcc_lo
	v_lshl_add_u32 v129, v130, 23, 0x3b800000
	s_delay_alu instid0(VALU_DEP_2) | instskip(NEXT) | instid1(VALU_DEP_1)
	v_lshlrev_b32_e32 v128, 20, v128
	v_or3_b32 v128, v119, v129, v128
.LBB4_1754:                             ;   in Loop: Header=BB4_1437 Depth=2
	s_or_b32 exec_lo, exec_lo, s27
	v_lshrrev_b32_e32 v119, 24, v11
	s_mov_b32 s12, 0
	s_mov_b32 s28, exec_lo
                                        ; implicit-def: $sgpr27
	s_delay_alu instid0(VALU_DEP_1)
	v_cmpx_lt_i16_e32 0x7f, v119
	s_xor_b32 s28, exec_lo, s28
	s_cbranch_execnz .LBB4_2016
; %bb.1755:                             ;   in Loop: Header=BB4_1437 Depth=2
	s_or_saveexec_b32 s28, s28
	v_mov_b32_e32 v129, s27
	s_xor_b32 exec_lo, exec_lo, s28
	s_cbranch_execnz .LBB4_2019
.LBB4_1756:                             ;   in Loop: Header=BB4_1437 Depth=2
	s_or_b32 exec_lo, exec_lo, s28
	s_and_saveexec_b32 s27, s12
	s_cbranch_execz .LBB4_1758
.LBB4_1757:                             ;   in Loop: Header=BB4_1437 Depth=2
	v_bfe_u32 v129, v11, 24, 3
	s_delay_alu instid0(VALU_DEP_1) | instskip(NEXT) | instid1(VALU_DEP_1)
	v_clz_i32_u32_e32 v130, v129
	v_min_u32_e32 v130, 32, v130
	s_delay_alu instid0(VALU_DEP_1) | instskip(SKIP_1) | instid1(VALU_DEP_2)
	v_subrev_nc_u32_e32 v131, 28, v130
	v_sub_nc_u32_e32 v130, 29, v130
	v_lshlrev_b32_e32 v119, v131, v119
	v_bfe_u32 v131, v11, 27, 4
	v_and_b32_e32 v11, 0x80000000, v11
	s_delay_alu instid0(VALU_DEP_2) | instskip(NEXT) | instid1(VALU_DEP_4)
	v_cmp_eq_u32_e32 vcc_lo, 0, v131
	v_dual_cndmask_b32 v130, v131, v130 :: v_dual_and_b32 v119, 7, v119
	s_delay_alu instid0(VALU_DEP_1) | instskip(NEXT) | instid1(VALU_DEP_2)
	v_cndmask_b32_e32 v119, v129, v119, vcc_lo
	v_lshl_add_u32 v129, v130, 23, 0x3b800000
	s_delay_alu instid0(VALU_DEP_2) | instskip(NEXT) | instid1(VALU_DEP_1)
	v_lshlrev_b32_e32 v119, 20, v119
	v_or3_b32 v129, v11, v129, v119
.LBB4_1758:                             ;   in Loop: Header=BB4_1437 Depth=2
	s_or_b32 exec_lo, exec_lo, s27
	s_delay_alu instid0(VALU_DEP_1) | instskip(NEXT) | instid1(VALU_DEP_1)
	v_add_f32_e32 v119, v128, v129
	v_and_b32_e32 v11, 0x7f800000, v119
	s_delay_alu instid0(VALU_DEP_1)
	v_cmp_ne_u32_e32 vcc_lo, 0x7f800000, v11
	v_mov_b32_e32 v11, 0x8000
	s_and_saveexec_b32 s27, vcc_lo
	s_cbranch_execz .LBB4_1766
; %bb.1759:                             ;   in Loop: Header=BB4_1437 Depth=2
	v_mov_b32_e32 v11, 0
	s_mov_b32 s28, exec_lo
	v_cmpx_ne_u32_e32 0, v119
	s_cbranch_execz .LBB4_1765
; %bb.1760:                             ;   in Loop: Header=BB4_1437 Depth=2
	v_bfe_u32 v11, v119, 23, 8
	s_delay_alu instid0(VALU_DEP_1) | instskip(SKIP_1) | instid1(VALU_DEP_2)
	v_sub_nc_u32_e32 v129, 0x78, v11
	v_cmp_gt_u32_e32 vcc_lo, 0x79, v11
	v_dual_cndmask_b32 v129, 0, v129 :: v_dual_and_b32 v128, 0x7fffff, v119
	s_delay_alu instid0(VALU_DEP_1) | instskip(SKIP_2) | instid1(VALU_DEP_4)
	v_or_b32_e32 v130, 0x800000, v128
	v_cmp_eq_u32_e32 vcc_lo, 0, v11
	v_add_nc_u32_e32 v11, 0xffffff89, v11
	v_cndmask_b32_e64 v129, v129, 0x77, vcc_lo
	s_delay_alu instid0(VALU_DEP_4) | instskip(NEXT) | instid1(VALU_DEP_3)
	v_cndmask_b32_e32 v128, v130, v128, vcc_lo
	v_cndmask_b32_e64 v11, v11, 0xffffff8a, vcc_lo
	s_delay_alu instid0(VALU_DEP_3) | instskip(NEXT) | instid1(VALU_DEP_3)
	v_lshl_add_u32 v130, 0x100000, v129, -1
	v_lshrrev_b32_e32 v131, v129, v128
	v_lshlrev_b32_e64 v133, v129, 0x80000
	s_delay_alu instid0(VALU_DEP_4) | instskip(NEXT) | instid1(VALU_DEP_4)
	v_add_nc_u32_e32 v129, v129, v11
	v_and_b32_e32 v128, v130, v128
	s_delay_alu instid0(VALU_DEP_4) | instskip(NEXT) | instid1(VALU_DEP_2)
	v_bfe_u32 v132, v131, 20, 1
	v_cmp_eq_u32_e64 s12, v128, v133
	s_delay_alu instid0(VALU_DEP_2) | instskip(NEXT) | instid1(VALU_DEP_1)
	v_add_nc_u32_e32 v130, -1, v132
	v_cndmask_b32_e64 v128, 0, v130, s12
	v_lshrrev_b32_e32 v130, 23, v131
	s_mov_b32 s12, exec_lo
	s_delay_alu instid0(VALU_DEP_2) | instskip(NEXT) | instid1(VALU_DEP_2)
	v_add_nc_u32_e32 v128, v128, v131
	v_xor_b32_e32 v130, 1, v130
	s_delay_alu instid0(VALU_DEP_2) | instskip(NEXT) | instid1(VALU_DEP_1)
	v_and_b32_e32 v11, 0xfffff, v128
	v_add_nc_u32_e32 v128, v11, v131
                                        ; implicit-def: $vgpr11
	s_delay_alu instid0(VALU_DEP_3)
	v_cmpx_ne_u32_e64 v129, v130
	s_xor_b32 s12, exec_lo, s12
; %bb.1761:                             ;   in Loop: Header=BB4_1437 Depth=2
	s_delay_alu instid0(VALU_DEP_2) | instskip(SKIP_2) | instid1(VALU_DEP_2)
	v_cmp_lt_u32_e32 vcc_lo, 0xffffff, v128
	v_sub_nc_u32_e32 v11, v129, v130
	v_cndmask_b32_e64 v129, 0, 1, vcc_lo
	v_add_co_ci_u32_e32 v11, vcc_lo, 0, v11, vcc_lo
	s_delay_alu instid0(VALU_DEP_2)
	v_lshrrev_b32_e32 v128, v129, v128
; %bb.1762:                             ;   in Loop: Header=BB4_1437 Depth=2
	s_and_not1_saveexec_b32 s12, s12
; %bb.1763:                             ;   in Loop: Header=BB4_1437 Depth=2
	s_delay_alu instid0(VALU_DEP_1)
	v_bfe_u32 v11, v128, 23, 1
; %bb.1764:                             ;   in Loop: Header=BB4_1437 Depth=2
	s_or_b32 exec_lo, exec_lo, s12
	v_lshrrev_b32_e32 v128, 20, v128
	s_delay_alu instid0(VALU_DEP_2) | instskip(SKIP_2) | instid1(VALU_DEP_2)
	v_cmp_gt_i32_e32 vcc_lo, 16, v11
	v_min_i32_e32 v129, 15, v11
	v_lshrrev_b32_e32 v119, 24, v119
	v_dual_cndmask_b32 v128, 7, v128 :: v_dual_lshlrev_b32 v129, 3, v129
	s_delay_alu instid0(VALU_DEP_2) | instskip(NEXT) | instid1(VALU_DEP_2)
	v_and_b32_e32 v119, 0x80, v119
	v_or_b32_e32 v11, v11, v128
	s_delay_alu instid0(VALU_DEP_3) | instskip(NEXT) | instid1(VALU_DEP_2)
	v_and_b32_e32 v129, 0xf8, v129
	v_cmp_ne_u32_e32 vcc_lo, 0, v11
	v_and_b32_e32 v130, 7, v128
	s_delay_alu instid0(VALU_DEP_1) | instskip(NEXT) | instid1(VALU_DEP_1)
	v_or3_b32 v119, v119, v129, v130
	v_lshlrev_b32_e32 v119, 8, v119
	s_delay_alu instid0(VALU_DEP_1)
	v_cndmask_b32_e32 v11, 0, v119, vcc_lo
.LBB4_1765:                             ;   in Loop: Header=BB4_1437 Depth=2
	s_or_b32 exec_lo, exec_lo, s28
.LBB4_1766:                             ;   in Loop: Header=BB4_1437 Depth=2
	s_delay_alu instid0(SALU_CYCLE_1) | instskip(SKIP_3) | instid1(VALU_DEP_1)
	s_or_b32 exec_lo, exec_lo, s27
	v_and_b32_e32 v128, 0xff, v114
	s_mov_b32 s12, 0
	s_mov_b32 s28, exec_lo
                                        ; implicit-def: $sgpr27
	v_cmpx_lt_i16_e64 0x7f, v128
	s_xor_b32 s28, exec_lo, s28
	s_cbranch_execnz .LBB4_2020
; %bb.1767:                             ;   in Loop: Header=BB4_1437 Depth=2
	s_or_saveexec_b32 s28, s28
	v_mov_b32_e32 v119, s27
	s_xor_b32 exec_lo, exec_lo, s28
	s_cbranch_execnz .LBB4_2023
.LBB4_1768:                             ;   in Loop: Header=BB4_1437 Depth=2
	s_or_b32 exec_lo, exec_lo, s28
	s_and_saveexec_b32 s27, s12
	s_cbranch_execz .LBB4_1770
.LBB4_1769:                             ;   in Loop: Header=BB4_1437 Depth=2
	v_bfe_u32 v130, v114, 3, 4
	s_delay_alu instid0(VALU_DEP_1) | instskip(SKIP_1) | instid1(VALU_DEP_1)
	v_cmp_eq_u32_e32 vcc_lo, 0, v130
	v_and_b32_e32 v119, 7, v114
	v_clz_i32_u32_e32 v128, v119
	s_delay_alu instid0(VALU_DEP_1) | instskip(NEXT) | instid1(VALU_DEP_1)
	v_min_u32_e32 v128, 32, v128
	v_subrev_nc_u32_e32 v129, 28, v128
	v_sub_nc_u32_e32 v128, 29, v128
	s_delay_alu instid0(VALU_DEP_1) | instskip(NEXT) | instid1(VALU_DEP_1)
	v_dual_cndmask_b32 v128, v130, v128 :: v_dual_lshlrev_b32 v129, v129, v114
	v_and_b32_e32 v129, 7, v129
	v_lshlrev_b32_e32 v114, 24, v114
	s_delay_alu instid0(VALU_DEP_3) | instskip(NEXT) | instid1(VALU_DEP_2)
	v_lshl_add_u32 v128, v128, 23, 0x3b800000
	v_dual_cndmask_b32 v119, v119, v129 :: v_dual_and_b32 v114, 0x80000000, v114
	s_delay_alu instid0(VALU_DEP_1) | instskip(NEXT) | instid1(VALU_DEP_1)
	v_lshlrev_b32_e32 v119, 20, v119
	v_or3_b32 v119, v114, v128, v119
.LBB4_1770:                             ;   in Loop: Header=BB4_1437 Depth=2
	s_or_b32 exec_lo, exec_lo, s27
	v_and_b32_e32 v128, 0xff, v12
	s_mov_b32 s12, 0
	s_mov_b32 s28, exec_lo
                                        ; implicit-def: $sgpr27
	s_delay_alu instid0(VALU_DEP_1)
	v_cmpx_lt_i16_e64 0x7f, v128
	s_xor_b32 s28, exec_lo, s28
	s_cbranch_execnz .LBB4_2024
; %bb.1771:                             ;   in Loop: Header=BB4_1437 Depth=2
	s_or_saveexec_b32 s28, s28
	v_mov_b32_e32 v114, s27
	s_xor_b32 exec_lo, exec_lo, s28
	s_cbranch_execnz .LBB4_2027
.LBB4_1772:                             ;   in Loop: Header=BB4_1437 Depth=2
	s_or_b32 exec_lo, exec_lo, s28
	s_and_saveexec_b32 s27, s12
	s_cbranch_execz .LBB4_1774
.LBB4_1773:                             ;   in Loop: Header=BB4_1437 Depth=2
	v_and_b32_e32 v114, 7, v12
	v_bfe_u32 v130, v12, 3, 4
	s_delay_alu instid0(VALU_DEP_2) | instskip(NEXT) | instid1(VALU_DEP_2)
	v_clz_i32_u32_e32 v128, v114
	v_cmp_eq_u32_e32 vcc_lo, 0, v130
	s_delay_alu instid0(VALU_DEP_2) | instskip(NEXT) | instid1(VALU_DEP_1)
	v_min_u32_e32 v128, 32, v128
	v_subrev_nc_u32_e32 v129, 28, v128
	v_sub_nc_u32_e32 v128, 29, v128
	s_delay_alu instid0(VALU_DEP_2) | instskip(NEXT) | instid1(VALU_DEP_1)
	v_lshlrev_b32_e32 v129, v129, v12
	v_dual_cndmask_b32 v128, v130, v128 :: v_dual_and_b32 v129, 7, v129
	v_lshlrev_b32_e32 v131, 24, v12
	s_delay_alu instid0(VALU_DEP_2) | instskip(NEXT) | instid1(VALU_DEP_2)
	v_lshl_add_u32 v128, v128, 23, 0x3b800000
	v_dual_cndmask_b32 v114, v114, v129 :: v_dual_and_b32 v129, 0x80000000, v131
	s_delay_alu instid0(VALU_DEP_1) | instskip(NEXT) | instid1(VALU_DEP_1)
	v_lshlrev_b32_e32 v114, 20, v114
	v_or3_b32 v114, v129, v128, v114
.LBB4_1774:                             ;   in Loop: Header=BB4_1437 Depth=2
	s_or_b32 exec_lo, exec_lo, s27
	s_delay_alu instid0(VALU_DEP_1) | instskip(NEXT) | instid1(VALU_DEP_1)
	v_add_f32_e32 v119, v119, v114
	v_and_b32_e32 v114, 0x7f800000, v119
	s_delay_alu instid0(VALU_DEP_1)
	v_cmp_ne_u32_e32 vcc_lo, 0x7f800000, v114
	v_mov_b32_e32 v114, 0x80
	s_and_saveexec_b32 s27, vcc_lo
	s_cbranch_execz .LBB4_1782
; %bb.1775:                             ;   in Loop: Header=BB4_1437 Depth=2
	v_mov_b32_e32 v114, 0
	s_mov_b32 s28, exec_lo
	v_cmpx_ne_u32_e32 0, v119
	s_cbranch_execz .LBB4_1781
; %bb.1776:                             ;   in Loop: Header=BB4_1437 Depth=2
	v_bfe_u32 v114, v119, 23, 8
	s_delay_alu instid0(VALU_DEP_1) | instskip(SKIP_1) | instid1(VALU_DEP_2)
	v_sub_nc_u32_e32 v129, 0x78, v114
	v_cmp_gt_u32_e32 vcc_lo, 0x79, v114
	v_dual_cndmask_b32 v129, 0, v129 :: v_dual_and_b32 v128, 0x7fffff, v119
	s_delay_alu instid0(VALU_DEP_1) | instskip(SKIP_2) | instid1(VALU_DEP_4)
	v_or_b32_e32 v130, 0x800000, v128
	v_cmp_eq_u32_e32 vcc_lo, 0, v114
	v_add_nc_u32_e32 v114, 0xffffff89, v114
	v_cndmask_b32_e64 v129, v129, 0x77, vcc_lo
	s_delay_alu instid0(VALU_DEP_2) | instskip(SKIP_1) | instid1(VALU_DEP_3)
	v_cndmask_b32_e64 v114, v114, 0xffffff8a, vcc_lo
	v_cndmask_b32_e32 v128, v130, v128, vcc_lo
	v_lshl_add_u32 v130, 0x100000, v129, -1
	v_lshlrev_b32_e64 v133, v129, 0x80000
	s_delay_alu instid0(VALU_DEP_3) | instskip(SKIP_1) | instid1(VALU_DEP_4)
	v_lshrrev_b32_e32 v131, v129, v128
	v_add_nc_u32_e32 v129, v129, v114
	v_and_b32_e32 v128, v130, v128
	s_delay_alu instid0(VALU_DEP_3) | instskip(NEXT) | instid1(VALU_DEP_2)
	v_bfe_u32 v132, v131, 20, 1
	v_cmp_eq_u32_e64 s12, v128, v133
	s_delay_alu instid0(VALU_DEP_2) | instskip(NEXT) | instid1(VALU_DEP_1)
	v_add_nc_u32_e32 v130, -1, v132
	v_cndmask_b32_e64 v128, 0, v130, s12
	v_lshrrev_b32_e32 v130, 23, v131
	s_mov_b32 s12, exec_lo
	s_delay_alu instid0(VALU_DEP_2) | instskip(NEXT) | instid1(VALU_DEP_2)
	v_add_nc_u32_e32 v128, v128, v131
	v_xor_b32_e32 v130, 1, v130
	s_delay_alu instid0(VALU_DEP_2) | instskip(NEXT) | instid1(VALU_DEP_1)
	v_and_b32_e32 v114, 0xfffff, v128
	v_add_nc_u32_e32 v128, v114, v131
                                        ; implicit-def: $vgpr114
	s_delay_alu instid0(VALU_DEP_3)
	v_cmpx_ne_u32_e64 v129, v130
	s_xor_b32 s12, exec_lo, s12
; %bb.1777:                             ;   in Loop: Header=BB4_1437 Depth=2
	s_delay_alu instid0(VALU_DEP_2) | instskip(SKIP_2) | instid1(VALU_DEP_2)
	v_cmp_lt_u32_e32 vcc_lo, 0xffffff, v128
	v_sub_nc_u32_e32 v114, v129, v130
	v_cndmask_b32_e64 v129, 0, 1, vcc_lo
	v_add_co_ci_u32_e32 v114, vcc_lo, 0, v114, vcc_lo
	s_delay_alu instid0(VALU_DEP_2)
	v_lshrrev_b32_e32 v128, v129, v128
; %bb.1778:                             ;   in Loop: Header=BB4_1437 Depth=2
	s_and_not1_saveexec_b32 s12, s12
; %bb.1779:                             ;   in Loop: Header=BB4_1437 Depth=2
	s_delay_alu instid0(VALU_DEP_1)
	v_bfe_u32 v114, v128, 23, 1
; %bb.1780:                             ;   in Loop: Header=BB4_1437 Depth=2
	s_or_b32 exec_lo, exec_lo, s12
	v_lshrrev_b32_e32 v128, 20, v128
	s_delay_alu instid0(VALU_DEP_2) | instskip(SKIP_2) | instid1(VALU_DEP_2)
	v_cmp_gt_i32_e32 vcc_lo, 16, v114
	v_lshrrev_b32_e32 v119, 24, v119
	v_min_i32_e32 v129, 15, v114
	v_dual_cndmask_b32 v128, 7, v128 :: v_dual_and_b32 v119, 0x80, v119
	s_delay_alu instid0(VALU_DEP_1) | instskip(SKIP_1) | instid1(VALU_DEP_2)
	v_or_b32_e32 v114, v114, v128
	v_and_b32_e32 v130, 7, v128
	v_cmp_ne_u32_e32 vcc_lo, 0, v114
	v_lshlrev_b32_e32 v129, 3, v129
	s_delay_alu instid0(VALU_DEP_1) | instskip(NEXT) | instid1(VALU_DEP_1)
	v_or3_b32 v119, v129, v119, v130
	v_cndmask_b32_e32 v114, 0, v119, vcc_lo
.LBB4_1781:                             ;   in Loop: Header=BB4_1437 Depth=2
	s_or_b32 exec_lo, exec_lo, s28
.LBB4_1782:                             ;   in Loop: Header=BB4_1437 Depth=2
	s_delay_alu instid0(SALU_CYCLE_1) | instskip(SKIP_3) | instid1(VALU_DEP_1)
	s_or_b32 exec_lo, exec_lo, s27
	v_and_b32_e32 v128, 0xff, v112
	s_mov_b32 s12, 0
	s_mov_b32 s28, exec_lo
                                        ; implicit-def: $sgpr27
	v_cmpx_lt_i16_e64 0x7f, v128
	s_xor_b32 s28, exec_lo, s28
	s_cbranch_execnz .LBB4_2028
; %bb.1783:                             ;   in Loop: Header=BB4_1437 Depth=2
	s_or_saveexec_b32 s28, s28
	v_mov_b32_e32 v119, s27
	s_xor_b32 exec_lo, exec_lo, s28
	s_cbranch_execnz .LBB4_2031
.LBB4_1784:                             ;   in Loop: Header=BB4_1437 Depth=2
	s_or_b32 exec_lo, exec_lo, s28
	s_and_saveexec_b32 s27, s12
	s_cbranch_execz .LBB4_1786
.LBB4_1785:                             ;   in Loop: Header=BB4_1437 Depth=2
	v_and_b32_e32 v119, 7, v112
	v_bfe_u32 v130, v112, 3, 4
	s_delay_alu instid0(VALU_DEP_2) | instskip(NEXT) | instid1(VALU_DEP_2)
	v_clz_i32_u32_e32 v128, v119
	v_cmp_eq_u32_e32 vcc_lo, 0, v130
	s_delay_alu instid0(VALU_DEP_2) | instskip(NEXT) | instid1(VALU_DEP_1)
	v_min_u32_e32 v128, 32, v128
	v_subrev_nc_u32_e32 v129, 28, v128
	v_sub_nc_u32_e32 v128, 29, v128
	s_delay_alu instid0(VALU_DEP_2) | instskip(NEXT) | instid1(VALU_DEP_1)
	v_lshlrev_b32_e32 v129, v129, v112
	v_dual_cndmask_b32 v128, v130, v128 :: v_dual_and_b32 v129, 7, v129
	v_lshlrev_b32_e32 v112, 24, v112
	s_delay_alu instid0(VALU_DEP_2) | instskip(NEXT) | instid1(VALU_DEP_2)
	v_lshl_add_u32 v128, v128, 23, 0x3b800000
	v_dual_cndmask_b32 v119, v119, v129 :: v_dual_and_b32 v112, 0x80000000, v112
	s_delay_alu instid0(VALU_DEP_1) | instskip(NEXT) | instid1(VALU_DEP_1)
	v_lshlrev_b32_e32 v119, 20, v119
	v_or3_b32 v119, v112, v128, v119
.LBB4_1786:                             ;   in Loop: Header=BB4_1437 Depth=2
	s_or_b32 exec_lo, exec_lo, s27
	v_lshrrev_b16 v112, 8, v12
	s_mov_b32 s12, 0
	s_mov_b32 s28, exec_lo
                                        ; implicit-def: $sgpr27
	s_delay_alu instid0(VALU_DEP_1)
	v_cmpx_lt_i16_e32 0x7f, v112
	s_xor_b32 s28, exec_lo, s28
	s_cbranch_execnz .LBB4_2032
; %bb.1787:                             ;   in Loop: Header=BB4_1437 Depth=2
	s_or_saveexec_b32 s28, s28
	v_mov_b32_e32 v128, s27
	s_xor_b32 exec_lo, exec_lo, s28
	s_cbranch_execnz .LBB4_2035
.LBB4_1788:                             ;   in Loop: Header=BB4_1437 Depth=2
	s_or_b32 exec_lo, exec_lo, s28
	s_and_saveexec_b32 s27, s12
	s_cbranch_execz .LBB4_1790
.LBB4_1789:                             ;   in Loop: Header=BB4_1437 Depth=2
	v_and_b32_e32 v128, 0xffff, v112
	v_lshlrev_b32_e32 v112, 24, v112
	s_delay_alu instid0(VALU_DEP_2) | instskip(NEXT) | instid1(VALU_DEP_2)
	v_and_b32_e32 v129, 7, v128
	v_and_b32_e32 v112, 0x80000000, v112
	s_delay_alu instid0(VALU_DEP_2) | instskip(NEXT) | instid1(VALU_DEP_1)
	v_clz_i32_u32_e32 v130, v129
	v_min_u32_e32 v130, 32, v130
	s_delay_alu instid0(VALU_DEP_1) | instskip(SKIP_1) | instid1(VALU_DEP_2)
	v_subrev_nc_u32_e32 v131, 28, v130
	v_sub_nc_u32_e32 v130, 29, v130
	v_lshlrev_b32_e32 v131, v131, v128
	v_bfe_u32 v128, v128, 3, 4
	s_delay_alu instid0(VALU_DEP_2) | instskip(NEXT) | instid1(VALU_DEP_2)
	v_and_b32_e32 v131, 7, v131
	v_cmp_eq_u32_e32 vcc_lo, 0, v128
	s_delay_alu instid0(VALU_DEP_2) | instskip(NEXT) | instid1(VALU_DEP_1)
	v_dual_cndmask_b32 v128, v128, v130 :: v_dual_cndmask_b32 v129, v129, v131
	v_lshl_add_u32 v128, v128, 23, 0x3b800000
	s_delay_alu instid0(VALU_DEP_2) | instskip(NEXT) | instid1(VALU_DEP_1)
	v_lshlrev_b32_e32 v129, 20, v129
	v_or3_b32 v128, v112, v128, v129
.LBB4_1790:                             ;   in Loop: Header=BB4_1437 Depth=2
	s_or_b32 exec_lo, exec_lo, s27
	s_delay_alu instid0(VALU_DEP_1) | instskip(NEXT) | instid1(VALU_DEP_1)
	v_add_f32_e32 v119, v119, v128
	v_and_b32_e32 v112, 0x7f800000, v119
	s_delay_alu instid0(VALU_DEP_1)
	v_cmp_ne_u32_e32 vcc_lo, 0x7f800000, v112
	v_mov_b32_e32 v112, 0x80
	s_and_saveexec_b32 s27, vcc_lo
	s_cbranch_execz .LBB4_1798
; %bb.1791:                             ;   in Loop: Header=BB4_1437 Depth=2
	v_mov_b32_e32 v112, 0
	s_mov_b32 s28, exec_lo
	v_cmpx_ne_u32_e32 0, v119
	s_cbranch_execz .LBB4_1797
; %bb.1792:                             ;   in Loop: Header=BB4_1437 Depth=2
	v_bfe_u32 v112, v119, 23, 8
	s_delay_alu instid0(VALU_DEP_1) | instskip(SKIP_1) | instid1(VALU_DEP_2)
	v_sub_nc_u32_e32 v129, 0x78, v112
	v_cmp_gt_u32_e32 vcc_lo, 0x79, v112
	v_dual_cndmask_b32 v129, 0, v129 :: v_dual_and_b32 v128, 0x7fffff, v119
	s_delay_alu instid0(VALU_DEP_1) | instskip(SKIP_2) | instid1(VALU_DEP_4)
	v_or_b32_e32 v130, 0x800000, v128
	v_cmp_eq_u32_e32 vcc_lo, 0, v112
	v_add_nc_u32_e32 v112, 0xffffff89, v112
	v_cndmask_b32_e64 v129, v129, 0x77, vcc_lo
	s_delay_alu instid0(VALU_DEP_4) | instskip(NEXT) | instid1(VALU_DEP_3)
	v_cndmask_b32_e32 v128, v130, v128, vcc_lo
	v_cndmask_b32_e64 v112, v112, 0xffffff8a, vcc_lo
	s_delay_alu instid0(VALU_DEP_3) | instskip(NEXT) | instid1(VALU_DEP_3)
	v_lshl_add_u32 v130, 0x100000, v129, -1
	v_lshrrev_b32_e32 v131, v129, v128
	v_lshlrev_b32_e64 v133, v129, 0x80000
	s_delay_alu instid0(VALU_DEP_4) | instskip(NEXT) | instid1(VALU_DEP_4)
	v_add_nc_u32_e32 v129, v129, v112
	v_and_b32_e32 v128, v130, v128
	s_delay_alu instid0(VALU_DEP_4) | instskip(NEXT) | instid1(VALU_DEP_2)
	v_bfe_u32 v132, v131, 20, 1
	v_cmp_eq_u32_e64 s12, v128, v133
	s_delay_alu instid0(VALU_DEP_2) | instskip(NEXT) | instid1(VALU_DEP_1)
	v_add_nc_u32_e32 v130, -1, v132
	v_cndmask_b32_e64 v128, 0, v130, s12
	v_lshrrev_b32_e32 v130, 23, v131
	s_mov_b32 s12, exec_lo
	s_delay_alu instid0(VALU_DEP_2) | instskip(NEXT) | instid1(VALU_DEP_2)
	v_add_nc_u32_e32 v128, v128, v131
	v_xor_b32_e32 v130, 1, v130
	s_delay_alu instid0(VALU_DEP_2) | instskip(NEXT) | instid1(VALU_DEP_1)
	v_and_b32_e32 v112, 0xfffff, v128
	v_add_nc_u32_e32 v128, v112, v131
                                        ; implicit-def: $vgpr112
	s_delay_alu instid0(VALU_DEP_3)
	v_cmpx_ne_u32_e64 v129, v130
	s_xor_b32 s12, exec_lo, s12
; %bb.1793:                             ;   in Loop: Header=BB4_1437 Depth=2
	s_delay_alu instid0(VALU_DEP_2) | instskip(SKIP_2) | instid1(VALU_DEP_2)
	v_cmp_lt_u32_e32 vcc_lo, 0xffffff, v128
	v_sub_nc_u32_e32 v112, v129, v130
	v_cndmask_b32_e64 v129, 0, 1, vcc_lo
	v_add_co_ci_u32_e32 v112, vcc_lo, 0, v112, vcc_lo
	s_delay_alu instid0(VALU_DEP_2)
	v_lshrrev_b32_e32 v128, v129, v128
; %bb.1794:                             ;   in Loop: Header=BB4_1437 Depth=2
	s_and_not1_saveexec_b32 s12, s12
; %bb.1795:                             ;   in Loop: Header=BB4_1437 Depth=2
	s_delay_alu instid0(VALU_DEP_1)
	v_bfe_u32 v112, v128, 23, 1
; %bb.1796:                             ;   in Loop: Header=BB4_1437 Depth=2
	s_or_b32 exec_lo, exec_lo, s12
	v_lshrrev_b32_e32 v128, 20, v128
	s_delay_alu instid0(VALU_DEP_2) | instskip(SKIP_2) | instid1(VALU_DEP_2)
	v_cmp_gt_i32_e32 vcc_lo, 16, v112
	v_lshrrev_b32_e32 v119, 24, v119
	v_min_i32_e32 v129, 15, v112
	v_dual_cndmask_b32 v128, 7, v128 :: v_dual_and_b32 v119, 0x80, v119
	s_delay_alu instid0(VALU_DEP_1) | instskip(SKIP_1) | instid1(VALU_DEP_2)
	v_or_b32_e32 v112, v112, v128
	v_and_b32_e32 v130, 7, v128
	v_cmp_ne_u32_e32 vcc_lo, 0, v112
	v_lshlrev_b32_e32 v129, 3, v129
	s_delay_alu instid0(VALU_DEP_1) | instskip(NEXT) | instid1(VALU_DEP_1)
	v_or3_b32 v119, v129, v119, v130
	v_cndmask_b32_e32 v112, 0, v119, vcc_lo
.LBB4_1797:                             ;   in Loop: Header=BB4_1437 Depth=2
	s_or_b32 exec_lo, exec_lo, s28
.LBB4_1798:                             ;   in Loop: Header=BB4_1437 Depth=2
	s_delay_alu instid0(SALU_CYCLE_1) | instskip(SKIP_3) | instid1(VALU_DEP_1)
	s_or_b32 exec_lo, exec_lo, s27
	v_and_b32_e32 v128, 0xff, v103
	s_mov_b32 s12, 0
	s_mov_b32 s28, exec_lo
                                        ; implicit-def: $sgpr27
	v_cmpx_lt_i16_e64 0x7f, v128
	s_xor_b32 s28, exec_lo, s28
	s_cbranch_execnz .LBB4_2036
; %bb.1799:                             ;   in Loop: Header=BB4_1437 Depth=2
	s_or_saveexec_b32 s28, s28
	v_mov_b32_e32 v119, s27
	s_xor_b32 exec_lo, exec_lo, s28
	s_cbranch_execnz .LBB4_2039
.LBB4_1800:                             ;   in Loop: Header=BB4_1437 Depth=2
	s_or_b32 exec_lo, exec_lo, s28
	s_and_saveexec_b32 s27, s12
	s_cbranch_execz .LBB4_1802
.LBB4_1801:                             ;   in Loop: Header=BB4_1437 Depth=2
	v_bfe_u32 v130, v103, 3, 4
	s_delay_alu instid0(VALU_DEP_1) | instskip(SKIP_1) | instid1(VALU_DEP_1)
	v_cmp_eq_u32_e32 vcc_lo, 0, v130
	v_and_b32_e32 v119, 7, v103
	v_clz_i32_u32_e32 v128, v119
	s_delay_alu instid0(VALU_DEP_1) | instskip(NEXT) | instid1(VALU_DEP_1)
	v_min_u32_e32 v128, 32, v128
	v_subrev_nc_u32_e32 v129, 28, v128
	v_sub_nc_u32_e32 v128, 29, v128
	s_delay_alu instid0(VALU_DEP_1) | instskip(SKIP_1) | instid1(VALU_DEP_2)
	v_dual_cndmask_b32 v128, v130, v128 :: v_dual_lshlrev_b32 v129, v129, v103
	v_lshlrev_b32_e32 v103, 24, v103
	v_and_b32_e32 v129, 7, v129
	s_delay_alu instid0(VALU_DEP_3) | instskip(NEXT) | instid1(VALU_DEP_3)
	v_lshl_add_u32 v128, v128, 23, 0x3b800000
	v_and_b32_e32 v103, 0x80000000, v103
	s_delay_alu instid0(VALU_DEP_3) | instskip(NEXT) | instid1(VALU_DEP_1)
	v_cndmask_b32_e32 v119, v119, v129, vcc_lo
	v_lshlrev_b32_e32 v119, 20, v119
	s_delay_alu instid0(VALU_DEP_1)
	v_or3_b32 v119, v103, v128, v119
.LBB4_1802:                             ;   in Loop: Header=BB4_1437 Depth=2
	s_or_b32 exec_lo, exec_lo, s27
	v_lshrrev_b32_e32 v103, 16, v12
	s_mov_b32 s12, 0
	s_mov_b32 s28, exec_lo
                                        ; implicit-def: $sgpr27
	s_delay_alu instid0(VALU_DEP_1) | instskip(NEXT) | instid1(VALU_DEP_1)
	v_and_b32_e32 v129, 0xff, v103
	v_cmpx_lt_i16_e64 0x7f, v129
	s_xor_b32 s28, exec_lo, s28
	s_cbranch_execnz .LBB4_2040
; %bb.1803:                             ;   in Loop: Header=BB4_1437 Depth=2
	s_or_saveexec_b32 s28, s28
	v_mov_b32_e32 v128, s27
	s_xor_b32 exec_lo, exec_lo, s28
	s_cbranch_execnz .LBB4_2043
.LBB4_1804:                             ;   in Loop: Header=BB4_1437 Depth=2
	s_or_b32 exec_lo, exec_lo, s28
	s_and_saveexec_b32 s27, s12
	s_cbranch_execz .LBB4_1806
.LBB4_1805:                             ;   in Loop: Header=BB4_1437 Depth=2
	v_bfe_u32 v128, v12, 16, 3
	v_lshlrev_b32_e32 v131, 8, v12
	s_delay_alu instid0(VALU_DEP_2) | instskip(NEXT) | instid1(VALU_DEP_1)
	v_clz_i32_u32_e32 v129, v128
	v_min_u32_e32 v129, 32, v129
	s_delay_alu instid0(VALU_DEP_1) | instskip(SKIP_1) | instid1(VALU_DEP_2)
	v_subrev_nc_u32_e32 v130, 28, v129
	v_sub_nc_u32_e32 v129, 29, v129
	v_lshlrev_b32_e32 v103, v130, v103
	v_bfe_u32 v130, v12, 19, 4
	s_delay_alu instid0(VALU_DEP_2) | instskip(NEXT) | instid1(VALU_DEP_2)
	v_and_b32_e32 v103, 7, v103
	v_cmp_eq_u32_e32 vcc_lo, 0, v130
	v_cndmask_b32_e32 v129, v130, v129, vcc_lo
	s_delay_alu instid0(VALU_DEP_3) | instskip(SKIP_1) | instid1(VALU_DEP_3)
	v_cndmask_b32_e32 v103, v128, v103, vcc_lo
	v_and_b32_e32 v128, 0x80000000, v131
	v_lshl_add_u32 v129, v129, 23, 0x3b800000
	s_delay_alu instid0(VALU_DEP_3) | instskip(NEXT) | instid1(VALU_DEP_1)
	v_lshlrev_b32_e32 v103, 20, v103
	v_or3_b32 v128, v128, v129, v103
.LBB4_1806:                             ;   in Loop: Header=BB4_1437 Depth=2
	s_or_b32 exec_lo, exec_lo, s27
	s_delay_alu instid0(VALU_DEP_1) | instskip(NEXT) | instid1(VALU_DEP_1)
	v_add_f32_e32 v119, v119, v128
	v_and_b32_e32 v103, 0x7f800000, v119
	s_delay_alu instid0(VALU_DEP_1)
	v_cmp_ne_u32_e32 vcc_lo, 0x7f800000, v103
	v_mov_b32_e32 v103, 0x80
	s_and_saveexec_b32 s27, vcc_lo
	s_cbranch_execz .LBB4_1814
; %bb.1807:                             ;   in Loop: Header=BB4_1437 Depth=2
	v_mov_b32_e32 v103, 0
	s_mov_b32 s28, exec_lo
	v_cmpx_ne_u32_e32 0, v119
	s_cbranch_execz .LBB4_1813
; %bb.1808:                             ;   in Loop: Header=BB4_1437 Depth=2
	v_bfe_u32 v103, v119, 23, 8
	s_delay_alu instid0(VALU_DEP_1) | instskip(SKIP_1) | instid1(VALU_DEP_2)
	v_sub_nc_u32_e32 v129, 0x78, v103
	v_cmp_gt_u32_e32 vcc_lo, 0x79, v103
	v_dual_cndmask_b32 v129, 0, v129 :: v_dual_and_b32 v128, 0x7fffff, v119
	s_delay_alu instid0(VALU_DEP_1) | instskip(SKIP_2) | instid1(VALU_DEP_4)
	v_or_b32_e32 v130, 0x800000, v128
	v_cmp_eq_u32_e32 vcc_lo, 0, v103
	v_add_nc_u32_e32 v103, 0xffffff89, v103
	v_cndmask_b32_e64 v129, v129, 0x77, vcc_lo
	s_delay_alu instid0(VALU_DEP_4) | instskip(NEXT) | instid1(VALU_DEP_3)
	v_cndmask_b32_e32 v128, v130, v128, vcc_lo
	v_cndmask_b32_e64 v103, v103, 0xffffff8a, vcc_lo
	s_delay_alu instid0(VALU_DEP_3) | instskip(NEXT) | instid1(VALU_DEP_3)
	v_lshl_add_u32 v130, 0x100000, v129, -1
	v_lshrrev_b32_e32 v131, v129, v128
	v_lshlrev_b32_e64 v133, v129, 0x80000
	s_delay_alu instid0(VALU_DEP_4) | instskip(NEXT) | instid1(VALU_DEP_4)
	v_add_nc_u32_e32 v129, v129, v103
	v_and_b32_e32 v128, v130, v128
	s_delay_alu instid0(VALU_DEP_4) | instskip(NEXT) | instid1(VALU_DEP_2)
	v_bfe_u32 v132, v131, 20, 1
	v_cmp_eq_u32_e64 s12, v128, v133
	s_delay_alu instid0(VALU_DEP_2) | instskip(NEXT) | instid1(VALU_DEP_1)
	v_add_nc_u32_e32 v130, -1, v132
	v_cndmask_b32_e64 v128, 0, v130, s12
	v_lshrrev_b32_e32 v130, 23, v131
	s_mov_b32 s12, exec_lo
	s_delay_alu instid0(VALU_DEP_2) | instskip(NEXT) | instid1(VALU_DEP_2)
	v_add_nc_u32_e32 v128, v128, v131
	v_xor_b32_e32 v130, 1, v130
	s_delay_alu instid0(VALU_DEP_2) | instskip(NEXT) | instid1(VALU_DEP_1)
	v_and_b32_e32 v103, 0xfffff, v128
	v_add_nc_u32_e32 v128, v103, v131
                                        ; implicit-def: $vgpr103
	s_delay_alu instid0(VALU_DEP_3)
	v_cmpx_ne_u32_e64 v129, v130
	s_xor_b32 s12, exec_lo, s12
; %bb.1809:                             ;   in Loop: Header=BB4_1437 Depth=2
	s_delay_alu instid0(VALU_DEP_2) | instskip(SKIP_2) | instid1(VALU_DEP_2)
	v_cmp_lt_u32_e32 vcc_lo, 0xffffff, v128
	v_sub_nc_u32_e32 v103, v129, v130
	v_cndmask_b32_e64 v129, 0, 1, vcc_lo
	v_add_co_ci_u32_e32 v103, vcc_lo, 0, v103, vcc_lo
	s_delay_alu instid0(VALU_DEP_2)
	v_lshrrev_b32_e32 v128, v129, v128
; %bb.1810:                             ;   in Loop: Header=BB4_1437 Depth=2
	s_and_not1_saveexec_b32 s12, s12
; %bb.1811:                             ;   in Loop: Header=BB4_1437 Depth=2
	s_delay_alu instid0(VALU_DEP_1)
	v_bfe_u32 v103, v128, 23, 1
; %bb.1812:                             ;   in Loop: Header=BB4_1437 Depth=2
	s_or_b32 exec_lo, exec_lo, s12
	v_lshrrev_b32_e32 v128, 20, v128
	s_delay_alu instid0(VALU_DEP_2) | instskip(SKIP_2) | instid1(VALU_DEP_2)
	v_cmp_gt_i32_e32 vcc_lo, 16, v103
	v_lshrrev_b32_e32 v119, 24, v119
	v_min_i32_e32 v129, 15, v103
	v_dual_cndmask_b32 v128, 7, v128 :: v_dual_and_b32 v119, 0x80, v119
	s_delay_alu instid0(VALU_DEP_2) | instskip(NEXT) | instid1(VALU_DEP_2)
	v_lshlrev_b32_e32 v129, 3, v129
	v_or_b32_e32 v103, v103, v128
	s_delay_alu instid0(VALU_DEP_1) | instskip(SKIP_1) | instid1(VALU_DEP_1)
	v_cmp_ne_u32_e32 vcc_lo, 0, v103
	v_and_b32_e32 v130, 7, v128
	v_or3_b32 v119, v129, v119, v130
	s_delay_alu instid0(VALU_DEP_1)
	v_cndmask_b32_e32 v103, 0, v119, vcc_lo
.LBB4_1813:                             ;   in Loop: Header=BB4_1437 Depth=2
	s_or_b32 exec_lo, exec_lo, s28
.LBB4_1814:                             ;   in Loop: Header=BB4_1437 Depth=2
	s_delay_alu instid0(SALU_CYCLE_1) | instskip(SKIP_3) | instid1(VALU_DEP_1)
	s_or_b32 exec_lo, exec_lo, s27
	v_and_b32_e32 v128, 0xff, v100
	s_mov_b32 s12, 0
	s_mov_b32 s28, exec_lo
                                        ; implicit-def: $sgpr27
	v_cmpx_lt_i16_e64 0x7f, v128
	s_xor_b32 s28, exec_lo, s28
	s_cbranch_execnz .LBB4_2044
; %bb.1815:                             ;   in Loop: Header=BB4_1437 Depth=2
	s_or_saveexec_b32 s28, s28
	v_mov_b32_e32 v119, s27
	s_xor_b32 exec_lo, exec_lo, s28
	s_cbranch_execnz .LBB4_2047
.LBB4_1816:                             ;   in Loop: Header=BB4_1437 Depth=2
	s_or_b32 exec_lo, exec_lo, s28
	s_and_saveexec_b32 s27, s12
	s_cbranch_execz .LBB4_1818
.LBB4_1817:                             ;   in Loop: Header=BB4_1437 Depth=2
	v_lshlrev_b32_e32 v100, 8, v100
	s_delay_alu instid0(VALU_DEP_1) | instskip(SKIP_1) | instid1(VALU_DEP_2)
	v_and_b32_e32 v119, 0xff00, v100
	v_bfe_u32 v100, v100, 11, 4
	v_bfe_u32 v129, v119, 8, 3
	s_delay_alu instid0(VALU_DEP_2) | instskip(NEXT) | instid1(VALU_DEP_2)
	v_cmp_eq_u32_e32 vcc_lo, 0, v100
	v_clz_i32_u32_e32 v130, v129
	s_delay_alu instid0(VALU_DEP_1) | instskip(NEXT) | instid1(VALU_DEP_1)
	v_min_u32_e32 v130, 32, v130
	v_subrev_nc_u32_e32 v131, 28, v130
	v_sub_nc_u32_e32 v130, 29, v130
	s_delay_alu instid0(VALU_DEP_2) | instskip(NEXT) | instid1(VALU_DEP_2)
	v_lshlrev_b32_e32 v128, v131, v128
	v_cndmask_b32_e32 v100, v100, v130, vcc_lo
	s_delay_alu instid0(VALU_DEP_2) | instskip(SKIP_1) | instid1(VALU_DEP_3)
	v_and_b32_e32 v128, 7, v128
	v_lshlrev_b32_e32 v119, 16, v119
	v_lshl_add_u32 v100, v100, 23, 0x3b800000
	s_delay_alu instid0(VALU_DEP_2) | instskip(NEXT) | instid1(VALU_DEP_1)
	v_dual_cndmask_b32 v128, v129, v128 :: v_dual_and_b32 v119, 0x80000000, v119
	v_lshlrev_b32_e32 v128, 20, v128
	s_delay_alu instid0(VALU_DEP_1)
	v_or3_b32 v119, v119, v100, v128
.LBB4_1818:                             ;   in Loop: Header=BB4_1437 Depth=2
	s_or_b32 exec_lo, exec_lo, s27
	v_lshrrev_b32_e32 v100, 24, v12
	s_mov_b32 s12, 0
	s_mov_b32 s28, exec_lo
                                        ; implicit-def: $sgpr27
	s_delay_alu instid0(VALU_DEP_1)
	v_cmpx_lt_i16_e32 0x7f, v100
	s_xor_b32 s28, exec_lo, s28
	s_cbranch_execnz .LBB4_2048
; %bb.1819:                             ;   in Loop: Header=BB4_1437 Depth=2
	s_or_saveexec_b32 s28, s28
	v_mov_b32_e32 v128, s27
	s_xor_b32 exec_lo, exec_lo, s28
	s_cbranch_execnz .LBB4_2051
.LBB4_1820:                             ;   in Loop: Header=BB4_1437 Depth=2
	s_or_b32 exec_lo, exec_lo, s28
	s_and_saveexec_b32 s27, s12
	s_cbranch_execz .LBB4_1822
.LBB4_1821:                             ;   in Loop: Header=BB4_1437 Depth=2
	v_bfe_u32 v128, v12, 24, 3
	s_delay_alu instid0(VALU_DEP_1) | instskip(NEXT) | instid1(VALU_DEP_1)
	v_clz_i32_u32_e32 v129, v128
	v_min_u32_e32 v129, 32, v129
	s_delay_alu instid0(VALU_DEP_1) | instskip(SKIP_1) | instid1(VALU_DEP_2)
	v_subrev_nc_u32_e32 v130, 28, v129
	v_sub_nc_u32_e32 v129, 29, v129
	v_lshlrev_b32_e32 v100, v130, v100
	v_bfe_u32 v130, v12, 27, 4
	v_and_b32_e32 v12, 0x80000000, v12
	s_delay_alu instid0(VALU_DEP_2) | instskip(NEXT) | instid1(VALU_DEP_4)
	v_cmp_eq_u32_e32 vcc_lo, 0, v130
	v_dual_cndmask_b32 v129, v130, v129 :: v_dual_and_b32 v100, 7, v100
	s_delay_alu instid0(VALU_DEP_1) | instskip(NEXT) | instid1(VALU_DEP_2)
	v_cndmask_b32_e32 v100, v128, v100, vcc_lo
	v_lshl_add_u32 v128, v129, 23, 0x3b800000
	s_delay_alu instid0(VALU_DEP_2) | instskip(NEXT) | instid1(VALU_DEP_1)
	v_lshlrev_b32_e32 v100, 20, v100
	v_or3_b32 v128, v12, v128, v100
.LBB4_1822:                             ;   in Loop: Header=BB4_1437 Depth=2
	s_or_b32 exec_lo, exec_lo, s27
	s_delay_alu instid0(VALU_DEP_1) | instskip(NEXT) | instid1(VALU_DEP_1)
	v_add_f32_e32 v100, v119, v128
	v_and_b32_e32 v12, 0x7f800000, v100
	s_delay_alu instid0(VALU_DEP_1)
	v_cmp_ne_u32_e32 vcc_lo, 0x7f800000, v12
	v_mov_b32_e32 v12, 0x80
	s_and_saveexec_b32 s27, vcc_lo
	s_cbranch_execz .LBB4_1830
; %bb.1823:                             ;   in Loop: Header=BB4_1437 Depth=2
	v_mov_b32_e32 v12, 0
	s_mov_b32 s28, exec_lo
	v_cmpx_ne_u32_e32 0, v100
	s_cbranch_execz .LBB4_1829
; %bb.1824:                             ;   in Loop: Header=BB4_1437 Depth=2
	v_bfe_u32 v12, v100, 23, 8
	v_and_b32_e32 v119, 0x7fffff, v100
	s_delay_alu instid0(VALU_DEP_2) | instskip(SKIP_1) | instid1(VALU_DEP_3)
	v_sub_nc_u32_e32 v128, 0x78, v12
	v_cmp_gt_u32_e32 vcc_lo, 0x79, v12
	v_or_b32_e32 v129, 0x800000, v119
	s_delay_alu instid0(VALU_DEP_3) | instskip(SKIP_1) | instid1(VALU_DEP_3)
	v_cndmask_b32_e32 v128, 0, v128, vcc_lo
	v_cmp_eq_u32_e32 vcc_lo, 0, v12
	v_dual_cndmask_b32 v119, v129, v119 :: v_dual_add_nc_u32 v12, 0xffffff89, v12
	s_delay_alu instid0(VALU_DEP_3) | instskip(NEXT) | instid1(VALU_DEP_2)
	v_cndmask_b32_e64 v128, v128, 0x77, vcc_lo
	v_cndmask_b32_e64 v12, v12, 0xffffff8a, vcc_lo
	s_delay_alu instid0(VALU_DEP_2) | instskip(SKIP_2) | instid1(VALU_DEP_4)
	v_lshrrev_b32_e32 v130, v128, v119
	v_lshl_add_u32 v129, 0x100000, v128, -1
	v_lshlrev_b32_e64 v132, v128, 0x80000
	v_add_nc_u32_e32 v128, v128, v12
	s_delay_alu instid0(VALU_DEP_4) | instskip(NEXT) | instid1(VALU_DEP_4)
	v_bfe_u32 v131, v130, 20, 1
	v_and_b32_e32 v119, v129, v119
	s_delay_alu instid0(VALU_DEP_2) | instskip(NEXT) | instid1(VALU_DEP_2)
	v_add_nc_u32_e32 v129, -1, v131
	v_cmp_eq_u32_e64 s12, v119, v132
	s_delay_alu instid0(VALU_DEP_1) | instskip(SKIP_2) | instid1(VALU_DEP_2)
	v_cndmask_b32_e64 v119, 0, v129, s12
	v_lshrrev_b32_e32 v129, 23, v130
	s_mov_b32 s12, exec_lo
	v_add_nc_u32_e32 v119, v119, v130
	s_delay_alu instid0(VALU_DEP_2) | instskip(NEXT) | instid1(VALU_DEP_2)
	v_xor_b32_e32 v129, 1, v129
	v_and_b32_e32 v12, 0xfffff, v119
	s_delay_alu instid0(VALU_DEP_1) | instskip(NEXT) | instid1(VALU_DEP_3)
	v_add_nc_u32_e32 v119, v12, v130
                                        ; implicit-def: $vgpr12
	v_cmpx_ne_u32_e64 v128, v129
	s_xor_b32 s12, exec_lo, s12
; %bb.1825:                             ;   in Loop: Header=BB4_1437 Depth=2
	s_delay_alu instid0(VALU_DEP_2) | instskip(SKIP_2) | instid1(VALU_DEP_2)
	v_cmp_lt_u32_e32 vcc_lo, 0xffffff, v119
	v_sub_nc_u32_e32 v12, v128, v129
	v_cndmask_b32_e64 v128, 0, 1, vcc_lo
	v_add_co_ci_u32_e32 v12, vcc_lo, 0, v12, vcc_lo
	s_delay_alu instid0(VALU_DEP_2)
	v_lshrrev_b32_e32 v119, v128, v119
; %bb.1826:                             ;   in Loop: Header=BB4_1437 Depth=2
	s_and_not1_saveexec_b32 s12, s12
; %bb.1827:                             ;   in Loop: Header=BB4_1437 Depth=2
	s_delay_alu instid0(VALU_DEP_1)
	v_bfe_u32 v12, v119, 23, 1
; %bb.1828:                             ;   in Loop: Header=BB4_1437 Depth=2
	s_or_b32 exec_lo, exec_lo, s12
	v_lshrrev_b32_e32 v119, 20, v119
	s_delay_alu instid0(VALU_DEP_2) | instskip(SKIP_2) | instid1(VALU_DEP_2)
	v_cmp_gt_i32_e32 vcc_lo, 16, v12
	v_lshrrev_b32_e32 v100, 24, v100
	v_min_i32_e32 v128, 15, v12
	v_dual_cndmask_b32 v119, 7, v119 :: v_dual_and_b32 v100, 0x80, v100
	s_delay_alu instid0(VALU_DEP_2) | instskip(NEXT) | instid1(VALU_DEP_2)
	v_lshlrev_b32_e32 v128, 3, v128
	v_or_b32_e32 v12, v12, v119
	s_delay_alu instid0(VALU_DEP_1) | instskip(SKIP_1) | instid1(VALU_DEP_1)
	v_cmp_ne_u32_e32 vcc_lo, 0, v12
	v_and_b32_e32 v129, 7, v119
	v_or3_b32 v100, v128, v100, v129
	s_delay_alu instid0(VALU_DEP_1)
	v_cndmask_b32_e32 v12, 0, v100, vcc_lo
.LBB4_1829:                             ;   in Loop: Header=BB4_1437 Depth=2
	s_or_b32 exec_lo, exec_lo, s28
.LBB4_1830:                             ;   in Loop: Header=BB4_1437 Depth=2
	s_delay_alu instid0(SALU_CYCLE_1) | instskip(SKIP_3) | instid1(VALU_DEP_1)
	s_or_b32 exec_lo, exec_lo, s27
	v_or_b32_e32 v100, v113, v99
	s_mov_b32 s12, 0
	s_mov_b32 s28, exec_lo
                                        ; implicit-def: $sgpr27
	v_and_b32_e32 v113, 0xff, v100
	s_delay_alu instid0(VALU_DEP_1)
	v_cmpx_lt_i16_e32 0x7f, v113
	s_xor_b32 s28, exec_lo, s28
	s_cbranch_execnz .LBB4_2052
; %bb.1831:                             ;   in Loop: Header=BB4_1437 Depth=2
	s_or_saveexec_b32 s28, s28
	v_mov_b32_e32 v99, s27
	s_xor_b32 exec_lo, exec_lo, s28
	s_cbranch_execnz .LBB4_2055
.LBB4_1832:                             ;   in Loop: Header=BB4_1437 Depth=2
	s_or_b32 exec_lo, exec_lo, s28
	s_and_saveexec_b32 s27, s12
	s_cbranch_execz .LBB4_1834
.LBB4_1833:                             ;   in Loop: Header=BB4_1437 Depth=2
	v_and_b32_e32 v99, 7, v100
	v_bfe_u32 v128, v100, 3, 4
	v_lshlrev_b32_e32 v129, 24, v100
	s_delay_alu instid0(VALU_DEP_3) | instskip(NEXT) | instid1(VALU_DEP_3)
	v_clz_i32_u32_e32 v113, v99
	v_cmp_eq_u32_e32 vcc_lo, 0, v128
	s_delay_alu instid0(VALU_DEP_2) | instskip(NEXT) | instid1(VALU_DEP_1)
	v_min_u32_e32 v113, 32, v113
	v_subrev_nc_u32_e32 v119, 28, v113
	v_sub_nc_u32_e32 v113, 29, v113
	s_delay_alu instid0(VALU_DEP_2) | instskip(NEXT) | instid1(VALU_DEP_2)
	v_lshlrev_b32_e32 v119, v119, v100
	v_cndmask_b32_e32 v113, v128, v113, vcc_lo
	s_delay_alu instid0(VALU_DEP_2) | instskip(NEXT) | instid1(VALU_DEP_2)
	v_and_b32_e32 v119, 7, v119
	v_lshl_add_u32 v113, v113, 23, 0x3b800000
	s_delay_alu instid0(VALU_DEP_2) | instskip(SKIP_1) | instid1(VALU_DEP_2)
	v_cndmask_b32_e32 v99, v99, v119, vcc_lo
	v_and_b32_e32 v119, 0x80000000, v129
	v_lshlrev_b32_e32 v99, 20, v99
	s_delay_alu instid0(VALU_DEP_1)
	v_or3_b32 v99, v119, v113, v99
.LBB4_1834:                             ;   in Loop: Header=BB4_1437 Depth=2
	s_or_b32 exec_lo, exec_lo, s27
	v_and_b32_e32 v119, 0xff, v13
	s_mov_b32 s12, 0
	s_mov_b32 s28, exec_lo
                                        ; implicit-def: $sgpr27
	s_delay_alu instid0(VALU_DEP_1)
	v_cmpx_lt_i16_e32 0x7f, v119
	s_xor_b32 s28, exec_lo, s28
	s_cbranch_execnz .LBB4_2056
; %bb.1835:                             ;   in Loop: Header=BB4_1437 Depth=2
	s_or_saveexec_b32 s28, s28
	v_mov_b32_e32 v113, s27
	s_xor_b32 exec_lo, exec_lo, s28
	s_cbranch_execnz .LBB4_2059
.LBB4_1836:                             ;   in Loop: Header=BB4_1437 Depth=2
	s_or_b32 exec_lo, exec_lo, s28
	s_and_saveexec_b32 s27, s12
	s_cbranch_execz .LBB4_1838
.LBB4_1837:                             ;   in Loop: Header=BB4_1437 Depth=2
	v_and_b32_e32 v113, 7, v13
	v_bfe_u32 v129, v13, 3, 4
	s_delay_alu instid0(VALU_DEP_2) | instskip(NEXT) | instid1(VALU_DEP_2)
	v_clz_i32_u32_e32 v119, v113
	v_cmp_eq_u32_e32 vcc_lo, 0, v129
	s_delay_alu instid0(VALU_DEP_2) | instskip(NEXT) | instid1(VALU_DEP_1)
	v_min_u32_e32 v119, 32, v119
	v_subrev_nc_u32_e32 v128, 28, v119
	v_sub_nc_u32_e32 v119, 29, v119
	s_delay_alu instid0(VALU_DEP_1) | instskip(NEXT) | instid1(VALU_DEP_1)
	v_dual_cndmask_b32 v119, v129, v119 :: v_dual_lshlrev_b32 v128, v128, v13
	v_and_b32_e32 v128, 7, v128
	v_lshlrev_b32_e32 v130, 24, v13
	s_delay_alu instid0(VALU_DEP_3) | instskip(NEXT) | instid1(VALU_DEP_2)
	v_lshl_add_u32 v119, v119, 23, 0x3b800000
	v_dual_cndmask_b32 v113, v113, v128 :: v_dual_and_b32 v128, 0x80000000, v130
	s_delay_alu instid0(VALU_DEP_1) | instskip(NEXT) | instid1(VALU_DEP_1)
	v_lshlrev_b32_e32 v113, 20, v113
	v_or3_b32 v113, v128, v119, v113
.LBB4_1838:                             ;   in Loop: Header=BB4_1437 Depth=2
	s_or_b32 exec_lo, exec_lo, s27
	s_delay_alu instid0(VALU_DEP_1) | instskip(NEXT) | instid1(VALU_DEP_1)
	v_add_f32_e32 v113, v99, v113
	v_and_b32_e32 v99, 0x7f800000, v113
	s_delay_alu instid0(VALU_DEP_1)
	v_cmp_ne_u32_e32 vcc_lo, 0x7f800000, v99
	v_mov_b32_e32 v99, 0x80
	s_and_saveexec_b32 s27, vcc_lo
	s_cbranch_execz .LBB4_1846
; %bb.1839:                             ;   in Loop: Header=BB4_1437 Depth=2
	v_mov_b32_e32 v99, 0
	s_mov_b32 s28, exec_lo
	v_cmpx_ne_u32_e32 0, v113
	s_cbranch_execz .LBB4_1845
; %bb.1840:                             ;   in Loop: Header=BB4_1437 Depth=2
	v_bfe_u32 v99, v113, 23, 8
	s_delay_alu instid0(VALU_DEP_1) | instskip(SKIP_1) | instid1(VALU_DEP_2)
	v_sub_nc_u32_e32 v128, 0x78, v99
	v_cmp_gt_u32_e32 vcc_lo, 0x79, v99
	v_dual_cndmask_b32 v128, 0, v128 :: v_dual_and_b32 v119, 0x7fffff, v113
	s_delay_alu instid0(VALU_DEP_1) | instskip(SKIP_2) | instid1(VALU_DEP_4)
	v_or_b32_e32 v129, 0x800000, v119
	v_cmp_eq_u32_e32 vcc_lo, 0, v99
	v_add_nc_u32_e32 v99, 0xffffff89, v99
	v_cndmask_b32_e64 v128, v128, 0x77, vcc_lo
	s_delay_alu instid0(VALU_DEP_4) | instskip(NEXT) | instid1(VALU_DEP_3)
	v_cndmask_b32_e32 v119, v129, v119, vcc_lo
	v_cndmask_b32_e64 v99, v99, 0xffffff8a, vcc_lo
	s_delay_alu instid0(VALU_DEP_3) | instskip(NEXT) | instid1(VALU_DEP_3)
	v_lshl_add_u32 v129, 0x100000, v128, -1
	v_lshrrev_b32_e32 v130, v128, v119
	v_lshlrev_b32_e64 v132, v128, 0x80000
	s_delay_alu instid0(VALU_DEP_4) | instskip(NEXT) | instid1(VALU_DEP_4)
	v_add_nc_u32_e32 v128, v128, v99
	v_and_b32_e32 v119, v129, v119
	s_delay_alu instid0(VALU_DEP_4) | instskip(NEXT) | instid1(VALU_DEP_2)
	v_bfe_u32 v131, v130, 20, 1
	v_cmp_eq_u32_e64 s12, v119, v132
	s_delay_alu instid0(VALU_DEP_2) | instskip(NEXT) | instid1(VALU_DEP_1)
	v_add_nc_u32_e32 v129, -1, v131
	v_cndmask_b32_e64 v119, 0, v129, s12
	v_lshrrev_b32_e32 v129, 23, v130
	s_mov_b32 s12, exec_lo
	s_delay_alu instid0(VALU_DEP_2) | instskip(NEXT) | instid1(VALU_DEP_2)
	v_add_nc_u32_e32 v119, v119, v130
	v_xor_b32_e32 v129, 1, v129
	s_delay_alu instid0(VALU_DEP_2) | instskip(NEXT) | instid1(VALU_DEP_1)
	v_and_b32_e32 v99, 0xfffff, v119
	v_add_nc_u32_e32 v119, v99, v130
                                        ; implicit-def: $vgpr99
	s_delay_alu instid0(VALU_DEP_3)
	v_cmpx_ne_u32_e64 v128, v129
	s_xor_b32 s12, exec_lo, s12
; %bb.1841:                             ;   in Loop: Header=BB4_1437 Depth=2
	s_delay_alu instid0(VALU_DEP_2) | instskip(SKIP_2) | instid1(VALU_DEP_2)
	v_cmp_lt_u32_e32 vcc_lo, 0xffffff, v119
	v_sub_nc_u32_e32 v99, v128, v129
	v_cndmask_b32_e64 v128, 0, 1, vcc_lo
	v_add_co_ci_u32_e32 v99, vcc_lo, 0, v99, vcc_lo
	s_delay_alu instid0(VALU_DEP_2)
	v_lshrrev_b32_e32 v119, v128, v119
; %bb.1842:                             ;   in Loop: Header=BB4_1437 Depth=2
	s_and_not1_saveexec_b32 s12, s12
; %bb.1843:                             ;   in Loop: Header=BB4_1437 Depth=2
	s_delay_alu instid0(VALU_DEP_1)
	v_bfe_u32 v99, v119, 23, 1
; %bb.1844:                             ;   in Loop: Header=BB4_1437 Depth=2
	s_or_b32 exec_lo, exec_lo, s12
	v_lshrrev_b32_e32 v119, 20, v119
	s_delay_alu instid0(VALU_DEP_2) | instskip(SKIP_2) | instid1(VALU_DEP_4)
	v_cmp_gt_i32_e32 vcc_lo, 16, v99
	v_lshrrev_b32_e32 v113, 24, v113
	v_min_i32_e32 v128, 15, v99
	v_cndmask_b32_e32 v119, 7, v119, vcc_lo
	s_delay_alu instid0(VALU_DEP_3) | instskip(NEXT) | instid1(VALU_DEP_3)
	v_and_b32_e32 v113, 0x80, v113
	v_lshlrev_b32_e32 v128, 3, v128
	s_delay_alu instid0(VALU_DEP_3) | instskip(SKIP_1) | instid1(VALU_DEP_2)
	v_and_b32_e32 v129, 7, v119
	v_or_b32_e32 v99, v99, v119
	v_or3_b32 v113, v128, v113, v129
	s_delay_alu instid0(VALU_DEP_2) | instskip(NEXT) | instid1(VALU_DEP_2)
	v_cmp_ne_u32_e32 vcc_lo, 0, v99
	v_cndmask_b32_e32 v99, 0, v113, vcc_lo
.LBB4_1845:                             ;   in Loop: Header=BB4_1437 Depth=2
	s_or_b32 exec_lo, exec_lo, s28
.LBB4_1846:                             ;   in Loop: Header=BB4_1437 Depth=2
	s_delay_alu instid0(SALU_CYCLE_1) | instskip(SKIP_3) | instid1(VALU_DEP_1)
	s_or_b32 exec_lo, exec_lo, s27
	v_lshrrev_b16 v119, 8, v100
	s_mov_b32 s12, 0
	s_mov_b32 s28, exec_lo
                                        ; implicit-def: $sgpr27
	v_cmpx_lt_i16_e32 0x7f, v119
	s_xor_b32 s28, exec_lo, s28
	s_cbranch_execnz .LBB4_2060
; %bb.1847:                             ;   in Loop: Header=BB4_1437 Depth=2
	s_or_saveexec_b32 s28, s28
	v_mov_b32_e32 v113, s27
	s_xor_b32 exec_lo, exec_lo, s28
	s_cbranch_execnz .LBB4_2063
.LBB4_1848:                             ;   in Loop: Header=BB4_1437 Depth=2
	s_or_b32 exec_lo, exec_lo, s28
	s_and_saveexec_b32 s27, s12
	s_cbranch_execz .LBB4_1850
.LBB4_1849:                             ;   in Loop: Header=BB4_1437 Depth=2
	v_and_b32_e32 v113, 0xffff, v119
	v_lshlrev_b32_e32 v119, 24, v119
	s_delay_alu instid0(VALU_DEP_2) | instskip(NEXT) | instid1(VALU_DEP_2)
	v_and_b32_e32 v128, 7, v113
	v_and_b32_e32 v119, 0x80000000, v119
	s_delay_alu instid0(VALU_DEP_2) | instskip(NEXT) | instid1(VALU_DEP_1)
	v_clz_i32_u32_e32 v129, v128
	v_min_u32_e32 v129, 32, v129
	s_delay_alu instid0(VALU_DEP_1) | instskip(SKIP_1) | instid1(VALU_DEP_2)
	v_subrev_nc_u32_e32 v130, 28, v129
	v_sub_nc_u32_e32 v129, 29, v129
	v_lshlrev_b32_e32 v130, v130, v113
	v_bfe_u32 v113, v113, 3, 4
	s_delay_alu instid0(VALU_DEP_1) | instskip(NEXT) | instid1(VALU_DEP_3)
	v_cmp_eq_u32_e32 vcc_lo, 0, v113
	v_dual_cndmask_b32 v113, v113, v129 :: v_dual_and_b32 v130, 7, v130
	s_delay_alu instid0(VALU_DEP_1) | instskip(NEXT) | instid1(VALU_DEP_2)
	v_cndmask_b32_e32 v128, v128, v130, vcc_lo
	v_lshl_add_u32 v113, v113, 23, 0x3b800000
	s_delay_alu instid0(VALU_DEP_2) | instskip(NEXT) | instid1(VALU_DEP_1)
	v_lshlrev_b32_e32 v128, 20, v128
	v_or3_b32 v113, v119, v113, v128
.LBB4_1850:                             ;   in Loop: Header=BB4_1437 Depth=2
	s_or_b32 exec_lo, exec_lo, s27
	v_lshrrev_b16 v119, 8, v13
	s_mov_b32 s12, 0
	s_mov_b32 s28, exec_lo
                                        ; implicit-def: $sgpr27
	s_delay_alu instid0(VALU_DEP_1)
	v_cmpx_lt_i16_e32 0x7f, v119
	s_xor_b32 s28, exec_lo, s28
	s_cbranch_execnz .LBB4_2064
; %bb.1851:                             ;   in Loop: Header=BB4_1437 Depth=2
	s_or_saveexec_b32 s28, s28
	v_mov_b32_e32 v128, s27
	s_xor_b32 exec_lo, exec_lo, s28
	s_cbranch_execnz .LBB4_2067
.LBB4_1852:                             ;   in Loop: Header=BB4_1437 Depth=2
	s_or_b32 exec_lo, exec_lo, s28
	s_and_saveexec_b32 s27, s12
	s_cbranch_execz .LBB4_1854
.LBB4_1853:                             ;   in Loop: Header=BB4_1437 Depth=2
	v_and_b32_e32 v128, 0xffff, v119
	v_lshlrev_b32_e32 v119, 24, v119
	s_delay_alu instid0(VALU_DEP_2) | instskip(NEXT) | instid1(VALU_DEP_2)
	v_and_b32_e32 v129, 7, v128
	v_and_b32_e32 v119, 0x80000000, v119
	s_delay_alu instid0(VALU_DEP_2) | instskip(NEXT) | instid1(VALU_DEP_1)
	v_clz_i32_u32_e32 v130, v129
	v_min_u32_e32 v130, 32, v130
	s_delay_alu instid0(VALU_DEP_1) | instskip(SKIP_1) | instid1(VALU_DEP_2)
	v_subrev_nc_u32_e32 v131, 28, v130
	v_sub_nc_u32_e32 v130, 29, v130
	v_lshlrev_b32_e32 v131, v131, v128
	v_bfe_u32 v128, v128, 3, 4
	s_delay_alu instid0(VALU_DEP_2) | instskip(NEXT) | instid1(VALU_DEP_2)
	v_and_b32_e32 v131, 7, v131
	v_cmp_eq_u32_e32 vcc_lo, 0, v128
	s_delay_alu instid0(VALU_DEP_2) | instskip(NEXT) | instid1(VALU_DEP_1)
	v_dual_cndmask_b32 v128, v128, v130 :: v_dual_cndmask_b32 v129, v129, v131
	v_lshl_add_u32 v128, v128, 23, 0x3b800000
	s_delay_alu instid0(VALU_DEP_2) | instskip(NEXT) | instid1(VALU_DEP_1)
	v_lshlrev_b32_e32 v129, 20, v129
	v_or3_b32 v128, v119, v128, v129
.LBB4_1854:                             ;   in Loop: Header=BB4_1437 Depth=2
	s_or_b32 exec_lo, exec_lo, s27
	s_delay_alu instid0(VALU_DEP_1) | instskip(NEXT) | instid1(VALU_DEP_1)
	v_add_f32_e32 v119, v113, v128
	v_and_b32_e32 v113, 0x7f800000, v119
	s_delay_alu instid0(VALU_DEP_1)
	v_cmp_ne_u32_e32 vcc_lo, 0x7f800000, v113
	v_mov_b32_e32 v113, 0x8000
	s_and_saveexec_b32 s27, vcc_lo
	s_cbranch_execz .LBB4_1862
; %bb.1855:                             ;   in Loop: Header=BB4_1437 Depth=2
	v_mov_b32_e32 v113, 0
	s_mov_b32 s28, exec_lo
	v_cmpx_ne_u32_e32 0, v119
	s_cbranch_execz .LBB4_1861
; %bb.1856:                             ;   in Loop: Header=BB4_1437 Depth=2
	v_bfe_u32 v113, v119, 23, 8
	s_delay_alu instid0(VALU_DEP_1) | instskip(SKIP_1) | instid1(VALU_DEP_2)
	v_sub_nc_u32_e32 v129, 0x78, v113
	v_cmp_gt_u32_e32 vcc_lo, 0x79, v113
	v_dual_cndmask_b32 v129, 0, v129 :: v_dual_and_b32 v128, 0x7fffff, v119
	s_delay_alu instid0(VALU_DEP_1) | instskip(SKIP_2) | instid1(VALU_DEP_4)
	v_or_b32_e32 v130, 0x800000, v128
	v_cmp_eq_u32_e32 vcc_lo, 0, v113
	v_add_nc_u32_e32 v113, 0xffffff89, v113
	v_cndmask_b32_e64 v129, v129, 0x77, vcc_lo
	s_delay_alu instid0(VALU_DEP_4) | instskip(NEXT) | instid1(VALU_DEP_3)
	v_cndmask_b32_e32 v128, v130, v128, vcc_lo
	v_cndmask_b32_e64 v113, v113, 0xffffff8a, vcc_lo
	s_delay_alu instid0(VALU_DEP_3) | instskip(NEXT) | instid1(VALU_DEP_3)
	v_lshl_add_u32 v130, 0x100000, v129, -1
	v_lshrrev_b32_e32 v131, v129, v128
	v_lshlrev_b32_e64 v133, v129, 0x80000
	s_delay_alu instid0(VALU_DEP_4) | instskip(NEXT) | instid1(VALU_DEP_4)
	v_add_nc_u32_e32 v129, v129, v113
	v_and_b32_e32 v128, v130, v128
	s_delay_alu instid0(VALU_DEP_4) | instskip(NEXT) | instid1(VALU_DEP_2)
	v_bfe_u32 v132, v131, 20, 1
	v_cmp_eq_u32_e64 s12, v128, v133
	s_delay_alu instid0(VALU_DEP_2) | instskip(NEXT) | instid1(VALU_DEP_1)
	v_add_nc_u32_e32 v130, -1, v132
	v_cndmask_b32_e64 v128, 0, v130, s12
	v_lshrrev_b32_e32 v130, 23, v131
	s_mov_b32 s12, exec_lo
	s_delay_alu instid0(VALU_DEP_2) | instskip(NEXT) | instid1(VALU_DEP_2)
	v_add_nc_u32_e32 v128, v128, v131
	v_xor_b32_e32 v130, 1, v130
	s_delay_alu instid0(VALU_DEP_2) | instskip(NEXT) | instid1(VALU_DEP_1)
	v_and_b32_e32 v113, 0xfffff, v128
	v_add_nc_u32_e32 v128, v113, v131
                                        ; implicit-def: $vgpr113
	s_delay_alu instid0(VALU_DEP_3)
	v_cmpx_ne_u32_e64 v129, v130
	s_xor_b32 s12, exec_lo, s12
; %bb.1857:                             ;   in Loop: Header=BB4_1437 Depth=2
	s_delay_alu instid0(VALU_DEP_2) | instskip(SKIP_2) | instid1(VALU_DEP_2)
	v_cmp_lt_u32_e32 vcc_lo, 0xffffff, v128
	v_sub_nc_u32_e32 v113, v129, v130
	v_cndmask_b32_e64 v129, 0, 1, vcc_lo
	v_add_co_ci_u32_e32 v113, vcc_lo, 0, v113, vcc_lo
	s_delay_alu instid0(VALU_DEP_2)
	v_lshrrev_b32_e32 v128, v129, v128
; %bb.1858:                             ;   in Loop: Header=BB4_1437 Depth=2
	s_and_not1_saveexec_b32 s12, s12
; %bb.1859:                             ;   in Loop: Header=BB4_1437 Depth=2
	s_delay_alu instid0(VALU_DEP_1)
	v_bfe_u32 v113, v128, 23, 1
; %bb.1860:                             ;   in Loop: Header=BB4_1437 Depth=2
	s_or_b32 exec_lo, exec_lo, s12
	v_lshrrev_b32_e32 v128, 20, v128
	s_delay_alu instid0(VALU_DEP_2) | instskip(SKIP_2) | instid1(VALU_DEP_2)
	v_cmp_gt_i32_e32 vcc_lo, 16, v113
	v_min_i32_e32 v129, 15, v113
	v_lshrrev_b32_e32 v119, 24, v119
	v_dual_cndmask_b32 v128, 7, v128 :: v_dual_lshlrev_b32 v129, 3, v129
	s_delay_alu instid0(VALU_DEP_2) | instskip(NEXT) | instid1(VALU_DEP_2)
	v_and_b32_e32 v119, 0x80, v119
	v_or_b32_e32 v113, v113, v128
	s_delay_alu instid0(VALU_DEP_3) | instskip(NEXT) | instid1(VALU_DEP_2)
	v_and_b32_e32 v129, 0xf8, v129
	v_cmp_ne_u32_e32 vcc_lo, 0, v113
	v_and_b32_e32 v130, 7, v128
	s_delay_alu instid0(VALU_DEP_1) | instskip(NEXT) | instid1(VALU_DEP_1)
	v_or3_b32 v119, v119, v129, v130
	v_lshlrev_b32_e32 v119, 8, v119
	s_delay_alu instid0(VALU_DEP_1)
	v_cndmask_b32_e32 v113, 0, v119, vcc_lo
.LBB4_1861:                             ;   in Loop: Header=BB4_1437 Depth=2
	s_or_b32 exec_lo, exec_lo, s28
.LBB4_1862:                             ;   in Loop: Header=BB4_1437 Depth=2
	s_delay_alu instid0(SALU_CYCLE_1) | instskip(SKIP_3) | instid1(VALU_DEP_1)
	s_or_b32 exec_lo, exec_lo, s27
	v_or_b32_e32 v102, v102, v98
	s_mov_b32 s12, 0
	s_mov_b32 s28, exec_lo
                                        ; implicit-def: $sgpr27
	v_and_b32_e32 v119, 0xff, v102
	s_delay_alu instid0(VALU_DEP_1)
	v_cmpx_lt_i16_e32 0x7f, v119
	s_xor_b32 s28, exec_lo, s28
	s_cbranch_execnz .LBB4_2068
; %bb.1863:                             ;   in Loop: Header=BB4_1437 Depth=2
	s_or_saveexec_b32 s28, s28
	v_mov_b32_e32 v98, s27
	s_xor_b32 exec_lo, exec_lo, s28
	s_cbranch_execnz .LBB4_2071
.LBB4_1864:                             ;   in Loop: Header=BB4_1437 Depth=2
	s_or_b32 exec_lo, exec_lo, s28
	v_lshl_or_b32 v100, v102, 16, v100
	s_and_saveexec_b32 s27, s12
	s_cbranch_execz .LBB4_1866
.LBB4_1865:                             ;   in Loop: Header=BB4_1437 Depth=2
	s_delay_alu instid0(VALU_DEP_1) | instskip(SKIP_1) | instid1(VALU_DEP_2)
	v_bfe_u32 v98, v100, 16, 3
	v_lshrrev_b32_e32 v119, 16, v100
	v_clz_i32_u32_e32 v102, v98
	s_delay_alu instid0(VALU_DEP_1) | instskip(NEXT) | instid1(VALU_DEP_1)
	v_min_u32_e32 v102, 32, v102
	v_subrev_nc_u32_e32 v128, 28, v102
	v_sub_nc_u32_e32 v102, 29, v102
	s_delay_alu instid0(VALU_DEP_2) | instskip(SKIP_1) | instid1(VALU_DEP_1)
	v_lshlrev_b32_e32 v119, v128, v119
	v_bfe_u32 v128, v100, 19, 4
	v_cmp_eq_u32_e32 vcc_lo, 0, v128
	s_delay_alu instid0(VALU_DEP_3) | instskip(NEXT) | instid1(VALU_DEP_1)
	v_dual_cndmask_b32 v102, v128, v102 :: v_dual_and_b32 v119, 7, v119
	v_dual_cndmask_b32 v98, v98, v119 :: v_dual_lshlrev_b32 v129, 8, v100
	s_delay_alu instid0(VALU_DEP_2) | instskip(NEXT) | instid1(VALU_DEP_2)
	v_lshl_add_u32 v102, v102, 23, 0x3b800000
	v_and_b32_e32 v119, 0x80000000, v129
	s_delay_alu instid0(VALU_DEP_3) | instskip(NEXT) | instid1(VALU_DEP_1)
	v_lshlrev_b32_e32 v98, 20, v98
	v_or3_b32 v98, v119, v102, v98
.LBB4_1866:                             ;   in Loop: Header=BB4_1437 Depth=2
	s_or_b32 exec_lo, exec_lo, s27
	v_lshrrev_b32_e32 v102, 16, v13
	s_mov_b32 s12, 0
	s_mov_b32 s28, exec_lo
                                        ; implicit-def: $sgpr27
	s_delay_alu instid0(VALU_DEP_1) | instskip(NEXT) | instid1(VALU_DEP_1)
	v_and_b32_e32 v128, 0xff, v102
	v_cmpx_lt_i16_e64 0x7f, v128
	s_xor_b32 s28, exec_lo, s28
	s_cbranch_execnz .LBB4_2072
; %bb.1867:                             ;   in Loop: Header=BB4_1437 Depth=2
	s_or_saveexec_b32 s28, s28
	v_mov_b32_e32 v119, s27
	s_xor_b32 exec_lo, exec_lo, s28
	s_cbranch_execnz .LBB4_2075
.LBB4_1868:                             ;   in Loop: Header=BB4_1437 Depth=2
	s_or_b32 exec_lo, exec_lo, s28
	s_and_saveexec_b32 s27, s12
	s_cbranch_execz .LBB4_1870
.LBB4_1869:                             ;   in Loop: Header=BB4_1437 Depth=2
	v_bfe_u32 v119, v13, 16, 3
	v_lshlrev_b32_e32 v130, 8, v13
	s_delay_alu instid0(VALU_DEP_2) | instskip(NEXT) | instid1(VALU_DEP_1)
	v_clz_i32_u32_e32 v128, v119
	v_min_u32_e32 v128, 32, v128
	s_delay_alu instid0(VALU_DEP_1) | instskip(SKIP_1) | instid1(VALU_DEP_2)
	v_subrev_nc_u32_e32 v129, 28, v128
	v_sub_nc_u32_e32 v128, 29, v128
	v_lshlrev_b32_e32 v102, v129, v102
	v_bfe_u32 v129, v13, 19, 4
	s_delay_alu instid0(VALU_DEP_2) | instskip(NEXT) | instid1(VALU_DEP_2)
	v_and_b32_e32 v102, 7, v102
	v_cmp_eq_u32_e32 vcc_lo, 0, v129
	v_cndmask_b32_e32 v128, v129, v128, vcc_lo
	s_delay_alu instid0(VALU_DEP_3) | instskip(SKIP_1) | instid1(VALU_DEP_3)
	v_cndmask_b32_e32 v102, v119, v102, vcc_lo
	v_and_b32_e32 v119, 0x80000000, v130
	v_lshl_add_u32 v128, v128, 23, 0x3b800000
	s_delay_alu instid0(VALU_DEP_3) | instskip(NEXT) | instid1(VALU_DEP_1)
	v_lshlrev_b32_e32 v102, 20, v102
	v_or3_b32 v119, v119, v128, v102
.LBB4_1870:                             ;   in Loop: Header=BB4_1437 Depth=2
	s_or_b32 exec_lo, exec_lo, s27
	s_delay_alu instid0(VALU_DEP_1) | instskip(NEXT) | instid1(VALU_DEP_1)
	v_add_f32_e32 v102, v98, v119
	v_and_b32_e32 v98, 0x7f800000, v102
	s_delay_alu instid0(VALU_DEP_1)
	v_cmp_ne_u32_e32 vcc_lo, 0x7f800000, v98
	v_mov_b32_e32 v98, 0x80
	s_and_saveexec_b32 s27, vcc_lo
	s_cbranch_execz .LBB4_1878
; %bb.1871:                             ;   in Loop: Header=BB4_1437 Depth=2
	v_mov_b32_e32 v98, 0
	s_mov_b32 s28, exec_lo
	v_cmpx_ne_u32_e32 0, v102
	s_cbranch_execz .LBB4_1877
; %bb.1872:                             ;   in Loop: Header=BB4_1437 Depth=2
	v_bfe_u32 v98, v102, 23, 8
	s_delay_alu instid0(VALU_DEP_1) | instskip(SKIP_1) | instid1(VALU_DEP_2)
	v_sub_nc_u32_e32 v128, 0x78, v98
	v_cmp_gt_u32_e32 vcc_lo, 0x79, v98
	v_dual_cndmask_b32 v128, 0, v128 :: v_dual_and_b32 v119, 0x7fffff, v102
	s_delay_alu instid0(VALU_DEP_1) | instskip(SKIP_2) | instid1(VALU_DEP_4)
	v_or_b32_e32 v129, 0x800000, v119
	v_cmp_eq_u32_e32 vcc_lo, 0, v98
	v_add_nc_u32_e32 v98, 0xffffff89, v98
	v_cndmask_b32_e64 v128, v128, 0x77, vcc_lo
	s_delay_alu instid0(VALU_DEP_4) | instskip(NEXT) | instid1(VALU_DEP_3)
	v_cndmask_b32_e32 v119, v129, v119, vcc_lo
	v_cndmask_b32_e64 v98, v98, 0xffffff8a, vcc_lo
	s_delay_alu instid0(VALU_DEP_3) | instskip(NEXT) | instid1(VALU_DEP_3)
	v_lshl_add_u32 v129, 0x100000, v128, -1
	v_lshrrev_b32_e32 v130, v128, v119
	v_lshlrev_b32_e64 v132, v128, 0x80000
	s_delay_alu instid0(VALU_DEP_4) | instskip(NEXT) | instid1(VALU_DEP_4)
	v_add_nc_u32_e32 v128, v128, v98
	v_and_b32_e32 v119, v129, v119
	s_delay_alu instid0(VALU_DEP_4) | instskip(NEXT) | instid1(VALU_DEP_2)
	v_bfe_u32 v131, v130, 20, 1
	v_cmp_eq_u32_e64 s12, v119, v132
	s_delay_alu instid0(VALU_DEP_2) | instskip(NEXT) | instid1(VALU_DEP_1)
	v_add_nc_u32_e32 v129, -1, v131
	v_cndmask_b32_e64 v119, 0, v129, s12
	v_lshrrev_b32_e32 v129, 23, v130
	s_mov_b32 s12, exec_lo
	s_delay_alu instid0(VALU_DEP_2) | instskip(NEXT) | instid1(VALU_DEP_2)
	v_add_nc_u32_e32 v119, v119, v130
	v_xor_b32_e32 v129, 1, v129
	s_delay_alu instid0(VALU_DEP_2) | instskip(NEXT) | instid1(VALU_DEP_1)
	v_and_b32_e32 v98, 0xfffff, v119
	v_add_nc_u32_e32 v119, v98, v130
                                        ; implicit-def: $vgpr98
	s_delay_alu instid0(VALU_DEP_3)
	v_cmpx_ne_u32_e64 v128, v129
	s_xor_b32 s12, exec_lo, s12
; %bb.1873:                             ;   in Loop: Header=BB4_1437 Depth=2
	s_delay_alu instid0(VALU_DEP_2) | instskip(SKIP_2) | instid1(VALU_DEP_2)
	v_cmp_lt_u32_e32 vcc_lo, 0xffffff, v119
	v_sub_nc_u32_e32 v98, v128, v129
	v_cndmask_b32_e64 v128, 0, 1, vcc_lo
	v_add_co_ci_u32_e32 v98, vcc_lo, 0, v98, vcc_lo
	s_delay_alu instid0(VALU_DEP_2)
	v_lshrrev_b32_e32 v119, v128, v119
; %bb.1874:                             ;   in Loop: Header=BB4_1437 Depth=2
	s_and_not1_saveexec_b32 s12, s12
; %bb.1875:                             ;   in Loop: Header=BB4_1437 Depth=2
	s_delay_alu instid0(VALU_DEP_1)
	v_bfe_u32 v98, v119, 23, 1
; %bb.1876:                             ;   in Loop: Header=BB4_1437 Depth=2
	s_or_b32 exec_lo, exec_lo, s12
	v_lshrrev_b32_e32 v119, 20, v119
	s_delay_alu instid0(VALU_DEP_2) | instskip(SKIP_2) | instid1(VALU_DEP_2)
	v_cmp_gt_i32_e32 vcc_lo, 16, v98
	v_min_i32_e32 v128, 15, v98
	v_lshrrev_b32_e32 v102, 24, v102
	v_dual_cndmask_b32 v119, 7, v119 :: v_dual_lshlrev_b32 v128, 3, v128
	s_delay_alu instid0(VALU_DEP_2) | instskip(NEXT) | instid1(VALU_DEP_2)
	v_and_b32_e32 v102, 0x80, v102
	v_or_b32_e32 v98, v98, v119
	s_delay_alu instid0(VALU_DEP_3) | instskip(NEXT) | instid1(VALU_DEP_2)
	v_and_b32_e32 v128, 0xf8, v128
	v_cmp_ne_u32_e32 vcc_lo, 0, v98
	v_and_b32_e32 v129, 7, v119
	s_delay_alu instid0(VALU_DEP_1) | instskip(NEXT) | instid1(VALU_DEP_1)
	v_or3_b32 v102, v128, v102, v129
	v_cndmask_b32_e32 v98, 0, v102, vcc_lo
.LBB4_1877:                             ;   in Loop: Header=BB4_1437 Depth=2
	s_or_b32 exec_lo, exec_lo, s28
.LBB4_1878:                             ;   in Loop: Header=BB4_1437 Depth=2
	s_delay_alu instid0(SALU_CYCLE_1) | instskip(SKIP_3) | instid1(VALU_DEP_1)
	s_or_b32 exec_lo, exec_lo, s27
	v_lshrrev_b32_e32 v119, 24, v100
	s_mov_b32 s12, 0
	s_mov_b32 s28, exec_lo
                                        ; implicit-def: $sgpr27
	v_cmpx_lt_i16_e32 0x7f, v119
	s_xor_b32 s28, exec_lo, s28
	s_cbranch_execnz .LBB4_2076
; %bb.1879:                             ;   in Loop: Header=BB4_1437 Depth=2
	s_or_saveexec_b32 s28, s28
	v_mov_b32_e32 v102, s27
	s_xor_b32 exec_lo, exec_lo, s28
	s_cbranch_execnz .LBB4_2079
.LBB4_1880:                             ;   in Loop: Header=BB4_1437 Depth=2
	s_or_b32 exec_lo, exec_lo, s28
	s_and_saveexec_b32 s27, s12
	s_cbranch_execz .LBB4_1882
.LBB4_1881:                             ;   in Loop: Header=BB4_1437 Depth=2
	v_bfe_u32 v102, v100, 24, 3
	s_delay_alu instid0(VALU_DEP_1) | instskip(NEXT) | instid1(VALU_DEP_1)
	v_clz_i32_u32_e32 v128, v102
	v_min_u32_e32 v128, 32, v128
	s_delay_alu instid0(VALU_DEP_1) | instskip(SKIP_1) | instid1(VALU_DEP_2)
	v_subrev_nc_u32_e32 v129, 28, v128
	v_sub_nc_u32_e32 v128, 29, v128
	v_lshlrev_b32_e32 v119, v129, v119
	v_bfe_u32 v129, v100, 27, 4
	v_and_b32_e32 v100, 0x80000000, v100
	s_delay_alu instid0(VALU_DEP_2) | instskip(NEXT) | instid1(VALU_DEP_4)
	v_cmp_eq_u32_e32 vcc_lo, 0, v129
	v_dual_cndmask_b32 v128, v129, v128 :: v_dual_and_b32 v119, 7, v119
	s_delay_alu instid0(VALU_DEP_1) | instskip(NEXT) | instid1(VALU_DEP_2)
	v_cndmask_b32_e32 v102, v102, v119, vcc_lo
	v_lshl_add_u32 v119, v128, 23, 0x3b800000
	s_delay_alu instid0(VALU_DEP_2) | instskip(NEXT) | instid1(VALU_DEP_1)
	v_lshlrev_b32_e32 v102, 20, v102
	v_or3_b32 v102, v100, v119, v102
.LBB4_1882:                             ;   in Loop: Header=BB4_1437 Depth=2
	s_or_b32 exec_lo, exec_lo, s27
	v_lshrrev_b32_e32 v100, 24, v13
	s_mov_b32 s12, 0
	s_mov_b32 s28, exec_lo
                                        ; implicit-def: $sgpr27
	s_delay_alu instid0(VALU_DEP_1)
	v_cmpx_lt_i16_e32 0x7f, v100
	s_xor_b32 s28, exec_lo, s28
	s_cbranch_execnz .LBB4_2080
; %bb.1883:                             ;   in Loop: Header=BB4_1437 Depth=2
	s_or_saveexec_b32 s28, s28
	v_mov_b32_e32 v119, s27
	s_xor_b32 exec_lo, exec_lo, s28
	s_cbranch_execnz .LBB4_2083
.LBB4_1884:                             ;   in Loop: Header=BB4_1437 Depth=2
	s_or_b32 exec_lo, exec_lo, s28
	s_and_saveexec_b32 s27, s12
	s_cbranch_execz .LBB4_1886
.LBB4_1885:                             ;   in Loop: Header=BB4_1437 Depth=2
	v_bfe_u32 v119, v13, 24, 3
	s_delay_alu instid0(VALU_DEP_1) | instskip(NEXT) | instid1(VALU_DEP_1)
	v_clz_i32_u32_e32 v128, v119
	v_min_u32_e32 v128, 32, v128
	s_delay_alu instid0(VALU_DEP_1) | instskip(SKIP_1) | instid1(VALU_DEP_2)
	v_subrev_nc_u32_e32 v129, 28, v128
	v_sub_nc_u32_e32 v128, 29, v128
	v_lshlrev_b32_e32 v100, v129, v100
	v_bfe_u32 v129, v13, 27, 4
	v_and_b32_e32 v13, 0x80000000, v13
	s_delay_alu instid0(VALU_DEP_3) | instskip(NEXT) | instid1(VALU_DEP_3)
	v_and_b32_e32 v100, 7, v100
	v_cmp_eq_u32_e32 vcc_lo, 0, v129
	v_cndmask_b32_e32 v128, v129, v128, vcc_lo
	s_delay_alu instid0(VALU_DEP_3) | instskip(NEXT) | instid1(VALU_DEP_2)
	v_cndmask_b32_e32 v100, v119, v100, vcc_lo
	v_lshl_add_u32 v119, v128, 23, 0x3b800000
	s_delay_alu instid0(VALU_DEP_2) | instskip(NEXT) | instid1(VALU_DEP_1)
	v_lshlrev_b32_e32 v100, 20, v100
	v_or3_b32 v119, v13, v119, v100
.LBB4_1886:                             ;   in Loop: Header=BB4_1437 Depth=2
	s_or_b32 exec_lo, exec_lo, s27
	s_delay_alu instid0(VALU_DEP_1) | instskip(NEXT) | instid1(VALU_DEP_1)
	v_add_f32_e32 v13, v102, v119
	v_and_b32_e32 v100, 0x7f800000, v13
	s_delay_alu instid0(VALU_DEP_1)
	v_cmp_ne_u32_e32 vcc_lo, 0x7f800000, v100
	v_mov_b32_e32 v100, 0x8000
	s_and_saveexec_b32 s27, vcc_lo
	s_cbranch_execz .LBB4_1436
; %bb.1887:                             ;   in Loop: Header=BB4_1437 Depth=2
	v_mov_b32_e32 v100, 0
	s_mov_b32 s28, exec_lo
	v_cmpx_ne_u32_e32 0, v13
	s_cbranch_execz .LBB4_1435
; %bb.1888:                             ;   in Loop: Header=BB4_1437 Depth=2
	v_bfe_u32 v100, v13, 23, 8
	s_delay_alu instid0(VALU_DEP_1) | instskip(SKIP_1) | instid1(VALU_DEP_2)
	v_sub_nc_u32_e32 v119, 0x78, v100
	v_cmp_gt_u32_e32 vcc_lo, 0x79, v100
	v_dual_cndmask_b32 v119, 0, v119 :: v_dual_and_b32 v102, 0x7fffff, v13
	s_delay_alu instid0(VALU_DEP_1) | instskip(SKIP_2) | instid1(VALU_DEP_4)
	v_or_b32_e32 v128, 0x800000, v102
	v_cmp_eq_u32_e32 vcc_lo, 0, v100
	v_add_nc_u32_e32 v100, 0xffffff89, v100
	v_cndmask_b32_e64 v119, v119, 0x77, vcc_lo
	s_delay_alu instid0(VALU_DEP_2) | instskip(SKIP_1) | instid1(VALU_DEP_3)
	v_cndmask_b32_e64 v100, v100, 0xffffff8a, vcc_lo
	v_cndmask_b32_e32 v102, v128, v102, vcc_lo
	v_lshl_add_u32 v128, 0x100000, v119, -1
	v_lshlrev_b32_e64 v131, v119, 0x80000
	s_delay_alu instid0(VALU_DEP_3) | instskip(SKIP_1) | instid1(VALU_DEP_4)
	v_lshrrev_b32_e32 v129, v119, v102
	v_add_nc_u32_e32 v119, v119, v100
	v_and_b32_e32 v102, v128, v102
	s_delay_alu instid0(VALU_DEP_3) | instskip(NEXT) | instid1(VALU_DEP_2)
	v_bfe_u32 v130, v129, 20, 1
	v_cmp_eq_u32_e64 s12, v102, v131
	s_delay_alu instid0(VALU_DEP_2) | instskip(NEXT) | instid1(VALU_DEP_1)
	v_add_nc_u32_e32 v128, -1, v130
	v_cndmask_b32_e64 v102, 0, v128, s12
	v_lshrrev_b32_e32 v128, 23, v129
	s_mov_b32 s12, exec_lo
	s_delay_alu instid0(VALU_DEP_2) | instskip(NEXT) | instid1(VALU_DEP_2)
	v_add_nc_u32_e32 v102, v102, v129
	v_xor_b32_e32 v128, 1, v128
	s_delay_alu instid0(VALU_DEP_2) | instskip(NEXT) | instid1(VALU_DEP_1)
	v_and_b32_e32 v100, 0xfffff, v102
	v_add_nc_u32_e32 v102, v100, v129
                                        ; implicit-def: $vgpr100
	s_delay_alu instid0(VALU_DEP_3)
	v_cmpx_ne_u32_e64 v119, v128
	s_xor_b32 s12, exec_lo, s12
; %bb.1889:                             ;   in Loop: Header=BB4_1437 Depth=2
	s_delay_alu instid0(VALU_DEP_2) | instskip(SKIP_2) | instid1(VALU_DEP_2)
	v_cmp_lt_u32_e32 vcc_lo, 0xffffff, v102
	v_sub_nc_u32_e32 v100, v119, v128
	v_cndmask_b32_e64 v119, 0, 1, vcc_lo
	v_add_co_ci_u32_e32 v100, vcc_lo, 0, v100, vcc_lo
	s_delay_alu instid0(VALU_DEP_2)
	v_lshrrev_b32_e32 v102, v119, v102
; %bb.1890:                             ;   in Loop: Header=BB4_1437 Depth=2
	s_and_not1_saveexec_b32 s12, s12
	s_cbranch_execz .LBB4_1434
; %bb.1891:                             ;   in Loop: Header=BB4_1437 Depth=2
	s_delay_alu instid0(VALU_DEP_1)
	v_bfe_u32 v100, v102, 23, 1
	s_branch .LBB4_1434
.LBB4_1892:                             ;   in Loop: Header=BB4_1437 Depth=2
	s_mov_b32 s12, -1
	s_mov_b32 vcc_hi, exec_lo
                                        ; implicit-def: $sgpr28
	v_cmpx_eq_u16_e32 0x80, v98
; %bb.1893:                             ;   in Loop: Header=BB4_1437 Depth=2
	s_mov_b32 s28, 0x7f800001
	s_xor_b32 s12, exec_lo, -1
; %bb.1894:                             ;   in Loop: Header=BB4_1437 Depth=2
	s_or_b32 exec_lo, exec_lo, vcc_hi
	s_delay_alu instid0(SALU_CYCLE_1)
	s_and_b32 s12, s12, exec_lo
                                        ; implicit-def: $vgpr98
	s_or_saveexec_b32 s29, s29
	v_mov_b32_e32 v97, s28
	s_xor_b32 exec_lo, exec_lo, s29
	s_cbranch_execz .LBB4_1448
.LBB4_1895:                             ;   in Loop: Header=BB4_1437 Depth=2
	v_cmp_ne_u16_e32 vcc_lo, 0, v98
	v_mov_b32_e32 v97, 0
	s_and_not1_b32 s12, s12, exec_lo
	s_and_b32 s28, vcc_lo, exec_lo
	s_delay_alu instid0(SALU_CYCLE_1)
	s_or_b32 s12, s12, s28
	s_or_b32 exec_lo, exec_lo, s29
	s_and_saveexec_b32 s28, s12
	s_cbranch_execnz .LBB4_1449
	s_branch .LBB4_1450
.LBB4_1896:                             ;   in Loop: Header=BB4_1437 Depth=2
	s_mov_b32 s12, -1
	s_mov_b32 vcc_hi, exec_lo
                                        ; implicit-def: $sgpr28
	v_cmpx_eq_u16_e32 0x80, v98
; %bb.1897:                             ;   in Loop: Header=BB4_1437 Depth=2
	s_mov_b32 s28, 0x7f800001
	s_xor_b32 s12, exec_lo, -1
; %bb.1898:                             ;   in Loop: Header=BB4_1437 Depth=2
	s_or_b32 exec_lo, exec_lo, vcc_hi
	s_delay_alu instid0(SALU_CYCLE_1)
	s_and_b32 s12, s12, exec_lo
	s_or_saveexec_b32 s29, s29
	v_mov_b32_e32 v99, s28
	s_xor_b32 exec_lo, exec_lo, s29
	s_cbranch_execz .LBB4_1460
.LBB4_1899:                             ;   in Loop: Header=BB4_1437 Depth=2
	v_cmp_ne_u16_e32 vcc_lo, 0, v98
	v_mov_b32_e32 v99, 0
	s_and_not1_b32 s12, s12, exec_lo
	s_and_b32 s28, vcc_lo, exec_lo
	s_delay_alu instid0(SALU_CYCLE_1)
	s_or_b32 s12, s12, s28
	s_or_b32 exec_lo, exec_lo, s29
	s_and_saveexec_b32 s28, s12
	s_cbranch_execnz .LBB4_1461
	s_branch .LBB4_1462
.LBB4_1900:                             ;   in Loop: Header=BB4_1437 Depth=2
	s_mov_b32 s12, -1
	s_mov_b32 vcc_hi, exec_lo
                                        ; implicit-def: $sgpr28
	v_cmpx_eq_u16_e32 0x80, v100
; %bb.1901:                             ;   in Loop: Header=BB4_1437 Depth=2
	s_mov_b32 s28, 0x7f800001
	s_xor_b32 s12, exec_lo, -1
; %bb.1902:                             ;   in Loop: Header=BB4_1437 Depth=2
	s_or_b32 exec_lo, exec_lo, vcc_hi
	s_delay_alu instid0(SALU_CYCLE_1)
	s_and_b32 s12, s12, exec_lo
                                        ; implicit-def: $vgpr100
	s_or_saveexec_b32 s29, s29
	v_mov_b32_e32 v99, s28
	s_xor_b32 exec_lo, exec_lo, s29
	s_cbranch_execz .LBB4_1472
.LBB4_1903:                             ;   in Loop: Header=BB4_1437 Depth=2
	v_cmp_ne_u16_e32 vcc_lo, 0, v100
	v_mov_b32_e32 v99, 0
	s_and_not1_b32 s12, s12, exec_lo
	s_and_b32 s28, vcc_lo, exec_lo
	s_delay_alu instid0(SALU_CYCLE_1)
	s_or_b32 s12, s12, s28
	s_or_b32 exec_lo, exec_lo, s29
	s_and_saveexec_b32 s28, s12
	s_cbranch_execnz .LBB4_1473
	s_branch .LBB4_1474
.LBB4_1904:                             ;   in Loop: Header=BB4_1437 Depth=2
	s_mov_b32 s12, -1
	s_mov_b32 vcc_hi, exec_lo
                                        ; implicit-def: $sgpr28
	v_cmpx_eq_u16_e32 0x80, v98
; %bb.1905:                             ;   in Loop: Header=BB4_1437 Depth=2
	s_mov_b32 s28, 0x7f800001
	s_xor_b32 s12, exec_lo, -1
; %bb.1906:                             ;   in Loop: Header=BB4_1437 Depth=2
	s_or_b32 exec_lo, exec_lo, vcc_hi
	s_delay_alu instid0(SALU_CYCLE_1)
	s_and_b32 s12, s12, exec_lo
	s_or_saveexec_b32 s29, s29
	v_mov_b32_e32 v99, s28
	s_xor_b32 exec_lo, exec_lo, s29
	s_cbranch_execz .LBB4_1484
.LBB4_1907:                             ;   in Loop: Header=BB4_1437 Depth=2
	v_cmp_ne_u16_e32 vcc_lo, 0, v98
	v_mov_b32_e32 v99, 0
	s_and_not1_b32 s12, s12, exec_lo
	s_and_b32 s28, vcc_lo, exec_lo
	s_delay_alu instid0(SALU_CYCLE_1)
	s_or_b32 s12, s12, s28
	s_or_b32 exec_lo, exec_lo, s29
	s_and_saveexec_b32 s28, s12
	s_cbranch_execnz .LBB4_1485
	s_branch .LBB4_1486
.LBB4_1908:                             ;   in Loop: Header=BB4_1437 Depth=2
	s_mov_b32 s12, -1
	s_mov_b32 vcc_hi, exec_lo
                                        ; implicit-def: $sgpr28
	v_cmpx_eq_u16_e32 0x80, v98
; %bb.1909:                             ;   in Loop: Header=BB4_1437 Depth=2
	s_mov_b32 s28, 0x7f800001
	s_xor_b32 s12, exec_lo, -1
; %bb.1910:                             ;   in Loop: Header=BB4_1437 Depth=2
	s_or_b32 exec_lo, exec_lo, vcc_hi
	s_delay_alu instid0(SALU_CYCLE_1)
	s_and_b32 s12, s12, exec_lo
                                        ; implicit-def: $vgpr98
	s_or_saveexec_b32 s29, s29
	v_mov_b32_e32 v10, s28
	s_xor_b32 exec_lo, exec_lo, s29
	s_cbranch_execz .LBB4_1496
.LBB4_1911:                             ;   in Loop: Header=BB4_1437 Depth=2
	v_cmp_ne_u16_e32 vcc_lo, 0, v98
	v_mov_b32_e32 v10, 0
	s_and_not1_b32 s12, s12, exec_lo
	s_and_b32 s28, vcc_lo, exec_lo
	s_delay_alu instid0(SALU_CYCLE_1)
	s_or_b32 s12, s12, s28
	s_or_b32 exec_lo, exec_lo, s29
	s_and_saveexec_b32 s28, s12
	s_cbranch_execnz .LBB4_1497
	s_branch .LBB4_1498
.LBB4_1912:                             ;   in Loop: Header=BB4_1437 Depth=2
	s_mov_b32 s12, -1
	s_mov_b32 vcc_hi, exec_lo
                                        ; implicit-def: $sgpr28
	v_cmpx_eq_u16_e32 0x80, v10
; %bb.1913:                             ;   in Loop: Header=BB4_1437 Depth=2
	s_mov_b32 s28, 0x7f800001
	s_xor_b32 s12, exec_lo, -1
; %bb.1914:                             ;   in Loop: Header=BB4_1437 Depth=2
	s_or_b32 exec_lo, exec_lo, vcc_hi
	s_delay_alu instid0(SALU_CYCLE_1)
	s_and_b32 s12, s12, exec_lo
	s_or_saveexec_b32 s29, s29
	v_mov_b32_e32 v98, s28
	s_xor_b32 exec_lo, exec_lo, s29
	s_cbranch_execz .LBB4_1508
.LBB4_1915:                             ;   in Loop: Header=BB4_1437 Depth=2
	v_cmp_ne_u16_e32 vcc_lo, 0, v10
	v_mov_b32_e32 v98, 0
	s_and_not1_b32 s12, s12, exec_lo
	s_and_b32 s28, vcc_lo, exec_lo
	s_delay_alu instid0(SALU_CYCLE_1)
	s_or_b32 s12, s12, s28
	s_or_b32 exec_lo, exec_lo, s29
	s_and_saveexec_b32 s28, s12
	s_cbranch_execnz .LBB4_1509
	s_branch .LBB4_1510
.LBB4_1916:                             ;   in Loop: Header=BB4_1437 Depth=2
	s_mov_b32 s12, -1
	s_mov_b32 vcc_hi, exec_lo
                                        ; implicit-def: $sgpr28
	v_cmpx_eq_u16_e32 0x80, v99
; %bb.1917:                             ;   in Loop: Header=BB4_1437 Depth=2
	s_mov_b32 s28, 0x7f800001
	s_xor_b32 s12, exec_lo, -1
; %bb.1918:                             ;   in Loop: Header=BB4_1437 Depth=2
	s_or_b32 exec_lo, exec_lo, vcc_hi
	s_delay_alu instid0(SALU_CYCLE_1)
	s_and_b32 s12, s12, exec_lo
                                        ; implicit-def: $vgpr99
	s_or_saveexec_b32 s29, s29
	v_mov_b32_e32 v98, s28
	s_xor_b32 exec_lo, exec_lo, s29
	s_cbranch_execz .LBB4_1520
.LBB4_1919:                             ;   in Loop: Header=BB4_1437 Depth=2
	v_cmp_ne_u16_e32 vcc_lo, 0, v99
	v_mov_b32_e32 v98, 0
	s_and_not1_b32 s12, s12, exec_lo
	s_and_b32 s28, vcc_lo, exec_lo
	s_delay_alu instid0(SALU_CYCLE_1)
	s_or_b32 s12, s12, s28
	s_or_b32 exec_lo, exec_lo, s29
	s_and_saveexec_b32 s28, s12
	s_cbranch_execnz .LBB4_1521
	s_branch .LBB4_1522
.LBB4_1920:                             ;   in Loop: Header=BB4_1437 Depth=2
	s_mov_b32 s12, -1
	s_mov_b32 vcc_hi, exec_lo
                                        ; implicit-def: $sgpr28
	v_cmpx_eq_u16_e32 0x80, v10
; %bb.1921:                             ;   in Loop: Header=BB4_1437 Depth=2
	s_mov_b32 s28, 0x7f800001
	s_xor_b32 s12, exec_lo, -1
; %bb.1922:                             ;   in Loop: Header=BB4_1437 Depth=2
	s_or_b32 exec_lo, exec_lo, vcc_hi
	s_delay_alu instid0(SALU_CYCLE_1)
	s_and_b32 s12, s12, exec_lo
	s_or_saveexec_b32 s29, s29
	v_mov_b32_e32 v98, s28
	s_xor_b32 exec_lo, exec_lo, s29
	s_cbranch_execz .LBB4_1532
.LBB4_1923:                             ;   in Loop: Header=BB4_1437 Depth=2
	v_cmp_ne_u16_e32 vcc_lo, 0, v10
	v_mov_b32_e32 v98, 0
	s_and_not1_b32 s12, s12, exec_lo
	s_and_b32 s28, vcc_lo, exec_lo
	s_delay_alu instid0(SALU_CYCLE_1)
	s_or_b32 s12, s12, s28
	s_or_b32 exec_lo, exec_lo, s29
	s_and_saveexec_b32 s28, s12
	s_cbranch_execnz .LBB4_1533
	s_branch .LBB4_1534
.LBB4_1924:                             ;   in Loop: Header=BB4_1437 Depth=2
	s_mov_b32 s12, -1
	s_mov_b32 vcc_hi, exec_lo
                                        ; implicit-def: $sgpr28
	v_cmpx_eq_u16_e32 0x80, v11
; %bb.1925:                             ;   in Loop: Header=BB4_1437 Depth=2
	s_mov_b32 s28, 0x7f800001
	s_xor_b32 s12, exec_lo, -1
; %bb.1926:                             ;   in Loop: Header=BB4_1437 Depth=2
	s_or_b32 exec_lo, exec_lo, vcc_hi
	s_delay_alu instid0(SALU_CYCLE_1)
	s_and_b32 s12, s12, exec_lo
                                        ; implicit-def: $vgpr11
	s_or_saveexec_b32 s29, s29
	v_mov_b32_e32 v10, s28
	s_xor_b32 exec_lo, exec_lo, s29
	s_cbranch_execz .LBB4_1544
.LBB4_1927:                             ;   in Loop: Header=BB4_1437 Depth=2
	v_cmp_ne_u16_e32 vcc_lo, 0, v11
	v_mov_b32_e32 v10, 0
	s_and_not1_b32 s12, s12, exec_lo
	s_and_b32 s28, vcc_lo, exec_lo
	s_delay_alu instid0(SALU_CYCLE_1)
	s_or_b32 s12, s12, s28
	s_or_b32 exec_lo, exec_lo, s29
	s_and_saveexec_b32 s28, s12
	s_cbranch_execnz .LBB4_1545
	s_branch .LBB4_1546
.LBB4_1928:                             ;   in Loop: Header=BB4_1437 Depth=2
	s_mov_b32 s12, -1
	s_mov_b32 vcc_hi, exec_lo
                                        ; implicit-def: $sgpr28
	v_cmpx_eq_u16_e32 0x80, v10
; %bb.1929:                             ;   in Loop: Header=BB4_1437 Depth=2
	s_mov_b32 s28, 0x7f800001
	s_xor_b32 s12, exec_lo, -1
; %bb.1930:                             ;   in Loop: Header=BB4_1437 Depth=2
	s_or_b32 exec_lo, exec_lo, vcc_hi
	s_delay_alu instid0(SALU_CYCLE_1)
	s_and_b32 s12, s12, exec_lo
	s_or_saveexec_b32 s29, s29
	v_mov_b32_e32 v11, s28
	s_xor_b32 exec_lo, exec_lo, s29
	s_cbranch_execz .LBB4_1556
.LBB4_1931:                             ;   in Loop: Header=BB4_1437 Depth=2
	v_cmp_ne_u16_e32 vcc_lo, 0, v10
	v_mov_b32_e32 v11, 0
	s_and_not1_b32 s12, s12, exec_lo
	s_and_b32 s28, vcc_lo, exec_lo
	s_delay_alu instid0(SALU_CYCLE_1)
	s_or_b32 s12, s12, s28
	s_or_b32 exec_lo, exec_lo, s29
	s_and_saveexec_b32 s28, s12
	s_cbranch_execnz .LBB4_1557
	s_branch .LBB4_1558
.LBB4_1932:                             ;   in Loop: Header=BB4_1437 Depth=2
	s_mov_b32 s12, -1
	s_mov_b32 vcc_hi, exec_lo
                                        ; implicit-def: $sgpr28
	v_cmpx_eq_u16_e32 0x80, v98
; %bb.1933:                             ;   in Loop: Header=BB4_1437 Depth=2
	s_mov_b32 s28, 0x7f800001
	s_xor_b32 s12, exec_lo, -1
; %bb.1934:                             ;   in Loop: Header=BB4_1437 Depth=2
	s_or_b32 exec_lo, exec_lo, vcc_hi
	s_delay_alu instid0(SALU_CYCLE_1)
	s_and_b32 s12, s12, exec_lo
                                        ; implicit-def: $vgpr98
	s_or_saveexec_b32 s29, s29
	v_mov_b32_e32 v11, s28
	s_xor_b32 exec_lo, exec_lo, s29
	s_cbranch_execz .LBB4_1568
.LBB4_1935:                             ;   in Loop: Header=BB4_1437 Depth=2
	v_cmp_ne_u16_e32 vcc_lo, 0, v98
	v_mov_b32_e32 v11, 0
	s_and_not1_b32 s12, s12, exec_lo
	s_and_b32 s28, vcc_lo, exec_lo
	s_delay_alu instid0(SALU_CYCLE_1)
	s_or_b32 s12, s12, s28
	s_or_b32 exec_lo, exec_lo, s29
	s_and_saveexec_b32 s28, s12
	s_cbranch_execnz .LBB4_1569
	s_branch .LBB4_1570
.LBB4_1936:                             ;   in Loop: Header=BB4_1437 Depth=2
	s_mov_b32 s12, -1
	s_mov_b32 vcc_hi, exec_lo
                                        ; implicit-def: $sgpr28
	v_cmpx_eq_u16_e32 0x80, v10
; %bb.1937:                             ;   in Loop: Header=BB4_1437 Depth=2
	s_mov_b32 s28, 0x7f800001
	s_xor_b32 s12, exec_lo, -1
; %bb.1938:                             ;   in Loop: Header=BB4_1437 Depth=2
	s_or_b32 exec_lo, exec_lo, vcc_hi
	s_delay_alu instid0(SALU_CYCLE_1)
	s_and_b32 s12, s12, exec_lo
	s_or_saveexec_b32 s29, s29
	v_mov_b32_e32 v11, s28
	s_xor_b32 exec_lo, exec_lo, s29
	s_cbranch_execz .LBB4_1580
.LBB4_1939:                             ;   in Loop: Header=BB4_1437 Depth=2
	v_cmp_ne_u16_e32 vcc_lo, 0, v10
	v_mov_b32_e32 v11, 0
	s_and_not1_b32 s12, s12, exec_lo
	s_and_b32 s28, vcc_lo, exec_lo
	s_delay_alu instid0(SALU_CYCLE_1)
	s_or_b32 s12, s12, s28
	s_or_b32 exec_lo, exec_lo, s29
	s_and_saveexec_b32 s28, s12
	s_cbranch_execnz .LBB4_1581
	s_branch .LBB4_1582
.LBB4_1940:                             ;   in Loop: Header=BB4_1437 Depth=2
	s_mov_b32 s12, -1
	s_mov_b32 vcc_hi, exec_lo
                                        ; implicit-def: $sgpr28
	v_cmpx_eq_u16_e32 0x80, v11
; %bb.1941:                             ;   in Loop: Header=BB4_1437 Depth=2
	s_mov_b32 s28, 0x7f800001
	s_xor_b32 s12, exec_lo, -1
; %bb.1942:                             ;   in Loop: Header=BB4_1437 Depth=2
	s_or_b32 exec_lo, exec_lo, vcc_hi
	s_delay_alu instid0(SALU_CYCLE_1)
	s_and_b32 s12, s12, exec_lo
                                        ; implicit-def: $vgpr11
	s_or_saveexec_b32 s29, s29
	v_mov_b32_e32 v10, s28
	s_xor_b32 exec_lo, exec_lo, s29
	s_cbranch_execz .LBB4_1592
.LBB4_1943:                             ;   in Loop: Header=BB4_1437 Depth=2
	v_cmp_ne_u16_e32 vcc_lo, 0, v11
	v_mov_b32_e32 v10, 0
	s_and_not1_b32 s12, s12, exec_lo
	s_and_b32 s28, vcc_lo, exec_lo
	s_delay_alu instid0(SALU_CYCLE_1)
	s_or_b32 s12, s12, s28
	s_or_b32 exec_lo, exec_lo, s29
	s_and_saveexec_b32 s28, s12
	s_cbranch_execnz .LBB4_1593
	s_branch .LBB4_1594
.LBB4_1944:                             ;   in Loop: Header=BB4_1437 Depth=2
	s_mov_b32 s12, -1
	s_mov_b32 vcc_hi, exec_lo
                                        ; implicit-def: $sgpr28
	v_cmpx_eq_u16_e32 0x80, v10
; %bb.1945:                             ;   in Loop: Header=BB4_1437 Depth=2
	s_mov_b32 s28, 0x7f800001
	s_xor_b32 s12, exec_lo, -1
; %bb.1946:                             ;   in Loop: Header=BB4_1437 Depth=2
	s_or_b32 exec_lo, exec_lo, vcc_hi
	s_delay_alu instid0(SALU_CYCLE_1)
	s_and_b32 s12, s12, exec_lo
	s_or_saveexec_b32 s29, s29
	v_mov_b32_e32 v11, s28
	s_xor_b32 exec_lo, exec_lo, s29
	s_cbranch_execz .LBB4_1604
.LBB4_1947:                             ;   in Loop: Header=BB4_1437 Depth=2
	v_cmp_ne_u16_e32 vcc_lo, 0, v10
	v_mov_b32_e32 v11, 0
	s_and_not1_b32 s12, s12, exec_lo
	s_and_b32 s28, vcc_lo, exec_lo
	s_delay_alu instid0(SALU_CYCLE_1)
	s_or_b32 s12, s12, s28
	s_or_b32 exec_lo, exec_lo, s29
	s_and_saveexec_b32 s28, s12
	s_cbranch_execnz .LBB4_1605
	s_branch .LBB4_1606
.LBB4_1948:                             ;   in Loop: Header=BB4_1437 Depth=2
	s_mov_b32 s12, -1
	s_mov_b32 vcc_hi, exec_lo
                                        ; implicit-def: $sgpr28
	v_cmpx_eq_u16_e32 0x80, v12
; %bb.1949:                             ;   in Loop: Header=BB4_1437 Depth=2
	s_mov_b32 s28, 0x7f800001
	s_xor_b32 s12, exec_lo, -1
; %bb.1950:                             ;   in Loop: Header=BB4_1437 Depth=2
	s_or_b32 exec_lo, exec_lo, vcc_hi
	s_delay_alu instid0(SALU_CYCLE_1)
	s_and_b32 s12, s12, exec_lo
                                        ; implicit-def: $vgpr12
	s_or_saveexec_b32 s29, s29
	v_mov_b32_e32 v11, s28
	s_xor_b32 exec_lo, exec_lo, s29
	s_cbranch_execz .LBB4_1616
.LBB4_1951:                             ;   in Loop: Header=BB4_1437 Depth=2
	v_cmp_ne_u16_e32 vcc_lo, 0, v12
	v_mov_b32_e32 v11, 0
	s_and_not1_b32 s12, s12, exec_lo
	s_and_b32 s28, vcc_lo, exec_lo
	s_delay_alu instid0(SALU_CYCLE_1)
	s_or_b32 s12, s12, s28
	s_or_b32 exec_lo, exec_lo, s29
	s_and_saveexec_b32 s28, s12
	s_cbranch_execnz .LBB4_1617
	s_branch .LBB4_1618
.LBB4_1952:                             ;   in Loop: Header=BB4_1437 Depth=2
	s_mov_b32 s12, -1
	s_mov_b32 vcc_hi, exec_lo
                                        ; implicit-def: $sgpr28
	v_cmpx_eq_u16_e32 0x80, v10
; %bb.1953:                             ;   in Loop: Header=BB4_1437 Depth=2
	s_mov_b32 s28, 0x7f800001
	s_xor_b32 s12, exec_lo, -1
; %bb.1954:                             ;   in Loop: Header=BB4_1437 Depth=2
	s_or_b32 exec_lo, exec_lo, vcc_hi
	s_delay_alu instid0(SALU_CYCLE_1)
	s_and_b32 s12, s12, exec_lo
	s_or_saveexec_b32 s29, s29
	v_mov_b32_e32 v11, s28
	s_xor_b32 exec_lo, exec_lo, s29
	s_cbranch_execz .LBB4_1628
.LBB4_1955:                             ;   in Loop: Header=BB4_1437 Depth=2
	v_cmp_ne_u16_e32 vcc_lo, 0, v10
	v_mov_b32_e32 v11, 0
	s_and_not1_b32 s12, s12, exec_lo
	s_and_b32 s28, vcc_lo, exec_lo
	s_delay_alu instid0(SALU_CYCLE_1)
	s_or_b32 s12, s12, s28
	s_or_b32 exec_lo, exec_lo, s29
	s_and_saveexec_b32 s28, s12
	s_cbranch_execnz .LBB4_1629
	s_branch .LBB4_1630
.LBB4_1956:                             ;   in Loop: Header=BB4_1437 Depth=2
	s_mov_b32 s12, -1
	s_mov_b32 s29, exec_lo
                                        ; implicit-def: $sgpr27
	v_cmpx_eq_u16_e64 0x80, v130
; %bb.1957:                             ;   in Loop: Header=BB4_1437 Depth=2
	s_mov_b32 s27, 0x7f800001
	s_xor_b32 s12, exec_lo, -1
; %bb.1958:                             ;   in Loop: Header=BB4_1437 Depth=2
	s_or_b32 exec_lo, exec_lo, s29
	s_delay_alu instid0(SALU_CYCLE_1)
	s_and_b32 s12, s12, exec_lo
                                        ; implicit-def: $vgpr130
	s_or_saveexec_b32 s28, s28
	v_mov_b32_e32 v129, s27
	s_xor_b32 exec_lo, exec_lo, s28
	s_cbranch_execz .LBB4_1640
.LBB4_1959:                             ;   in Loop: Header=BB4_1437 Depth=2
	v_cmp_ne_u16_e64 vcc_lo, 0, v130
	v_mov_b32_e32 v129, 0
	s_and_not1_b32 s12, s12, exec_lo
	s_delay_alu instid0(VALU_DEP_2) | instskip(NEXT) | instid1(SALU_CYCLE_1)
	s_and_b32 s27, vcc_lo, exec_lo
	s_or_b32 s12, s12, s27
	s_or_b32 exec_lo, exec_lo, s28
	s_and_saveexec_b32 s27, s12
	s_cbranch_execnz .LBB4_1641
	s_branch .LBB4_1642
.LBB4_1960:                             ;   in Loop: Header=BB4_1437 Depth=2
	s_mov_b32 s12, -1
	s_mov_b32 s29, exec_lo
                                        ; implicit-def: $sgpr27
	v_cmpx_eq_u16_e64 0x80, v130
; %bb.1961:                             ;   in Loop: Header=BB4_1437 Depth=2
	s_mov_b32 s27, 0x7f800001
	s_xor_b32 s12, exec_lo, -1
; %bb.1962:                             ;   in Loop: Header=BB4_1437 Depth=2
	s_or_b32 exec_lo, exec_lo, s29
	s_delay_alu instid0(SALU_CYCLE_1)
	s_and_b32 s12, s12, exec_lo
                                        ; implicit-def: $vgpr130
	s_or_saveexec_b32 s28, s28
	v_mov_b32_e32 v97, s27
	s_xor_b32 exec_lo, exec_lo, s28
	s_cbranch_execz .LBB4_1644
.LBB4_1963:                             ;   in Loop: Header=BB4_1437 Depth=2
	v_cmp_ne_u16_e64 vcc_lo, 0, v130
	v_mov_b32_e32 v97, 0
	s_and_not1_b32 s12, s12, exec_lo
	s_delay_alu instid0(VALU_DEP_2) | instskip(NEXT) | instid1(SALU_CYCLE_1)
	s_and_b32 s27, vcc_lo, exec_lo
	s_or_b32 s12, s12, s27
	s_or_b32 exec_lo, exec_lo, s28
	s_and_saveexec_b32 s27, s12
	s_cbranch_execnz .LBB4_1645
	s_branch .LBB4_1646
.LBB4_1964:                             ;   in Loop: Header=BB4_1437 Depth=2
	s_mov_b32 s12, -1
	s_mov_b32 s29, exec_lo
                                        ; implicit-def: $sgpr27
	v_cmpx_eq_u16_e64 0x80, v130
; %bb.1965:                             ;   in Loop: Header=BB4_1437 Depth=2
	s_mov_b32 s27, 0x7f800001
	s_xor_b32 s12, exec_lo, -1
; %bb.1966:                             ;   in Loop: Header=BB4_1437 Depth=2
	s_or_b32 exec_lo, exec_lo, s29
	s_delay_alu instid0(SALU_CYCLE_1)
	s_and_b32 s12, s12, exec_lo
                                        ; implicit-def: $vgpr130
	s_or_saveexec_b32 s28, s28
	v_mov_b32_e32 v129, s27
	s_xor_b32 exec_lo, exec_lo, s28
	s_cbranch_execz .LBB4_1656
.LBB4_1967:                             ;   in Loop: Header=BB4_1437 Depth=2
	v_cmp_ne_u16_e64 vcc_lo, 0, v130
	v_mov_b32_e32 v129, 0
	s_and_not1_b32 s12, s12, exec_lo
	s_delay_alu instid0(VALU_DEP_2) | instskip(NEXT) | instid1(SALU_CYCLE_1)
	s_and_b32 s27, vcc_lo, exec_lo
	s_or_b32 s12, s12, s27
	s_or_b32 exec_lo, exec_lo, s28
	s_and_saveexec_b32 s27, s12
	s_cbranch_execnz .LBB4_1657
	s_branch .LBB4_1658
.LBB4_1968:                             ;   in Loop: Header=BB4_1437 Depth=2
	s_mov_b32 s12, -1
	s_mov_b32 s29, exec_lo
                                        ; implicit-def: $sgpr27
	v_cmpx_eq_u16_e32 0x80, v101
; %bb.1969:                             ;   in Loop: Header=BB4_1437 Depth=2
	s_mov_b32 s27, 0x7f800001
	s_xor_b32 s12, exec_lo, -1
; %bb.1970:                             ;   in Loop: Header=BB4_1437 Depth=2
	s_or_b32 exec_lo, exec_lo, s29
	s_delay_alu instid0(SALU_CYCLE_1)
	s_and_b32 s12, s12, exec_lo
	s_or_saveexec_b32 s28, s28
	v_mov_b32_e32 v130, s27
	s_xor_b32 exec_lo, exec_lo, s28
	s_cbranch_execz .LBB4_1660
.LBB4_1971:                             ;   in Loop: Header=BB4_1437 Depth=2
	v_cmp_ne_u16_e32 vcc_lo, 0, v101
	v_mov_b32_e32 v130, 0
	s_and_not1_b32 s12, s12, exec_lo
	s_and_b32 s27, vcc_lo, exec_lo
	s_delay_alu instid0(SALU_CYCLE_1)
	s_or_b32 s12, s12, s27
	s_or_b32 exec_lo, exec_lo, s28
	s_and_saveexec_b32 s27, s12
	s_cbranch_execnz .LBB4_1661
	s_branch .LBB4_1662
.LBB4_1972:                             ;   in Loop: Header=BB4_1437 Depth=2
	s_mov_b32 s12, -1
	s_mov_b32 s29, exec_lo
                                        ; implicit-def: $sgpr27
	v_cmpx_eq_u16_e64 0x80, v130
; %bb.1973:                             ;   in Loop: Header=BB4_1437 Depth=2
	s_mov_b32 s27, 0x7f800001
	s_xor_b32 s12, exec_lo, -1
; %bb.1974:                             ;   in Loop: Header=BB4_1437 Depth=2
	s_or_b32 exec_lo, exec_lo, s29
	s_delay_alu instid0(SALU_CYCLE_1)
	s_and_b32 s12, s12, exec_lo
                                        ; implicit-def: $vgpr130
	s_or_saveexec_b32 s28, s28
	v_mov_b32_e32 v129, s27
	s_xor_b32 exec_lo, exec_lo, s28
	s_cbranch_execz .LBB4_1672
.LBB4_1975:                             ;   in Loop: Header=BB4_1437 Depth=2
	v_cmp_ne_u16_e64 vcc_lo, 0, v130
	v_mov_b32_e32 v129, 0
	s_and_not1_b32 s12, s12, exec_lo
	s_delay_alu instid0(VALU_DEP_2) | instskip(NEXT) | instid1(SALU_CYCLE_1)
	s_and_b32 s27, vcc_lo, exec_lo
	s_or_b32 s12, s12, s27
	s_or_b32 exec_lo, exec_lo, s28
	s_and_saveexec_b32 s27, s12
	s_cbranch_execnz .LBB4_1673
	s_branch .LBB4_1674
.LBB4_1976:                             ;   in Loop: Header=BB4_1437 Depth=2
	s_mov_b32 s12, -1
	s_mov_b32 s29, exec_lo
                                        ; implicit-def: $sgpr27
	v_cmpx_eq_u16_e64 0x80, v131
; %bb.1977:                             ;   in Loop: Header=BB4_1437 Depth=2
	s_mov_b32 s27, 0x7f800001
	s_xor_b32 s12, exec_lo, -1
; %bb.1978:                             ;   in Loop: Header=BB4_1437 Depth=2
	s_or_b32 exec_lo, exec_lo, s29
	s_delay_alu instid0(SALU_CYCLE_1)
	s_and_b32 s12, s12, exec_lo
                                        ; implicit-def: $vgpr131
	s_or_saveexec_b32 s28, s28
	v_mov_b32_e32 v130, s27
	s_xor_b32 exec_lo, exec_lo, s28
	s_cbranch_execz .LBB4_1676
.LBB4_1979:                             ;   in Loop: Header=BB4_1437 Depth=2
	v_cmp_ne_u16_e64 vcc_lo, 0, v131
	v_mov_b32_e32 v130, 0
	s_and_not1_b32 s12, s12, exec_lo
	s_delay_alu instid0(VALU_DEP_2) | instskip(NEXT) | instid1(SALU_CYCLE_1)
	s_and_b32 s27, vcc_lo, exec_lo
	s_or_b32 s12, s12, s27
	s_or_b32 exec_lo, exec_lo, s28
	s_and_saveexec_b32 s27, s12
	s_cbranch_execnz .LBB4_1677
	s_branch .LBB4_1678
.LBB4_1980:                             ;   in Loop: Header=BB4_1437 Depth=2
	s_mov_b32 s12, -1
	s_mov_b32 s29, exec_lo
                                        ; implicit-def: $sgpr27
	v_cmpx_eq_u16_e64 0x80, v130
; %bb.1981:                             ;   in Loop: Header=BB4_1437 Depth=2
	s_mov_b32 s27, 0x7f800001
	s_xor_b32 s12, exec_lo, -1
; %bb.1982:                             ;   in Loop: Header=BB4_1437 Depth=2
	s_or_b32 exec_lo, exec_lo, s29
	s_delay_alu instid0(SALU_CYCLE_1)
	s_and_b32 s12, s12, exec_lo
	s_or_saveexec_b32 s28, s28
	v_mov_b32_e32 v129, s27
	s_xor_b32 exec_lo, exec_lo, s28
	s_cbranch_execz .LBB4_1688
.LBB4_1983:                             ;   in Loop: Header=BB4_1437 Depth=2
	v_cmp_ne_u16_e64 vcc_lo, 0, v130
	v_mov_b32_e32 v129, 0
	s_and_not1_b32 s12, s12, exec_lo
	s_delay_alu instid0(VALU_DEP_2) | instskip(NEXT) | instid1(SALU_CYCLE_1)
	s_and_b32 s27, vcc_lo, exec_lo
	s_or_b32 s12, s12, s27
	s_or_b32 exec_lo, exec_lo, s28
	s_and_saveexec_b32 s27, s12
	s_cbranch_execnz .LBB4_1689
	s_branch .LBB4_1690
.LBB4_1984:                             ;   in Loop: Header=BB4_1437 Depth=2
	s_mov_b32 s12, -1
	s_mov_b32 s29, exec_lo
                                        ; implicit-def: $sgpr27
	v_cmpx_eq_u16_e32 0x80, v118
; %bb.1985:                             ;   in Loop: Header=BB4_1437 Depth=2
	s_mov_b32 s27, 0x7f800001
	s_xor_b32 s12, exec_lo, -1
; %bb.1986:                             ;   in Loop: Header=BB4_1437 Depth=2
	s_or_b32 exec_lo, exec_lo, s29
	s_delay_alu instid0(SALU_CYCLE_1)
	s_and_b32 s12, s12, exec_lo
	s_or_saveexec_b32 s28, s28
	v_mov_b32_e32 v130, s27
	s_xor_b32 exec_lo, exec_lo, s28
	s_cbranch_execz .LBB4_1692
.LBB4_1987:                             ;   in Loop: Header=BB4_1437 Depth=2
	v_cmp_ne_u16_e32 vcc_lo, 0, v118
	v_mov_b32_e32 v130, 0
	s_and_not1_b32 s12, s12, exec_lo
	s_and_b32 s27, vcc_lo, exec_lo
	s_delay_alu instid0(SALU_CYCLE_1)
	s_or_b32 s12, s12, s27
	s_or_b32 exec_lo, exec_lo, s28
	s_and_saveexec_b32 s27, s12
	s_cbranch_execnz .LBB4_1693
	s_branch .LBB4_1694
.LBB4_1988:                             ;   in Loop: Header=BB4_1437 Depth=2
	s_mov_b32 s12, -1
	s_mov_b32 s29, exec_lo
                                        ; implicit-def: $sgpr27
	v_cmpx_eq_u16_e32 0x80, v118
; %bb.1989:                             ;   in Loop: Header=BB4_1437 Depth=2
	s_mov_b32 s27, 0x7f800001
	s_xor_b32 s12, exec_lo, -1
; %bb.1990:                             ;   in Loop: Header=BB4_1437 Depth=2
	s_or_b32 exec_lo, exec_lo, s29
	s_delay_alu instid0(SALU_CYCLE_1)
	s_and_b32 s12, s12, exec_lo
                                        ; implicit-def: $vgpr118
	s_or_saveexec_b32 s28, s28
	v_mov_b32_e32 v117, s27
	s_xor_b32 exec_lo, exec_lo, s28
	s_cbranch_execz .LBB4_1704
.LBB4_1991:                             ;   in Loop: Header=BB4_1437 Depth=2
	v_cmp_ne_u16_e32 vcc_lo, 0, v118
	v_mov_b32_e32 v117, 0
	s_and_not1_b32 s12, s12, exec_lo
	s_and_b32 s27, vcc_lo, exec_lo
	s_delay_alu instid0(SALU_CYCLE_1)
	s_or_b32 s12, s12, s27
	s_or_b32 exec_lo, exec_lo, s28
	s_and_saveexec_b32 s27, s12
	s_cbranch_execnz .LBB4_1705
	s_branch .LBB4_1706
.LBB4_1992:                             ;   in Loop: Header=BB4_1437 Depth=2
	s_mov_b32 s12, -1
	s_mov_b32 s29, exec_lo
                                        ; implicit-def: $sgpr27
	v_cmpx_eq_u16_e64 0x80, v129
; %bb.1993:                             ;   in Loop: Header=BB4_1437 Depth=2
	s_mov_b32 s27, 0x7f800001
	s_xor_b32 s12, exec_lo, -1
; %bb.1994:                             ;   in Loop: Header=BB4_1437 Depth=2
	s_or_b32 exec_lo, exec_lo, s29
	s_delay_alu instid0(SALU_CYCLE_1)
	s_and_b32 s12, s12, exec_lo
                                        ; implicit-def: $vgpr129
	s_or_saveexec_b32 s28, s28
	v_mov_b32_e32 v118, s27
	s_xor_b32 exec_lo, exec_lo, s28
	s_cbranch_execz .LBB4_1708
.LBB4_1995:                             ;   in Loop: Header=BB4_1437 Depth=2
	v_cmp_ne_u16_e64 vcc_lo, 0, v129
	v_mov_b32_e32 v118, 0
	s_and_not1_b32 s12, s12, exec_lo
	s_delay_alu instid0(VALU_DEP_2) | instskip(NEXT) | instid1(SALU_CYCLE_1)
	s_and_b32 s27, vcc_lo, exec_lo
	s_or_b32 s12, s12, s27
	s_or_b32 exec_lo, exec_lo, s28
	s_and_saveexec_b32 s27, s12
	s_cbranch_execnz .LBB4_1709
	s_branch .LBB4_1710
.LBB4_1996:                             ;   in Loop: Header=BB4_1437 Depth=2
	s_mov_b32 s12, -1
	s_mov_b32 s29, exec_lo
                                        ; implicit-def: $sgpr27
	v_cmpx_eq_u16_e64 0x80, v129
; %bb.1997:                             ;   in Loop: Header=BB4_1437 Depth=2
	s_mov_b32 s27, 0x7f800001
	s_xor_b32 s12, exec_lo, -1
; %bb.1998:                             ;   in Loop: Header=BB4_1437 Depth=2
	s_or_b32 exec_lo, exec_lo, s29
	s_delay_alu instid0(SALU_CYCLE_1)
	s_and_b32 s12, s12, exec_lo
	s_or_saveexec_b32 s28, s28
	v_mov_b32_e32 v118, s27
	s_xor_b32 exec_lo, exec_lo, s28
	s_cbranch_execz .LBB4_1720
.LBB4_1999:                             ;   in Loop: Header=BB4_1437 Depth=2
	v_cmp_ne_u16_e64 vcc_lo, 0, v129
	v_mov_b32_e32 v118, 0
	s_and_not1_b32 s12, s12, exec_lo
	s_delay_alu instid0(VALU_DEP_2) | instskip(NEXT) | instid1(SALU_CYCLE_1)
	s_and_b32 s27, vcc_lo, exec_lo
	s_or_b32 s12, s12, s27
	s_or_b32 exec_lo, exec_lo, s28
	s_and_saveexec_b32 s27, s12
	s_cbranch_execnz .LBB4_1721
	s_branch .LBB4_1722
.LBB4_2000:                             ;   in Loop: Header=BB4_1437 Depth=2
	s_mov_b32 s12, -1
	s_mov_b32 s29, exec_lo
                                        ; implicit-def: $sgpr27
	v_cmpx_eq_u16_e64 0x80, v129
; %bb.2001:                             ;   in Loop: Header=BB4_1437 Depth=2
	s_mov_b32 s27, 0x7f800001
	s_xor_b32 s12, exec_lo, -1
; %bb.2002:                             ;   in Loop: Header=BB4_1437 Depth=2
	s_or_b32 exec_lo, exec_lo, s29
	s_delay_alu instid0(SALU_CYCLE_1)
	s_and_b32 s12, s12, exec_lo
	s_or_saveexec_b32 s28, s28
	v_mov_b32_e32 v130, s27
	s_xor_b32 exec_lo, exec_lo, s28
	s_cbranch_execz .LBB4_1724
.LBB4_2003:                             ;   in Loop: Header=BB4_1437 Depth=2
	v_cmp_ne_u16_e64 vcc_lo, 0, v129
	v_mov_b32_e32 v130, 0
	s_and_not1_b32 s12, s12, exec_lo
	s_delay_alu instid0(VALU_DEP_2) | instskip(NEXT) | instid1(SALU_CYCLE_1)
	s_and_b32 s27, vcc_lo, exec_lo
	s_or_b32 s12, s12, s27
	s_or_b32 exec_lo, exec_lo, s28
	s_and_saveexec_b32 s27, s12
	s_cbranch_execnz .LBB4_1725
	s_branch .LBB4_1726
.LBB4_2004:                             ;   in Loop: Header=BB4_1437 Depth=2
	s_mov_b32 s12, -1
	s_mov_b32 s29, exec_lo
                                        ; implicit-def: $sgpr27
	v_cmpx_eq_u16_e64 0x80, v129
; %bb.2005:                             ;   in Loop: Header=BB4_1437 Depth=2
	s_mov_b32 s27, 0x7f800001
	s_xor_b32 s12, exec_lo, -1
; %bb.2006:                             ;   in Loop: Header=BB4_1437 Depth=2
	s_or_b32 exec_lo, exec_lo, s29
	s_delay_alu instid0(SALU_CYCLE_1)
	s_and_b32 s12, s12, exec_lo
                                        ; implicit-def: $vgpr129
	s_or_saveexec_b32 s28, s28
	v_mov_b32_e32 v116, s27
	s_xor_b32 exec_lo, exec_lo, s28
	s_cbranch_execz .LBB4_1736
.LBB4_2007:                             ;   in Loop: Header=BB4_1437 Depth=2
	v_cmp_ne_u16_e64 vcc_lo, 0, v129
	v_mov_b32_e32 v116, 0
	s_and_not1_b32 s12, s12, exec_lo
	s_delay_alu instid0(VALU_DEP_2) | instskip(NEXT) | instid1(SALU_CYCLE_1)
	s_and_b32 s27, vcc_lo, exec_lo
	s_or_b32 s12, s12, s27
	s_or_b32 exec_lo, exec_lo, s28
	v_lshl_or_b32 v119, v119, 16, v128
	s_and_saveexec_b32 s27, s12
	s_cbranch_execnz .LBB4_1737
	s_branch .LBB4_1738
.LBB4_2008:                             ;   in Loop: Header=BB4_1437 Depth=2
	s_mov_b32 s12, -1
	s_mov_b32 s29, exec_lo
                                        ; implicit-def: $sgpr27
	v_cmpx_eq_u16_e64 0x80, v130
; %bb.2009:                             ;   in Loop: Header=BB4_1437 Depth=2
	s_mov_b32 s27, 0x7f800001
	s_xor_b32 s12, exec_lo, -1
; %bb.2010:                             ;   in Loop: Header=BB4_1437 Depth=2
	s_or_b32 exec_lo, exec_lo, s29
	s_delay_alu instid0(SALU_CYCLE_1)
	s_and_b32 s12, s12, exec_lo
                                        ; implicit-def: $vgpr130
	s_or_saveexec_b32 s28, s28
	v_mov_b32_e32 v129, s27
	s_xor_b32 exec_lo, exec_lo, s28
	s_cbranch_execz .LBB4_1740
.LBB4_2011:                             ;   in Loop: Header=BB4_1437 Depth=2
	v_cmp_ne_u16_e64 vcc_lo, 0, v130
	v_mov_b32_e32 v129, 0
	s_and_not1_b32 s12, s12, exec_lo
	s_delay_alu instid0(VALU_DEP_2) | instskip(NEXT) | instid1(SALU_CYCLE_1)
	s_and_b32 s27, vcc_lo, exec_lo
	s_or_b32 s12, s12, s27
	s_or_b32 exec_lo, exec_lo, s28
	s_and_saveexec_b32 s27, s12
	s_cbranch_execnz .LBB4_1741
	s_branch .LBB4_1742
.LBB4_2012:                             ;   in Loop: Header=BB4_1437 Depth=2
	s_mov_b32 s12, -1
	s_mov_b32 s29, exec_lo
                                        ; implicit-def: $sgpr27
	v_cmpx_eq_u16_e64 0x80, v129
; %bb.2013:                             ;   in Loop: Header=BB4_1437 Depth=2
	s_mov_b32 s27, 0x7f800001
	s_xor_b32 s12, exec_lo, -1
; %bb.2014:                             ;   in Loop: Header=BB4_1437 Depth=2
	s_or_b32 exec_lo, exec_lo, s29
	s_delay_alu instid0(SALU_CYCLE_1)
	s_and_b32 s12, s12, exec_lo
	s_or_saveexec_b32 s28, s28
	v_mov_b32_e32 v128, s27
	s_xor_b32 exec_lo, exec_lo, s28
	s_cbranch_execz .LBB4_1752
.LBB4_2015:                             ;   in Loop: Header=BB4_1437 Depth=2
	v_cmp_ne_u16_e64 vcc_lo, 0, v129
	v_mov_b32_e32 v128, 0
	s_and_not1_b32 s12, s12, exec_lo
	s_delay_alu instid0(VALU_DEP_2) | instskip(NEXT) | instid1(SALU_CYCLE_1)
	s_and_b32 s27, vcc_lo, exec_lo
	s_or_b32 s12, s12, s27
	s_or_b32 exec_lo, exec_lo, s28
	s_and_saveexec_b32 s27, s12
	s_cbranch_execnz .LBB4_1753
	s_branch .LBB4_1754
.LBB4_2016:                             ;   in Loop: Header=BB4_1437 Depth=2
	s_mov_b32 s12, -1
	s_mov_b32 s29, exec_lo
                                        ; implicit-def: $sgpr27
	v_cmpx_eq_u16_e32 0x80, v119
; %bb.2017:                             ;   in Loop: Header=BB4_1437 Depth=2
	s_mov_b32 s27, 0x7f800001
	s_xor_b32 s12, exec_lo, -1
; %bb.2018:                             ;   in Loop: Header=BB4_1437 Depth=2
	s_or_b32 exec_lo, exec_lo, s29
	s_delay_alu instid0(SALU_CYCLE_1)
	s_and_b32 s12, s12, exec_lo
	s_or_saveexec_b32 s28, s28
	v_mov_b32_e32 v129, s27
	s_xor_b32 exec_lo, exec_lo, s28
	s_cbranch_execz .LBB4_1756
.LBB4_2019:                             ;   in Loop: Header=BB4_1437 Depth=2
	v_cmp_ne_u16_e32 vcc_lo, 0, v119
	v_mov_b32_e32 v129, 0
	s_and_not1_b32 s12, s12, exec_lo
	s_and_b32 s27, vcc_lo, exec_lo
	s_delay_alu instid0(SALU_CYCLE_1)
	s_or_b32 s12, s12, s27
	s_or_b32 exec_lo, exec_lo, s28
	s_and_saveexec_b32 s27, s12
	s_cbranch_execnz .LBB4_1757
	s_branch .LBB4_1758
.LBB4_2020:                             ;   in Loop: Header=BB4_1437 Depth=2
	s_mov_b32 s12, -1
	s_mov_b32 s29, exec_lo
                                        ; implicit-def: $sgpr27
	v_cmpx_eq_u16_e64 0x80, v128
; %bb.2021:                             ;   in Loop: Header=BB4_1437 Depth=2
	s_mov_b32 s27, 0x7f800001
	s_xor_b32 s12, exec_lo, -1
; %bb.2022:                             ;   in Loop: Header=BB4_1437 Depth=2
	s_or_b32 exec_lo, exec_lo, s29
	s_delay_alu instid0(SALU_CYCLE_1)
	s_and_b32 s12, s12, exec_lo
                                        ; implicit-def: $vgpr128
	s_or_saveexec_b32 s28, s28
	v_mov_b32_e32 v119, s27
	s_xor_b32 exec_lo, exec_lo, s28
	s_cbranch_execz .LBB4_1768
.LBB4_2023:                             ;   in Loop: Header=BB4_1437 Depth=2
	v_cmp_ne_u16_e64 vcc_lo, 0, v128
	v_mov_b32_e32 v119, 0
	s_and_not1_b32 s12, s12, exec_lo
	s_delay_alu instid0(VALU_DEP_2) | instskip(NEXT) | instid1(SALU_CYCLE_1)
	s_and_b32 s27, vcc_lo, exec_lo
	s_or_b32 s12, s12, s27
	s_or_b32 exec_lo, exec_lo, s28
	s_and_saveexec_b32 s27, s12
	s_cbranch_execnz .LBB4_1769
	s_branch .LBB4_1770
.LBB4_2024:                             ;   in Loop: Header=BB4_1437 Depth=2
	s_mov_b32 s12, -1
	s_mov_b32 s29, exec_lo
                                        ; implicit-def: $sgpr27
	v_cmpx_eq_u16_e64 0x80, v128
; %bb.2025:                             ;   in Loop: Header=BB4_1437 Depth=2
	s_mov_b32 s27, 0x7f800001
	s_xor_b32 s12, exec_lo, -1
; %bb.2026:                             ;   in Loop: Header=BB4_1437 Depth=2
	s_or_b32 exec_lo, exec_lo, s29
	s_delay_alu instid0(SALU_CYCLE_1)
	s_and_b32 s12, s12, exec_lo
                                        ; implicit-def: $vgpr128
	s_or_saveexec_b32 s28, s28
	v_mov_b32_e32 v114, s27
	s_xor_b32 exec_lo, exec_lo, s28
	s_cbranch_execz .LBB4_1772
.LBB4_2027:                             ;   in Loop: Header=BB4_1437 Depth=2
	v_cmp_ne_u16_e64 vcc_lo, 0, v128
	v_mov_b32_e32 v114, 0
	s_and_not1_b32 s12, s12, exec_lo
	s_delay_alu instid0(VALU_DEP_2) | instskip(NEXT) | instid1(SALU_CYCLE_1)
	s_and_b32 s27, vcc_lo, exec_lo
	s_or_b32 s12, s12, s27
	s_or_b32 exec_lo, exec_lo, s28
	s_and_saveexec_b32 s27, s12
	s_cbranch_execnz .LBB4_1773
	s_branch .LBB4_1774
.LBB4_2028:                             ;   in Loop: Header=BB4_1437 Depth=2
	s_mov_b32 s12, -1
	s_mov_b32 s29, exec_lo
                                        ; implicit-def: $sgpr27
	v_cmpx_eq_u16_e64 0x80, v128
; %bb.2029:                             ;   in Loop: Header=BB4_1437 Depth=2
	s_mov_b32 s27, 0x7f800001
	s_xor_b32 s12, exec_lo, -1
; %bb.2030:                             ;   in Loop: Header=BB4_1437 Depth=2
	s_or_b32 exec_lo, exec_lo, s29
	s_delay_alu instid0(SALU_CYCLE_1)
	s_and_b32 s12, s12, exec_lo
                                        ; implicit-def: $vgpr128
	s_or_saveexec_b32 s28, s28
	v_mov_b32_e32 v119, s27
	s_xor_b32 exec_lo, exec_lo, s28
	s_cbranch_execz .LBB4_1784
.LBB4_2031:                             ;   in Loop: Header=BB4_1437 Depth=2
	v_cmp_ne_u16_e64 vcc_lo, 0, v128
	v_mov_b32_e32 v119, 0
	s_and_not1_b32 s12, s12, exec_lo
	s_delay_alu instid0(VALU_DEP_2) | instskip(NEXT) | instid1(SALU_CYCLE_1)
	s_and_b32 s27, vcc_lo, exec_lo
	s_or_b32 s12, s12, s27
	s_or_b32 exec_lo, exec_lo, s28
	s_and_saveexec_b32 s27, s12
	s_cbranch_execnz .LBB4_1785
	s_branch .LBB4_1786
.LBB4_2032:                             ;   in Loop: Header=BB4_1437 Depth=2
	s_mov_b32 s12, -1
	s_mov_b32 s29, exec_lo
                                        ; implicit-def: $sgpr27
	v_cmpx_eq_u16_e32 0x80, v112
; %bb.2033:                             ;   in Loop: Header=BB4_1437 Depth=2
	s_mov_b32 s27, 0x7f800001
	s_xor_b32 s12, exec_lo, -1
; %bb.2034:                             ;   in Loop: Header=BB4_1437 Depth=2
	s_or_b32 exec_lo, exec_lo, s29
	s_delay_alu instid0(SALU_CYCLE_1)
	s_and_b32 s12, s12, exec_lo
	s_or_saveexec_b32 s28, s28
	v_mov_b32_e32 v128, s27
	s_xor_b32 exec_lo, exec_lo, s28
	s_cbranch_execz .LBB4_1788
.LBB4_2035:                             ;   in Loop: Header=BB4_1437 Depth=2
	v_cmp_ne_u16_e32 vcc_lo, 0, v112
	v_mov_b32_e32 v128, 0
	s_and_not1_b32 s12, s12, exec_lo
	s_and_b32 s27, vcc_lo, exec_lo
	s_delay_alu instid0(SALU_CYCLE_1)
	s_or_b32 s12, s12, s27
	s_or_b32 exec_lo, exec_lo, s28
	s_and_saveexec_b32 s27, s12
	s_cbranch_execnz .LBB4_1789
	s_branch .LBB4_1790
.LBB4_2036:                             ;   in Loop: Header=BB4_1437 Depth=2
	s_mov_b32 s12, -1
	s_mov_b32 s29, exec_lo
                                        ; implicit-def: $sgpr27
	v_cmpx_eq_u16_e64 0x80, v128
; %bb.2037:                             ;   in Loop: Header=BB4_1437 Depth=2
	s_mov_b32 s27, 0x7f800001
	s_xor_b32 s12, exec_lo, -1
; %bb.2038:                             ;   in Loop: Header=BB4_1437 Depth=2
	s_or_b32 exec_lo, exec_lo, s29
	s_delay_alu instid0(SALU_CYCLE_1)
	s_and_b32 s12, s12, exec_lo
                                        ; implicit-def: $vgpr128
	s_or_saveexec_b32 s28, s28
	v_mov_b32_e32 v119, s27
	s_xor_b32 exec_lo, exec_lo, s28
	s_cbranch_execz .LBB4_1800
.LBB4_2039:                             ;   in Loop: Header=BB4_1437 Depth=2
	v_cmp_ne_u16_e64 vcc_lo, 0, v128
	v_mov_b32_e32 v119, 0
	s_and_not1_b32 s12, s12, exec_lo
	s_delay_alu instid0(VALU_DEP_2) | instskip(NEXT) | instid1(SALU_CYCLE_1)
	s_and_b32 s27, vcc_lo, exec_lo
	s_or_b32 s12, s12, s27
	s_or_b32 exec_lo, exec_lo, s28
	s_and_saveexec_b32 s27, s12
	s_cbranch_execnz .LBB4_1801
	s_branch .LBB4_1802
.LBB4_2040:                             ;   in Loop: Header=BB4_1437 Depth=2
	s_mov_b32 s12, -1
	s_mov_b32 s29, exec_lo
                                        ; implicit-def: $sgpr27
	v_cmpx_eq_u16_e64 0x80, v129
; %bb.2041:                             ;   in Loop: Header=BB4_1437 Depth=2
	s_mov_b32 s27, 0x7f800001
	s_xor_b32 s12, exec_lo, -1
; %bb.2042:                             ;   in Loop: Header=BB4_1437 Depth=2
	s_or_b32 exec_lo, exec_lo, s29
	s_delay_alu instid0(SALU_CYCLE_1)
	s_and_b32 s12, s12, exec_lo
                                        ; implicit-def: $vgpr129
	s_or_saveexec_b32 s28, s28
	v_mov_b32_e32 v128, s27
	s_xor_b32 exec_lo, exec_lo, s28
	s_cbranch_execz .LBB4_1804
.LBB4_2043:                             ;   in Loop: Header=BB4_1437 Depth=2
	v_cmp_ne_u16_e64 vcc_lo, 0, v129
	v_mov_b32_e32 v128, 0
	s_and_not1_b32 s12, s12, exec_lo
	s_delay_alu instid0(VALU_DEP_2) | instskip(NEXT) | instid1(SALU_CYCLE_1)
	s_and_b32 s27, vcc_lo, exec_lo
	s_or_b32 s12, s12, s27
	s_or_b32 exec_lo, exec_lo, s28
	s_and_saveexec_b32 s27, s12
	s_cbranch_execnz .LBB4_1805
	s_branch .LBB4_1806
.LBB4_2044:                             ;   in Loop: Header=BB4_1437 Depth=2
	s_mov_b32 s12, -1
	s_mov_b32 s29, exec_lo
                                        ; implicit-def: $sgpr27
	v_cmpx_eq_u16_e64 0x80, v128
; %bb.2045:                             ;   in Loop: Header=BB4_1437 Depth=2
	s_mov_b32 s27, 0x7f800001
	s_xor_b32 s12, exec_lo, -1
; %bb.2046:                             ;   in Loop: Header=BB4_1437 Depth=2
	s_or_b32 exec_lo, exec_lo, s29
	s_delay_alu instid0(SALU_CYCLE_1)
	s_and_b32 s12, s12, exec_lo
	s_or_saveexec_b32 s28, s28
	v_mov_b32_e32 v119, s27
	s_xor_b32 exec_lo, exec_lo, s28
	s_cbranch_execz .LBB4_1816
.LBB4_2047:                             ;   in Loop: Header=BB4_1437 Depth=2
	v_cmp_ne_u16_e64 vcc_lo, 0, v128
	v_mov_b32_e32 v119, 0
	s_and_not1_b32 s12, s12, exec_lo
	s_delay_alu instid0(VALU_DEP_2) | instskip(NEXT) | instid1(SALU_CYCLE_1)
	s_and_b32 s27, vcc_lo, exec_lo
	s_or_b32 s12, s12, s27
	s_or_b32 exec_lo, exec_lo, s28
	s_and_saveexec_b32 s27, s12
	s_cbranch_execnz .LBB4_1817
	s_branch .LBB4_1818
.LBB4_2048:                             ;   in Loop: Header=BB4_1437 Depth=2
	s_mov_b32 s12, -1
	s_mov_b32 s29, exec_lo
                                        ; implicit-def: $sgpr27
	v_cmpx_eq_u16_e32 0x80, v100
; %bb.2049:                             ;   in Loop: Header=BB4_1437 Depth=2
	s_mov_b32 s27, 0x7f800001
	s_xor_b32 s12, exec_lo, -1
; %bb.2050:                             ;   in Loop: Header=BB4_1437 Depth=2
	s_or_b32 exec_lo, exec_lo, s29
	s_delay_alu instid0(SALU_CYCLE_1)
	s_and_b32 s12, s12, exec_lo
	s_or_saveexec_b32 s28, s28
	v_mov_b32_e32 v128, s27
	s_xor_b32 exec_lo, exec_lo, s28
	s_cbranch_execz .LBB4_1820
.LBB4_2051:                             ;   in Loop: Header=BB4_1437 Depth=2
	v_cmp_ne_u16_e32 vcc_lo, 0, v100
	v_mov_b32_e32 v128, 0
	s_and_not1_b32 s12, s12, exec_lo
	s_and_b32 s27, vcc_lo, exec_lo
	s_delay_alu instid0(SALU_CYCLE_1)
	s_or_b32 s12, s12, s27
	s_or_b32 exec_lo, exec_lo, s28
	s_and_saveexec_b32 s27, s12
	s_cbranch_execnz .LBB4_1821
	s_branch .LBB4_1822
.LBB4_2052:                             ;   in Loop: Header=BB4_1437 Depth=2
	s_mov_b32 s12, -1
	s_mov_b32 s29, exec_lo
                                        ; implicit-def: $sgpr27
	v_cmpx_eq_u16_e32 0x80, v113
; %bb.2053:                             ;   in Loop: Header=BB4_1437 Depth=2
	s_mov_b32 s27, 0x7f800001
	s_xor_b32 s12, exec_lo, -1
; %bb.2054:                             ;   in Loop: Header=BB4_1437 Depth=2
	s_or_b32 exec_lo, exec_lo, s29
	s_delay_alu instid0(SALU_CYCLE_1)
	s_and_b32 s12, s12, exec_lo
                                        ; implicit-def: $vgpr113
	s_or_saveexec_b32 s28, s28
	v_mov_b32_e32 v99, s27
	s_xor_b32 exec_lo, exec_lo, s28
	s_cbranch_execz .LBB4_1832
.LBB4_2055:                             ;   in Loop: Header=BB4_1437 Depth=2
	v_cmp_ne_u16_e32 vcc_lo, 0, v113
	v_mov_b32_e32 v99, 0
	s_and_not1_b32 s12, s12, exec_lo
	s_and_b32 s27, vcc_lo, exec_lo
	s_delay_alu instid0(SALU_CYCLE_1)
	s_or_b32 s12, s12, s27
	s_or_b32 exec_lo, exec_lo, s28
	s_and_saveexec_b32 s27, s12
	s_cbranch_execnz .LBB4_1833
	s_branch .LBB4_1834
.LBB4_2056:                             ;   in Loop: Header=BB4_1437 Depth=2
	s_mov_b32 s12, -1
	s_mov_b32 s29, exec_lo
                                        ; implicit-def: $sgpr27
	v_cmpx_eq_u16_e32 0x80, v119
; %bb.2057:                             ;   in Loop: Header=BB4_1437 Depth=2
	s_mov_b32 s27, 0x7f800001
	s_xor_b32 s12, exec_lo, -1
; %bb.2058:                             ;   in Loop: Header=BB4_1437 Depth=2
	s_or_b32 exec_lo, exec_lo, s29
	s_delay_alu instid0(SALU_CYCLE_1)
	s_and_b32 s12, s12, exec_lo
                                        ; implicit-def: $vgpr119
	s_or_saveexec_b32 s28, s28
	v_mov_b32_e32 v113, s27
	s_xor_b32 exec_lo, exec_lo, s28
	s_cbranch_execz .LBB4_1836
.LBB4_2059:                             ;   in Loop: Header=BB4_1437 Depth=2
	v_cmp_ne_u16_e32 vcc_lo, 0, v119
	v_mov_b32_e32 v113, 0
	s_and_not1_b32 s12, s12, exec_lo
	s_and_b32 s27, vcc_lo, exec_lo
	s_delay_alu instid0(SALU_CYCLE_1)
	s_or_b32 s12, s12, s27
	s_or_b32 exec_lo, exec_lo, s28
	s_and_saveexec_b32 s27, s12
	s_cbranch_execnz .LBB4_1837
	s_branch .LBB4_1838
.LBB4_2060:                             ;   in Loop: Header=BB4_1437 Depth=2
	s_mov_b32 s12, -1
	s_mov_b32 s29, exec_lo
                                        ; implicit-def: $sgpr27
	v_cmpx_eq_u16_e32 0x80, v119
; %bb.2061:                             ;   in Loop: Header=BB4_1437 Depth=2
	s_mov_b32 s27, 0x7f800001
	s_xor_b32 s12, exec_lo, -1
; %bb.2062:                             ;   in Loop: Header=BB4_1437 Depth=2
	s_or_b32 exec_lo, exec_lo, s29
	s_delay_alu instid0(SALU_CYCLE_1)
	s_and_b32 s12, s12, exec_lo
	s_or_saveexec_b32 s28, s28
	v_mov_b32_e32 v113, s27
	s_xor_b32 exec_lo, exec_lo, s28
	s_cbranch_execz .LBB4_1848
.LBB4_2063:                             ;   in Loop: Header=BB4_1437 Depth=2
	v_cmp_ne_u16_e32 vcc_lo, 0, v119
	v_mov_b32_e32 v113, 0
	s_and_not1_b32 s12, s12, exec_lo
	s_and_b32 s27, vcc_lo, exec_lo
	s_delay_alu instid0(SALU_CYCLE_1)
	s_or_b32 s12, s12, s27
	s_or_b32 exec_lo, exec_lo, s28
	s_and_saveexec_b32 s27, s12
	s_cbranch_execnz .LBB4_1849
	s_branch .LBB4_1850
.LBB4_2064:                             ;   in Loop: Header=BB4_1437 Depth=2
	s_mov_b32 s12, -1
	s_mov_b32 s29, exec_lo
                                        ; implicit-def: $sgpr27
	v_cmpx_eq_u16_e32 0x80, v119
; %bb.2065:                             ;   in Loop: Header=BB4_1437 Depth=2
	s_mov_b32 s27, 0x7f800001
	s_xor_b32 s12, exec_lo, -1
; %bb.2066:                             ;   in Loop: Header=BB4_1437 Depth=2
	s_or_b32 exec_lo, exec_lo, s29
	s_delay_alu instid0(SALU_CYCLE_1)
	s_and_b32 s12, s12, exec_lo
	s_or_saveexec_b32 s28, s28
	v_mov_b32_e32 v128, s27
	s_xor_b32 exec_lo, exec_lo, s28
	s_cbranch_execz .LBB4_1852
.LBB4_2067:                             ;   in Loop: Header=BB4_1437 Depth=2
	v_cmp_ne_u16_e32 vcc_lo, 0, v119
	v_mov_b32_e32 v128, 0
	s_and_not1_b32 s12, s12, exec_lo
	s_and_b32 s27, vcc_lo, exec_lo
	s_delay_alu instid0(SALU_CYCLE_1)
	s_or_b32 s12, s12, s27
	s_or_b32 exec_lo, exec_lo, s28
	s_and_saveexec_b32 s27, s12
	s_cbranch_execnz .LBB4_1853
	s_branch .LBB4_1854
.LBB4_2068:                             ;   in Loop: Header=BB4_1437 Depth=2
	s_mov_b32 s12, -1
	s_mov_b32 s29, exec_lo
                                        ; implicit-def: $sgpr27
	v_cmpx_eq_u16_e32 0x80, v119
; %bb.2069:                             ;   in Loop: Header=BB4_1437 Depth=2
	s_mov_b32 s27, 0x7f800001
	s_xor_b32 s12, exec_lo, -1
; %bb.2070:                             ;   in Loop: Header=BB4_1437 Depth=2
	s_or_b32 exec_lo, exec_lo, s29
	s_delay_alu instid0(SALU_CYCLE_1)
	s_and_b32 s12, s12, exec_lo
                                        ; implicit-def: $vgpr119
	s_or_saveexec_b32 s28, s28
	v_mov_b32_e32 v98, s27
	s_xor_b32 exec_lo, exec_lo, s28
	s_cbranch_execz .LBB4_1864
.LBB4_2071:                             ;   in Loop: Header=BB4_1437 Depth=2
	v_cmp_ne_u16_e32 vcc_lo, 0, v119
	v_mov_b32_e32 v98, 0
	s_and_not1_b32 s12, s12, exec_lo
	s_and_b32 s27, vcc_lo, exec_lo
	s_delay_alu instid0(SALU_CYCLE_1)
	s_or_b32 s12, s12, s27
	s_or_b32 exec_lo, exec_lo, s28
	v_lshl_or_b32 v100, v102, 16, v100
	s_and_saveexec_b32 s27, s12
	s_cbranch_execnz .LBB4_1865
	s_branch .LBB4_1866
.LBB4_2072:                             ;   in Loop: Header=BB4_1437 Depth=2
	s_mov_b32 s12, -1
	s_mov_b32 s29, exec_lo
                                        ; implicit-def: $sgpr27
	v_cmpx_eq_u16_e64 0x80, v128
; %bb.2073:                             ;   in Loop: Header=BB4_1437 Depth=2
	s_mov_b32 s27, 0x7f800001
	s_xor_b32 s12, exec_lo, -1
; %bb.2074:                             ;   in Loop: Header=BB4_1437 Depth=2
	s_or_b32 exec_lo, exec_lo, s29
	s_delay_alu instid0(SALU_CYCLE_1)
	s_and_b32 s12, s12, exec_lo
                                        ; implicit-def: $vgpr128
	s_or_saveexec_b32 s28, s28
	v_mov_b32_e32 v119, s27
	s_xor_b32 exec_lo, exec_lo, s28
	s_cbranch_execz .LBB4_1868
.LBB4_2075:                             ;   in Loop: Header=BB4_1437 Depth=2
	v_cmp_ne_u16_e64 vcc_lo, 0, v128
	v_mov_b32_e32 v119, 0
	s_and_not1_b32 s12, s12, exec_lo
	s_delay_alu instid0(VALU_DEP_2) | instskip(NEXT) | instid1(SALU_CYCLE_1)
	s_and_b32 s27, vcc_lo, exec_lo
	s_or_b32 s12, s12, s27
	s_or_b32 exec_lo, exec_lo, s28
	s_and_saveexec_b32 s27, s12
	s_cbranch_execnz .LBB4_1869
	s_branch .LBB4_1870
.LBB4_2076:                             ;   in Loop: Header=BB4_1437 Depth=2
	s_mov_b32 s12, -1
	s_mov_b32 s29, exec_lo
                                        ; implicit-def: $sgpr27
	v_cmpx_eq_u16_e32 0x80, v119
; %bb.2077:                             ;   in Loop: Header=BB4_1437 Depth=2
	s_mov_b32 s27, 0x7f800001
	s_xor_b32 s12, exec_lo, -1
; %bb.2078:                             ;   in Loop: Header=BB4_1437 Depth=2
	s_or_b32 exec_lo, exec_lo, s29
	s_delay_alu instid0(SALU_CYCLE_1)
	s_and_b32 s12, s12, exec_lo
	s_or_saveexec_b32 s28, s28
	v_mov_b32_e32 v102, s27
	s_xor_b32 exec_lo, exec_lo, s28
	s_cbranch_execz .LBB4_1880
.LBB4_2079:                             ;   in Loop: Header=BB4_1437 Depth=2
	v_cmp_ne_u16_e32 vcc_lo, 0, v119
	v_mov_b32_e32 v102, 0
	s_and_not1_b32 s12, s12, exec_lo
	s_and_b32 s27, vcc_lo, exec_lo
	s_delay_alu instid0(SALU_CYCLE_1)
	s_or_b32 s12, s12, s27
	s_or_b32 exec_lo, exec_lo, s28
	s_and_saveexec_b32 s27, s12
	s_cbranch_execnz .LBB4_1881
	s_branch .LBB4_1882
.LBB4_2080:                             ;   in Loop: Header=BB4_1437 Depth=2
	s_mov_b32 s12, -1
	s_mov_b32 s29, exec_lo
                                        ; implicit-def: $sgpr27
	v_cmpx_eq_u16_e32 0x80, v100
; %bb.2081:                             ;   in Loop: Header=BB4_1437 Depth=2
	s_mov_b32 s27, 0x7f800001
	s_xor_b32 s12, exec_lo, -1
; %bb.2082:                             ;   in Loop: Header=BB4_1437 Depth=2
	s_or_b32 exec_lo, exec_lo, s29
	s_delay_alu instid0(SALU_CYCLE_1)
	s_and_b32 s12, s12, exec_lo
	s_or_saveexec_b32 s28, s28
	v_mov_b32_e32 v119, s27
	s_xor_b32 exec_lo, exec_lo, s28
	s_cbranch_execz .LBB4_1884
.LBB4_2083:                             ;   in Loop: Header=BB4_1437 Depth=2
	v_cmp_ne_u16_e32 vcc_lo, 0, v100
	v_mov_b32_e32 v119, 0
	s_and_not1_b32 s12, s12, exec_lo
	s_and_b32 s27, vcc_lo, exec_lo
	s_delay_alu instid0(SALU_CYCLE_1)
	s_or_b32 s12, s12, s27
	s_or_b32 exec_lo, exec_lo, s28
	s_and_saveexec_b32 s27, s12
	s_cbranch_execnz .LBB4_1885
	s_branch .LBB4_1886
.LBB4_2084:                             ;   in Loop: Header=BB4_53 Depth=1
	s_or_b32 exec_lo, exec_lo, s25
.LBB4_2085:                             ;   in Loop: Header=BB4_53 Depth=1
	s_delay_alu instid0(SALU_CYCLE_1) | instskip(SKIP_3) | instid1(VALU_DEP_1)
	s_or_b32 exec_lo, exec_lo, s24
	v_dual_mov_b32 v50, 0 :: v_dual_and_b32 v11, 15, v36
	s_mov_b32 s12, 0
	s_mov_b32 s24, exec_lo
                                        ; implicit-def: $vgpr52
                                        ; implicit-def: $vgpr10
	v_cndmask_b32_e64 v51, v54, v11, s11
	s_delay_alu instid0(VALU_DEP_1)
	v_cmpx_ne_u32_e32 0, v51
	s_cbranch_execz .LBB4_2087
; %bb.2086:                             ;   in Loop: Header=BB4_53 Depth=1
	v_cmp_lt_i32_e32 vcc_lo, 0, v55
	v_sub_nc_u32_e32 v11, v54, v11
	v_and_b32_e32 v12, 0x3ffffe00, v36
	s_mov_b32 s12, exec_lo
	v_cndmask_b32_e32 v10, 0, v67, vcc_lo
	s_delay_alu instid0(VALU_DEP_3) | instskip(NEXT) | instid1(VALU_DEP_2)
	v_cndmask_b32_e64 v11, 0, v11, s11
	v_sub_nc_u32_e32 v10, v10, v55
	s_delay_alu instid0(VALU_DEP_2) | instskip(NEXT) | instid1(VALU_DEP_2)
	v_add_nc_u32_e32 v50, v11, v12
	v_lshl_add_u32 v52, v10, 5, v53
	s_delay_alu instid0(VALU_DEP_1) | instskip(NEXT) | instid1(VALU_DEP_1)
	v_ashrrev_i32_e32 v10, 31, v52
	v_lshrrev_b32_e32 v10, 27, v10
	s_delay_alu instid0(VALU_DEP_1) | instskip(NEXT) | instid1(VALU_DEP_1)
	v_add_nc_u32_e32 v10, v52, v10
	v_ashrrev_i32_e32 v10, 5, v10
.LBB4_2087:                             ;   in Loop: Header=BB4_53 Depth=1
	s_or_b32 exec_lo, exec_lo, s24
	s_delay_alu instid0(SALU_CYCLE_1)
	s_and_b32 s11, s12, exec_lo
.LBB4_2088:                             ;   in Loop: Header=BB4_53 Depth=1
	s_or_b32 exec_lo, exec_lo, s23
.LBB4_2089:                             ;   in Loop: Header=BB4_53 Depth=1
	s_and_saveexec_b32 s12, s11
	s_cbranch_execz .LBB4_2800
; %bb.2090:                             ;   in Loop: Header=BB4_53 Depth=1
	s_delay_alu instid0(VALU_DEP_1) | instskip(SKIP_1) | instid1(VALU_DEP_1)
	v_ashrrev_i32_e32 v11, 31, v51
	s_mov_b32 s23, exec_lo
	v_lshrrev_b32_e32 v11, 23, v11
	s_delay_alu instid0(VALU_DEP_1) | instskip(NEXT) | instid1(VALU_DEP_1)
	v_add_nc_u32_e32 v11, v51, v11
	v_ashrrev_i32_e32 v54, 9, v11
	s_delay_alu instid0(VALU_DEP_1) | instskip(NEXT) | instid1(VALU_DEP_1)
	v_sub_nc_u32_e32 v53, v54, v10
	v_cmpx_lt_i32_e32 0, v53
	s_cbranch_execz .LBB4_2745
; %bb.2091:                             ;   in Loop: Header=BB4_53 Depth=1
	s_cbranch_execz .LBB4_2092
; %bb.7887:
	s_getpc_b64 s[34:35]
.Lpost_getpc79:
	s_add_u32 s34, s34, (.LBB4_7713-.Lpost_getpc79)&4294967295
	s_addc_u32 s35, s35, (.LBB4_7713-.Lpost_getpc79)>>32
	s_setpc_b64 s[34:35]
.LBB4_2092:                             ;   in Loop: Header=BB4_53 Depth=1
	v_ashrrev_i32_e32 v11, 31, v52
	ds_load_b64 v[15:16], v0
	v_lshlrev_b32_e32 v10, 9, v10
	s_mov_b32 s24, 0
	v_lshrrev_b32_e32 v11, 27, v11
	s_delay_alu instid0(VALU_DEP_1) | instskip(NEXT) | instid1(VALU_DEP_1)
	v_add_nc_u32_e32 v11, v52, v11
	v_and_b32_e32 v17, 0xffffffe0, v11
	ds_load_b128 v[11:14], v0
	v_sub_nc_u32_e32 v17, v52, v17
	s_waitcnt lgkmcnt(1)
	v_add_co_u32 v15, vcc_lo, 0x1e0, v15
	v_add_co_ci_u32_e32 v16, vcc_lo, 0, v16, vcc_lo
	s_delay_alu instid0(VALU_DEP_3) | instskip(NEXT) | instid1(VALU_DEP_1)
	v_add3_u32 v17, v50, v17, v10
	v_ashrrev_i32_e32 v55, 31, v17
	s_waitcnt lgkmcnt(0)
	v_add_co_u32 v10, vcc_lo, v11, v17
	s_delay_alu instid0(VALU_DEP_2)
	v_add_co_ci_u32_e32 v11, vcc_lo, v12, v55, vcc_lo
	v_add_co_u32 v12, vcc_lo, v13, v17
	v_add_co_ci_u32_e32 v13, vcc_lo, v14, v55, vcc_lo
	v_add_co_u32 v14, vcc_lo, v15, v17
	v_add_co_ci_u32_e32 v15, vcc_lo, v16, v55, vcc_lo
.LBB4_2093:                             ;   Parent Loop BB4_53 Depth=1
                                        ; =>  This Inner Loop Header: Depth=2
	s_cbranch_execz .LBB4_2094
; %bb.7889:
	s_getpc_b64 s[34:35]
.Lpost_getpc80:
	s_add_u32 s34, s34, (.LBB4_7715-.Lpost_getpc80)&4294967295
	s_addc_u32 s35, s35, (.LBB4_7715-.Lpost_getpc80)>>32
	s_setpc_b64 s[34:35]
.LBB4_2094:                             ;   in Loop: Header=BB4_2093 Depth=2
	ds_load_b64 v[16:17], v0
	s_waitcnt lgkmcnt(0)
	v_and_b32_e32 v17, 0xff, v16
	v_readfirstlane_b32 s11, v16
	s_delay_alu instid0(VALU_DEP_2)
	v_cmp_gt_i16_e32 vcc_lo, 0x80, v17
	s_cbranch_vccnz .LBB4_2098
; %bb.2095:                             ;   in Loop: Header=BB4_2093 Depth=2
	v_cmp_eq_u16_e32 vcc_lo, 0x80, v17
	s_mov_b32 s25, -1
                                        ; implicit-def: $sgpr26
	s_cbranch_vccz .LBB4_2097
; %bb.2096:                             ;   in Loop: Header=BB4_2093 Depth=2
	s_mov_b32 s25, 0
	s_mov_b32 s26, 0x7f800001
.LBB4_2097:                             ;   in Loop: Header=BB4_2093 Depth=2
	s_mov_b32 s27, 0
	s_branch .LBB4_2099
.LBB4_2098:                             ;   in Loop: Header=BB4_2093 Depth=2
	s_mov_b32 s27, -1
	s_mov_b32 s25, 0
                                        ; implicit-def: $sgpr26
.LBB4_2099:                             ;   in Loop: Header=BB4_2093 Depth=2
	s_and_b32 vcc_lo, exec_lo, s27
	s_cbranch_vccz .LBB4_2101
; %bb.2100:                             ;   in Loop: Header=BB4_2093 Depth=2
	v_cmp_ne_u16_e64 s25, 0, v17
	s_mov_b32 s26, 0
.LBB4_2101:                             ;   in Loop: Header=BB4_2093 Depth=2
	s_delay_alu instid0(SALU_CYCLE_1) | instskip(NEXT) | instid1(VALU_DEP_2)
	v_mov_b32_e32 v17, s26
	s_and_not1_b32 vcc_lo, exec_lo, s25
	s_cbranch_vccnz .LBB4_2103
; %bb.2102:                             ;   in Loop: Header=BB4_2093 Depth=2
	s_and_b32 s25, s11, 7
	s_bfe_u32 s27, s11, 0x40003
	s_clz_i32_u32 s26, s25
	v_lshlrev_b32_e32 v16, 24, v16
	s_min_u32 s26, s26, 32
	s_delay_alu instid0(SALU_CYCLE_1)
	s_sub_i32 s28, s26, 28
	s_sub_i32 s26, 29, s26
	s_lshl_b32 s11, s11, s28
	v_and_b32_e32 v16, 0x80000000, v16
	s_and_b32 s11, s11, 7
	s_cmp_eq_u32 s27, 0
	s_cselect_b32 s26, s26, s27
	s_cselect_b32 s11, s11, s25
	s_lshl_b32 s25, s26, 23
	s_lshl_b32 s11, s11, 20
	s_add_i32 s25, s25, 0x3b800000
	s_delay_alu instid0(SALU_CYCLE_1) | instskip(NEXT) | instid1(VALU_DEP_1)
	v_or_b32_e32 v16, s25, v16
	v_or_b32_e32 v17, s11, v16
.LBB4_2103:                             ;   in Loop: Header=BB4_2093 Depth=2
	flat_load_u8 v16, v[10:11] slc dlc
	s_mov_b32 s11, 0
	s_mov_b32 s26, exec_lo
                                        ; implicit-def: $sgpr25
	s_waitcnt vmcnt(0) lgkmcnt(0)
	v_cmpx_lt_i16_e32 0x7f, v16
	s_xor_b32 s26, exec_lo, s26
	s_cbranch_execnz .LBB4_2552
; %bb.2104:                             ;   in Loop: Header=BB4_2093 Depth=2
	s_or_saveexec_b32 s26, s26
	v_mov_b32_e32 v55, s25
	s_xor_b32 exec_lo, exec_lo, s26
	s_cbranch_execnz .LBB4_2555
.LBB4_2105:                             ;   in Loop: Header=BB4_2093 Depth=2
	s_or_b32 exec_lo, exec_lo, s26
	s_and_saveexec_b32 s25, s11
	s_cbranch_execz .LBB4_2107
.LBB4_2106:                             ;   in Loop: Header=BB4_2093 Depth=2
	v_and_b32_e32 v55, 0xffff, v16
	v_lshlrev_b32_e32 v16, 24, v16
	s_delay_alu instid0(VALU_DEP_2) | instskip(NEXT) | instid1(VALU_DEP_2)
	v_and_b32_e32 v96, 7, v55
	v_and_b32_e32 v16, 0x80000000, v16
	s_delay_alu instid0(VALU_DEP_2) | instskip(NEXT) | instid1(VALU_DEP_1)
	v_clz_i32_u32_e32 v97, v96
	v_min_u32_e32 v97, 32, v97
	s_delay_alu instid0(VALU_DEP_1) | instskip(SKIP_1) | instid1(VALU_DEP_2)
	v_subrev_nc_u32_e32 v98, 28, v97
	v_sub_nc_u32_e32 v97, 29, v97
	v_lshlrev_b32_e32 v98, v98, v55
	v_bfe_u32 v55, v55, 3, 4
	s_delay_alu instid0(VALU_DEP_2) | instskip(NEXT) | instid1(VALU_DEP_2)
	v_and_b32_e32 v98, 7, v98
	v_cmp_eq_u32_e32 vcc_lo, 0, v55
	s_delay_alu instid0(VALU_DEP_2) | instskip(NEXT) | instid1(VALU_DEP_1)
	v_dual_cndmask_b32 v55, v55, v97 :: v_dual_cndmask_b32 v96, v96, v98
	v_lshl_add_u32 v55, v55, 23, 0x3b800000
	s_delay_alu instid0(VALU_DEP_2) | instskip(NEXT) | instid1(VALU_DEP_1)
	v_lshlrev_b32_e32 v96, 20, v96
	v_or3_b32 v55, v16, v55, v96
.LBB4_2107:                             ;   in Loop: Header=BB4_2093 Depth=2
	s_or_b32 exec_lo, exec_lo, s25
	s_delay_alu instid0(VALU_DEP_1) | instskip(NEXT) | instid1(VALU_DEP_1)
	v_mul_f32_e32 v16, v17, v55
	v_and_b32_e32 v55, 0x7f800000, v16
	s_delay_alu instid0(VALU_DEP_1)
	v_cmp_ne_u32_e32 vcc_lo, 0x7f800000, v55
	v_mov_b32_e32 v55, 0x80
	s_and_saveexec_b32 s25, vcc_lo
	s_cbranch_execz .LBB4_2115
; %bb.2108:                             ;   in Loop: Header=BB4_2093 Depth=2
	v_mov_b32_e32 v55, 0
	s_mov_b32 s26, exec_lo
	v_cmpx_ne_u32_e32 0, v16
	s_cbranch_execz .LBB4_2114
; %bb.2109:                             ;   in Loop: Header=BB4_2093 Depth=2
	v_bfe_u32 v55, v16, 23, 8
	s_delay_alu instid0(VALU_DEP_1) | instskip(SKIP_1) | instid1(VALU_DEP_2)
	v_sub_nc_u32_e32 v97, 0x78, v55
	v_cmp_gt_u32_e32 vcc_lo, 0x79, v55
	v_dual_cndmask_b32 v97, 0, v97 :: v_dual_and_b32 v96, 0x7fffff, v16
	s_delay_alu instid0(VALU_DEP_1) | instskip(SKIP_2) | instid1(VALU_DEP_4)
	v_or_b32_e32 v98, 0x800000, v96
	v_cmp_eq_u32_e32 vcc_lo, 0, v55
	v_add_nc_u32_e32 v55, 0xffffff89, v55
	v_cndmask_b32_e64 v97, v97, 0x77, vcc_lo
	s_delay_alu instid0(VALU_DEP_4) | instskip(NEXT) | instid1(VALU_DEP_3)
	v_cndmask_b32_e32 v96, v98, v96, vcc_lo
	v_cndmask_b32_e64 v55, v55, 0xffffff8a, vcc_lo
	s_delay_alu instid0(VALU_DEP_3) | instskip(NEXT) | instid1(VALU_DEP_3)
	v_lshl_add_u32 v98, 0x100000, v97, -1
	v_lshrrev_b32_e32 v99, v97, v96
	v_lshlrev_b32_e64 v101, v97, 0x80000
	s_delay_alu instid0(VALU_DEP_4) | instskip(NEXT) | instid1(VALU_DEP_4)
	v_add_nc_u32_e32 v97, v97, v55
	v_and_b32_e32 v96, v98, v96
	s_delay_alu instid0(VALU_DEP_4) | instskip(NEXT) | instid1(VALU_DEP_2)
	v_bfe_u32 v100, v99, 20, 1
	v_cmp_eq_u32_e64 s11, v96, v101
	s_delay_alu instid0(VALU_DEP_2) | instskip(NEXT) | instid1(VALU_DEP_1)
	v_add_nc_u32_e32 v98, -1, v100
	v_cndmask_b32_e64 v96, 0, v98, s11
	v_lshrrev_b32_e32 v98, 23, v99
	s_mov_b32 s11, exec_lo
	s_delay_alu instid0(VALU_DEP_2) | instskip(NEXT) | instid1(VALU_DEP_2)
	v_add_nc_u32_e32 v96, v96, v99
	v_xor_b32_e32 v98, 1, v98
	s_delay_alu instid0(VALU_DEP_2) | instskip(NEXT) | instid1(VALU_DEP_1)
	v_and_b32_e32 v55, 0xfffff, v96
	v_add_nc_u32_e32 v96, v55, v99
                                        ; implicit-def: $vgpr55
	s_delay_alu instid0(VALU_DEP_3)
	v_cmpx_ne_u32_e64 v97, v98
	s_xor_b32 s11, exec_lo, s11
; %bb.2110:                             ;   in Loop: Header=BB4_2093 Depth=2
	s_delay_alu instid0(VALU_DEP_2) | instskip(SKIP_2) | instid1(VALU_DEP_2)
	v_cmp_lt_u32_e32 vcc_lo, 0xffffff, v96
	v_sub_nc_u32_e32 v55, v97, v98
	v_cndmask_b32_e64 v97, 0, 1, vcc_lo
	v_add_co_ci_u32_e32 v55, vcc_lo, 0, v55, vcc_lo
	s_delay_alu instid0(VALU_DEP_2)
	v_lshrrev_b32_e32 v96, v97, v96
; %bb.2111:                             ;   in Loop: Header=BB4_2093 Depth=2
	s_and_not1_saveexec_b32 s11, s11
; %bb.2112:                             ;   in Loop: Header=BB4_2093 Depth=2
	s_delay_alu instid0(VALU_DEP_1)
	v_bfe_u32 v55, v96, 23, 1
; %bb.2113:                             ;   in Loop: Header=BB4_2093 Depth=2
	s_or_b32 exec_lo, exec_lo, s11
	v_lshrrev_b32_e32 v96, 20, v96
	s_delay_alu instid0(VALU_DEP_2) | instskip(SKIP_2) | instid1(VALU_DEP_4)
	v_cmp_gt_i32_e32 vcc_lo, 16, v55
	v_lshrrev_b32_e32 v16, 24, v16
	v_min_i32_e32 v97, 15, v55
	v_cndmask_b32_e32 v96, 7, v96, vcc_lo
	s_delay_alu instid0(VALU_DEP_3) | instskip(NEXT) | instid1(VALU_DEP_3)
	v_and_b32_e32 v16, 0x80, v16
	v_lshlrev_b32_e32 v97, 3, v97
	s_delay_alu instid0(VALU_DEP_3) | instskip(SKIP_1) | instid1(VALU_DEP_2)
	v_and_b32_e32 v98, 7, v96
	v_or_b32_e32 v55, v55, v96
	v_or3_b32 v16, v97, v16, v98
	s_delay_alu instid0(VALU_DEP_2) | instskip(NEXT) | instid1(VALU_DEP_2)
	v_cmp_ne_u32_e32 vcc_lo, 0, v55
	v_cndmask_b32_e32 v55, 0, v16, vcc_lo
.LBB4_2114:                             ;   in Loop: Header=BB4_2093 Depth=2
	s_or_b32 exec_lo, exec_lo, s26
.LBB4_2115:                             ;   in Loop: Header=BB4_2093 Depth=2
	s_delay_alu instid0(SALU_CYCLE_1)
	s_or_b32 exec_lo, exec_lo, s25
	flat_load_u8 v16, v[10:11] offset:32 slc dlc
	s_mov_b32 s11, 0
	s_mov_b32 s26, exec_lo
                                        ; implicit-def: $sgpr25
	s_waitcnt vmcnt(0) lgkmcnt(0)
	v_cmpx_lt_i16_e32 0x7f, v16
	s_xor_b32 s26, exec_lo, s26
	s_cbranch_execnz .LBB4_2556
; %bb.2116:                             ;   in Loop: Header=BB4_2093 Depth=2
	s_or_saveexec_b32 s26, s26
	v_mov_b32_e32 v96, s25
	s_xor_b32 exec_lo, exec_lo, s26
	s_cbranch_execnz .LBB4_2559
.LBB4_2117:                             ;   in Loop: Header=BB4_2093 Depth=2
	s_or_b32 exec_lo, exec_lo, s26
	s_and_saveexec_b32 s25, s11
	s_cbranch_execz .LBB4_2119
.LBB4_2118:                             ;   in Loop: Header=BB4_2093 Depth=2
	v_and_b32_e32 v96, 0xffff, v16
	v_lshlrev_b32_e32 v16, 24, v16
	s_delay_alu instid0(VALU_DEP_2) | instskip(NEXT) | instid1(VALU_DEP_2)
	v_and_b32_e32 v97, 7, v96
	v_and_b32_e32 v16, 0x80000000, v16
	s_delay_alu instid0(VALU_DEP_2) | instskip(NEXT) | instid1(VALU_DEP_1)
	v_clz_i32_u32_e32 v98, v97
	v_min_u32_e32 v98, 32, v98
	s_delay_alu instid0(VALU_DEP_1) | instskip(SKIP_1) | instid1(VALU_DEP_2)
	v_subrev_nc_u32_e32 v99, 28, v98
	v_sub_nc_u32_e32 v98, 29, v98
	v_lshlrev_b32_e32 v99, v99, v96
	v_bfe_u32 v96, v96, 3, 4
	s_delay_alu instid0(VALU_DEP_2) | instskip(NEXT) | instid1(VALU_DEP_2)
	v_and_b32_e32 v99, 7, v99
	v_cmp_eq_u32_e32 vcc_lo, 0, v96
	s_delay_alu instid0(VALU_DEP_2) | instskip(NEXT) | instid1(VALU_DEP_1)
	v_dual_cndmask_b32 v96, v96, v98 :: v_dual_cndmask_b32 v97, v97, v99
	v_lshl_add_u32 v96, v96, 23, 0x3b800000
	s_delay_alu instid0(VALU_DEP_2) | instskip(NEXT) | instid1(VALU_DEP_1)
	v_lshlrev_b32_e32 v97, 20, v97
	v_or3_b32 v96, v16, v96, v97
.LBB4_2119:                             ;   in Loop: Header=BB4_2093 Depth=2
	s_or_b32 exec_lo, exec_lo, s25
	s_delay_alu instid0(VALU_DEP_1) | instskip(SKIP_2) | instid1(VALU_DEP_2)
	v_mul_f32_e32 v16, v17, v96
	v_mov_b32_e32 v100, 0x80
	s_mov_b32 s25, exec_lo
	v_and_b32_e32 v96, 0x7f800000, v16
	s_delay_alu instid0(VALU_DEP_1)
	v_cmpx_ne_u32_e32 0x7f800000, v96
	s_cbranch_execz .LBB4_2127
; %bb.2120:                             ;   in Loop: Header=BB4_2093 Depth=2
	v_mov_b32_e32 v100, 0
	s_mov_b32 s26, exec_lo
	v_cmpx_ne_u32_e32 0, v16
	s_cbranch_execz .LBB4_2126
; %bb.2121:                             ;   in Loop: Header=BB4_2093 Depth=2
	v_bfe_u32 v96, v16, 23, 8
	s_delay_alu instid0(VALU_DEP_1) | instskip(SKIP_1) | instid1(VALU_DEP_2)
	v_sub_nc_u32_e32 v98, 0x78, v96
	v_cmp_gt_u32_e32 vcc_lo, 0x79, v96
	v_dual_cndmask_b32 v98, 0, v98 :: v_dual_and_b32 v97, 0x7fffff, v16
	s_delay_alu instid0(VALU_DEP_1) | instskip(SKIP_2) | instid1(VALU_DEP_4)
	v_or_b32_e32 v99, 0x800000, v97
	v_cmp_eq_u32_e32 vcc_lo, 0, v96
	v_add_nc_u32_e32 v96, 0xffffff89, v96
	v_cndmask_b32_e64 v98, v98, 0x77, vcc_lo
	s_delay_alu instid0(VALU_DEP_4) | instskip(NEXT) | instid1(VALU_DEP_3)
	v_cndmask_b32_e32 v97, v99, v97, vcc_lo
	v_cndmask_b32_e64 v96, v96, 0xffffff8a, vcc_lo
	s_delay_alu instid0(VALU_DEP_3) | instskip(NEXT) | instid1(VALU_DEP_3)
	v_lshl_add_u32 v99, 0x100000, v98, -1
	v_lshrrev_b32_e32 v100, v98, v97
	v_lshlrev_b32_e64 v102, v98, 0x80000
	s_delay_alu instid0(VALU_DEP_4) | instskip(NEXT) | instid1(VALU_DEP_4)
	v_add_nc_u32_e32 v98, v98, v96
	v_and_b32_e32 v97, v99, v97
	s_delay_alu instid0(VALU_DEP_4) | instskip(NEXT) | instid1(VALU_DEP_2)
	v_bfe_u32 v101, v100, 20, 1
	v_cmp_eq_u32_e64 s11, v97, v102
	s_delay_alu instid0(VALU_DEP_2) | instskip(NEXT) | instid1(VALU_DEP_1)
	v_add_nc_u32_e32 v99, -1, v101
	v_cndmask_b32_e64 v97, 0, v99, s11
	v_lshrrev_b32_e32 v99, 23, v100
	s_mov_b32 s11, exec_lo
	s_delay_alu instid0(VALU_DEP_2) | instskip(NEXT) | instid1(VALU_DEP_2)
	v_add_nc_u32_e32 v97, v97, v100
	v_xor_b32_e32 v99, 1, v99
	s_delay_alu instid0(VALU_DEP_2) | instskip(NEXT) | instid1(VALU_DEP_1)
	v_and_b32_e32 v96, 0xfffff, v97
	v_add_nc_u32_e32 v97, v96, v100
                                        ; implicit-def: $vgpr96
	s_delay_alu instid0(VALU_DEP_3)
	v_cmpx_ne_u32_e64 v98, v99
	s_xor_b32 s11, exec_lo, s11
; %bb.2122:                             ;   in Loop: Header=BB4_2093 Depth=2
	s_delay_alu instid0(VALU_DEP_2) | instskip(SKIP_2) | instid1(VALU_DEP_2)
	v_cmp_lt_u32_e32 vcc_lo, 0xffffff, v97
	v_sub_nc_u32_e32 v96, v98, v99
	v_cndmask_b32_e64 v98, 0, 1, vcc_lo
	v_add_co_ci_u32_e32 v96, vcc_lo, 0, v96, vcc_lo
	s_delay_alu instid0(VALU_DEP_2)
	v_lshrrev_b32_e32 v97, v98, v97
; %bb.2123:                             ;   in Loop: Header=BB4_2093 Depth=2
	s_and_not1_saveexec_b32 s11, s11
; %bb.2124:                             ;   in Loop: Header=BB4_2093 Depth=2
	s_delay_alu instid0(VALU_DEP_1)
	v_bfe_u32 v96, v97, 23, 1
; %bb.2125:                             ;   in Loop: Header=BB4_2093 Depth=2
	s_or_b32 exec_lo, exec_lo, s11
	v_lshrrev_b32_e32 v97, 20, v97
	s_delay_alu instid0(VALU_DEP_2) | instskip(SKIP_2) | instid1(VALU_DEP_2)
	v_cmp_gt_i32_e32 vcc_lo, 16, v96
	v_lshrrev_b32_e32 v16, 24, v16
	v_min_i32_e32 v98, 15, v96
	v_dual_cndmask_b32 v97, 7, v97 :: v_dual_and_b32 v16, 0x80, v16
	s_delay_alu instid0(VALU_DEP_2) | instskip(NEXT) | instid1(VALU_DEP_2)
	v_lshlrev_b32_e32 v98, 3, v98
	v_or_b32_e32 v96, v96, v97
	s_delay_alu instid0(VALU_DEP_1) | instskip(SKIP_1) | instid1(VALU_DEP_1)
	v_cmp_ne_u32_e32 vcc_lo, 0, v96
	v_and_b32_e32 v99, 7, v97
	v_or3_b32 v16, v98, v16, v99
	s_delay_alu instid0(VALU_DEP_1)
	v_cndmask_b32_e32 v100, 0, v16, vcc_lo
.LBB4_2126:                             ;   in Loop: Header=BB4_2093 Depth=2
	s_or_b32 exec_lo, exec_lo, s26
.LBB4_2127:                             ;   in Loop: Header=BB4_2093 Depth=2
	s_delay_alu instid0(SALU_CYCLE_1)
	s_or_b32 exec_lo, exec_lo, s25
	flat_load_u8 v16, v[10:11] offset:64 slc dlc
	s_mov_b32 s11, 0
	s_mov_b32 s26, exec_lo
                                        ; implicit-def: $sgpr25
	s_waitcnt vmcnt(0) lgkmcnt(0)
	v_cmpx_lt_i16_e32 0x7f, v16
	s_xor_b32 s26, exec_lo, s26
	s_cbranch_execnz .LBB4_2560
; %bb.2128:                             ;   in Loop: Header=BB4_2093 Depth=2
	s_or_saveexec_b32 s26, s26
	v_mov_b32_e32 v96, s25
	s_xor_b32 exec_lo, exec_lo, s26
	s_cbranch_execnz .LBB4_2563
.LBB4_2129:                             ;   in Loop: Header=BB4_2093 Depth=2
	s_or_b32 exec_lo, exec_lo, s26
	s_and_saveexec_b32 s25, s11
	s_cbranch_execz .LBB4_2131
.LBB4_2130:                             ;   in Loop: Header=BB4_2093 Depth=2
	v_and_b32_e32 v96, 0xffff, v16
	v_lshlrev_b32_e32 v16, 24, v16
	s_delay_alu instid0(VALU_DEP_2) | instskip(NEXT) | instid1(VALU_DEP_2)
	v_and_b32_e32 v97, 7, v96
	v_and_b32_e32 v16, 0x80000000, v16
	s_delay_alu instid0(VALU_DEP_2) | instskip(NEXT) | instid1(VALU_DEP_1)
	v_clz_i32_u32_e32 v98, v97
	v_min_u32_e32 v98, 32, v98
	s_delay_alu instid0(VALU_DEP_1) | instskip(SKIP_1) | instid1(VALU_DEP_2)
	v_subrev_nc_u32_e32 v99, 28, v98
	v_sub_nc_u32_e32 v98, 29, v98
	v_lshlrev_b32_e32 v99, v99, v96
	v_bfe_u32 v96, v96, 3, 4
	s_delay_alu instid0(VALU_DEP_2) | instskip(NEXT) | instid1(VALU_DEP_2)
	v_and_b32_e32 v99, 7, v99
	v_cmp_eq_u32_e32 vcc_lo, 0, v96
	s_delay_alu instid0(VALU_DEP_2) | instskip(NEXT) | instid1(VALU_DEP_1)
	v_dual_cndmask_b32 v96, v96, v98 :: v_dual_cndmask_b32 v97, v97, v99
	v_lshl_add_u32 v96, v96, 23, 0x3b800000
	s_delay_alu instid0(VALU_DEP_2) | instskip(NEXT) | instid1(VALU_DEP_1)
	v_lshlrev_b32_e32 v97, 20, v97
	v_or3_b32 v96, v16, v96, v97
.LBB4_2131:                             ;   in Loop: Header=BB4_2093 Depth=2
	s_or_b32 exec_lo, exec_lo, s25
	s_delay_alu instid0(VALU_DEP_1) | instskip(SKIP_2) | instid1(VALU_DEP_2)
	v_mul_f32_e32 v16, v17, v96
	v_mov_b32_e32 v114, 0x80
	s_mov_b32 s25, exec_lo
	v_and_b32_e32 v96, 0x7f800000, v16
	s_delay_alu instid0(VALU_DEP_1)
	v_cmpx_ne_u32_e32 0x7f800000, v96
	s_cbranch_execz .LBB4_2139
; %bb.2132:                             ;   in Loop: Header=BB4_2093 Depth=2
	v_mov_b32_e32 v114, 0
	s_mov_b32 s26, exec_lo
	v_cmpx_ne_u32_e32 0, v16
	s_cbranch_execz .LBB4_2138
; %bb.2133:                             ;   in Loop: Header=BB4_2093 Depth=2
	v_bfe_u32 v96, v16, 23, 8
	s_delay_alu instid0(VALU_DEP_1) | instskip(SKIP_1) | instid1(VALU_DEP_2)
	v_sub_nc_u32_e32 v98, 0x78, v96
	v_cmp_gt_u32_e32 vcc_lo, 0x79, v96
	v_dual_cndmask_b32 v98, 0, v98 :: v_dual_and_b32 v97, 0x7fffff, v16
	s_delay_alu instid0(VALU_DEP_1) | instskip(SKIP_2) | instid1(VALU_DEP_4)
	v_or_b32_e32 v99, 0x800000, v97
	v_cmp_eq_u32_e32 vcc_lo, 0, v96
	v_add_nc_u32_e32 v96, 0xffffff89, v96
	v_cndmask_b32_e64 v98, v98, 0x77, vcc_lo
	s_delay_alu instid0(VALU_DEP_4) | instskip(NEXT) | instid1(VALU_DEP_3)
	v_cndmask_b32_e32 v97, v99, v97, vcc_lo
	v_cndmask_b32_e64 v96, v96, 0xffffff8a, vcc_lo
	s_delay_alu instid0(VALU_DEP_3) | instskip(NEXT) | instid1(VALU_DEP_3)
	v_lshl_add_u32 v99, 0x100000, v98, -1
	v_lshrrev_b32_e32 v101, v98, v97
	v_lshlrev_b32_e64 v103, v98, 0x80000
	s_delay_alu instid0(VALU_DEP_4) | instskip(NEXT) | instid1(VALU_DEP_4)
	v_add_nc_u32_e32 v98, v98, v96
	v_and_b32_e32 v97, v99, v97
	s_delay_alu instid0(VALU_DEP_4) | instskip(NEXT) | instid1(VALU_DEP_2)
	v_bfe_u32 v102, v101, 20, 1
	v_cmp_eq_u32_e64 s11, v97, v103
	s_delay_alu instid0(VALU_DEP_2) | instskip(NEXT) | instid1(VALU_DEP_1)
	v_add_nc_u32_e32 v99, -1, v102
	v_cndmask_b32_e64 v97, 0, v99, s11
	v_lshrrev_b32_e32 v99, 23, v101
	s_mov_b32 s11, exec_lo
	s_delay_alu instid0(VALU_DEP_2) | instskip(NEXT) | instid1(VALU_DEP_2)
	v_add_nc_u32_e32 v97, v97, v101
	v_xor_b32_e32 v99, 1, v99
	s_delay_alu instid0(VALU_DEP_2) | instskip(NEXT) | instid1(VALU_DEP_1)
	v_and_b32_e32 v96, 0xfffff, v97
	v_add_nc_u32_e32 v97, v96, v101
                                        ; implicit-def: $vgpr96
	s_delay_alu instid0(VALU_DEP_3)
	v_cmpx_ne_u32_e64 v98, v99
	s_xor_b32 s11, exec_lo, s11
; %bb.2134:                             ;   in Loop: Header=BB4_2093 Depth=2
	s_delay_alu instid0(VALU_DEP_2) | instskip(SKIP_2) | instid1(VALU_DEP_2)
	v_cmp_lt_u32_e32 vcc_lo, 0xffffff, v97
	v_sub_nc_u32_e32 v96, v98, v99
	v_cndmask_b32_e64 v98, 0, 1, vcc_lo
	v_add_co_ci_u32_e32 v96, vcc_lo, 0, v96, vcc_lo
	s_delay_alu instid0(VALU_DEP_2)
	v_lshrrev_b32_e32 v97, v98, v97
; %bb.2135:                             ;   in Loop: Header=BB4_2093 Depth=2
	s_and_not1_saveexec_b32 s11, s11
; %bb.2136:                             ;   in Loop: Header=BB4_2093 Depth=2
	s_delay_alu instid0(VALU_DEP_1)
	v_bfe_u32 v96, v97, 23, 1
; %bb.2137:                             ;   in Loop: Header=BB4_2093 Depth=2
	s_or_b32 exec_lo, exec_lo, s11
	v_lshrrev_b32_e32 v97, 20, v97
	s_delay_alu instid0(VALU_DEP_2) | instskip(SKIP_2) | instid1(VALU_DEP_2)
	v_cmp_gt_i32_e32 vcc_lo, 16, v96
	v_lshrrev_b32_e32 v16, 24, v16
	v_min_i32_e32 v98, 15, v96
	v_dual_cndmask_b32 v97, 7, v97 :: v_dual_and_b32 v16, 0x80, v16
	s_delay_alu instid0(VALU_DEP_2) | instskip(NEXT) | instid1(VALU_DEP_2)
	v_lshlrev_b32_e32 v98, 3, v98
	v_or_b32_e32 v96, v96, v97
	s_delay_alu instid0(VALU_DEP_1) | instskip(SKIP_1) | instid1(VALU_DEP_1)
	v_cmp_ne_u32_e32 vcc_lo, 0, v96
	v_and_b32_e32 v99, 7, v97
	v_or3_b32 v16, v98, v16, v99
	s_delay_alu instid0(VALU_DEP_1)
	v_cndmask_b32_e32 v114, 0, v16, vcc_lo
.LBB4_2138:                             ;   in Loop: Header=BB4_2093 Depth=2
	s_or_b32 exec_lo, exec_lo, s26
.LBB4_2139:                             ;   in Loop: Header=BB4_2093 Depth=2
	s_delay_alu instid0(SALU_CYCLE_1)
	s_or_b32 exec_lo, exec_lo, s25
	flat_load_u8 v16, v[10:11] offset:96 slc dlc
	s_mov_b32 s11, 0
	s_mov_b32 s26, exec_lo
                                        ; implicit-def: $sgpr25
	s_waitcnt vmcnt(0) lgkmcnt(0)
	v_cmpx_lt_i16_e32 0x7f, v16
	s_xor_b32 s26, exec_lo, s26
	s_cbranch_execnz .LBB4_2564
; %bb.2140:                             ;   in Loop: Header=BB4_2093 Depth=2
	s_or_saveexec_b32 s26, s26
	v_mov_b32_e32 v96, s25
	s_xor_b32 exec_lo, exec_lo, s26
	s_cbranch_execnz .LBB4_2567
.LBB4_2141:                             ;   in Loop: Header=BB4_2093 Depth=2
	s_or_b32 exec_lo, exec_lo, s26
	s_and_saveexec_b32 s25, s11
	s_cbranch_execz .LBB4_2143
.LBB4_2142:                             ;   in Loop: Header=BB4_2093 Depth=2
	v_and_b32_e32 v96, 0xffff, v16
	v_lshlrev_b32_e32 v16, 24, v16
	s_delay_alu instid0(VALU_DEP_2) | instskip(NEXT) | instid1(VALU_DEP_2)
	v_and_b32_e32 v97, 7, v96
	v_and_b32_e32 v16, 0x80000000, v16
	s_delay_alu instid0(VALU_DEP_2) | instskip(NEXT) | instid1(VALU_DEP_1)
	v_clz_i32_u32_e32 v98, v97
	v_min_u32_e32 v98, 32, v98
	s_delay_alu instid0(VALU_DEP_1) | instskip(SKIP_1) | instid1(VALU_DEP_2)
	v_subrev_nc_u32_e32 v99, 28, v98
	v_sub_nc_u32_e32 v98, 29, v98
	v_lshlrev_b32_e32 v99, v99, v96
	v_bfe_u32 v96, v96, 3, 4
	s_delay_alu instid0(VALU_DEP_2) | instskip(NEXT) | instid1(VALU_DEP_2)
	v_and_b32_e32 v99, 7, v99
	v_cmp_eq_u32_e32 vcc_lo, 0, v96
	s_delay_alu instid0(VALU_DEP_2) | instskip(NEXT) | instid1(VALU_DEP_1)
	v_dual_cndmask_b32 v96, v96, v98 :: v_dual_cndmask_b32 v97, v97, v99
	v_lshl_add_u32 v96, v96, 23, 0x3b800000
	s_delay_alu instid0(VALU_DEP_2) | instskip(NEXT) | instid1(VALU_DEP_1)
	v_lshlrev_b32_e32 v97, 20, v97
	v_or3_b32 v96, v16, v96, v97
.LBB4_2143:                             ;   in Loop: Header=BB4_2093 Depth=2
	s_or_b32 exec_lo, exec_lo, s25
	s_delay_alu instid0(VALU_DEP_1) | instskip(SKIP_1) | instid1(VALU_DEP_1)
	v_dual_mul_f32 v16, v17, v96 :: v_dual_mov_b32 v119, 0x80
	s_mov_b32 s25, exec_lo
	v_and_b32_e32 v96, 0x7f800000, v16
	s_delay_alu instid0(VALU_DEP_1)
	v_cmpx_ne_u32_e32 0x7f800000, v96
	s_cbranch_execz .LBB4_2151
; %bb.2144:                             ;   in Loop: Header=BB4_2093 Depth=2
	v_mov_b32_e32 v119, 0
	s_mov_b32 s26, exec_lo
	v_cmpx_ne_u32_e32 0, v16
	s_cbranch_execz .LBB4_2150
; %bb.2145:                             ;   in Loop: Header=BB4_2093 Depth=2
	v_bfe_u32 v96, v16, 23, 8
	s_delay_alu instid0(VALU_DEP_1) | instskip(SKIP_1) | instid1(VALU_DEP_2)
	v_sub_nc_u32_e32 v98, 0x78, v96
	v_cmp_gt_u32_e32 vcc_lo, 0x79, v96
	v_dual_cndmask_b32 v98, 0, v98 :: v_dual_and_b32 v97, 0x7fffff, v16
	s_delay_alu instid0(VALU_DEP_1) | instskip(SKIP_2) | instid1(VALU_DEP_4)
	v_or_b32_e32 v99, 0x800000, v97
	v_cmp_eq_u32_e32 vcc_lo, 0, v96
	v_add_nc_u32_e32 v96, 0xffffff89, v96
	v_cndmask_b32_e64 v98, v98, 0x77, vcc_lo
	s_delay_alu instid0(VALU_DEP_4) | instskip(NEXT) | instid1(VALU_DEP_3)
	v_cndmask_b32_e32 v97, v99, v97, vcc_lo
	v_cndmask_b32_e64 v96, v96, 0xffffff8a, vcc_lo
	s_delay_alu instid0(VALU_DEP_3) | instskip(NEXT) | instid1(VALU_DEP_3)
	v_lshl_add_u32 v99, 0x100000, v98, -1
	v_lshrrev_b32_e32 v101, v98, v97
	v_lshlrev_b32_e64 v103, v98, 0x80000
	s_delay_alu instid0(VALU_DEP_4) | instskip(NEXT) | instid1(VALU_DEP_4)
	v_add_nc_u32_e32 v98, v98, v96
	v_and_b32_e32 v97, v99, v97
	s_delay_alu instid0(VALU_DEP_4) | instskip(NEXT) | instid1(VALU_DEP_2)
	v_bfe_u32 v102, v101, 20, 1
	v_cmp_eq_u32_e64 s11, v97, v103
	s_delay_alu instid0(VALU_DEP_2) | instskip(NEXT) | instid1(VALU_DEP_1)
	v_add_nc_u32_e32 v99, -1, v102
	v_cndmask_b32_e64 v97, 0, v99, s11
	v_lshrrev_b32_e32 v99, 23, v101
	s_mov_b32 s11, exec_lo
	s_delay_alu instid0(VALU_DEP_2) | instskip(NEXT) | instid1(VALU_DEP_2)
	v_add_nc_u32_e32 v97, v97, v101
	v_xor_b32_e32 v99, 1, v99
	s_delay_alu instid0(VALU_DEP_2) | instskip(NEXT) | instid1(VALU_DEP_1)
	v_and_b32_e32 v96, 0xfffff, v97
	v_add_nc_u32_e32 v97, v96, v101
                                        ; implicit-def: $vgpr96
	s_delay_alu instid0(VALU_DEP_3)
	v_cmpx_ne_u32_e64 v98, v99
	s_xor_b32 s11, exec_lo, s11
; %bb.2146:                             ;   in Loop: Header=BB4_2093 Depth=2
	s_delay_alu instid0(VALU_DEP_2) | instskip(SKIP_2) | instid1(VALU_DEP_2)
	v_cmp_lt_u32_e32 vcc_lo, 0xffffff, v97
	v_sub_nc_u32_e32 v96, v98, v99
	v_cndmask_b32_e64 v98, 0, 1, vcc_lo
	v_add_co_ci_u32_e32 v96, vcc_lo, 0, v96, vcc_lo
	s_delay_alu instid0(VALU_DEP_2)
	v_lshrrev_b32_e32 v97, v98, v97
; %bb.2147:                             ;   in Loop: Header=BB4_2093 Depth=2
	s_and_not1_saveexec_b32 s11, s11
; %bb.2148:                             ;   in Loop: Header=BB4_2093 Depth=2
	s_delay_alu instid0(VALU_DEP_1)
	v_bfe_u32 v96, v97, 23, 1
; %bb.2149:                             ;   in Loop: Header=BB4_2093 Depth=2
	s_or_b32 exec_lo, exec_lo, s11
	v_lshrrev_b32_e32 v97, 20, v97
	s_delay_alu instid0(VALU_DEP_2) | instskip(SKIP_2) | instid1(VALU_DEP_2)
	v_cmp_gt_i32_e32 vcc_lo, 16, v96
	v_lshrrev_b32_e32 v16, 24, v16
	v_min_i32_e32 v98, 15, v96
	v_dual_cndmask_b32 v97, 7, v97 :: v_dual_and_b32 v16, 0x80, v16
	s_delay_alu instid0(VALU_DEP_1) | instskip(SKIP_1) | instid1(VALU_DEP_2)
	v_or_b32_e32 v96, v96, v97
	v_and_b32_e32 v99, 7, v97
	v_cmp_ne_u32_e32 vcc_lo, 0, v96
	v_lshlrev_b32_e32 v98, 3, v98
	s_delay_alu instid0(VALU_DEP_1) | instskip(NEXT) | instid1(VALU_DEP_1)
	v_or3_b32 v16, v98, v16, v99
	v_cndmask_b32_e32 v119, 0, v16, vcc_lo
.LBB4_2150:                             ;   in Loop: Header=BB4_2093 Depth=2
	s_or_b32 exec_lo, exec_lo, s26
.LBB4_2151:                             ;   in Loop: Header=BB4_2093 Depth=2
	s_delay_alu instid0(SALU_CYCLE_1)
	s_or_b32 exec_lo, exec_lo, s25
	flat_load_u8 v16, v[10:11] offset:128 slc dlc
	s_mov_b32 s11, 0
	s_mov_b32 s26, exec_lo
                                        ; implicit-def: $sgpr25
	s_waitcnt vmcnt(0) lgkmcnt(0)
	v_cmpx_lt_i16_e32 0x7f, v16
	s_xor_b32 s26, exec_lo, s26
	s_cbranch_execnz .LBB4_2568
; %bb.2152:                             ;   in Loop: Header=BB4_2093 Depth=2
	s_or_saveexec_b32 s26, s26
	v_mov_b32_e32 v96, s25
	s_xor_b32 exec_lo, exec_lo, s26
	s_cbranch_execnz .LBB4_2571
.LBB4_2153:                             ;   in Loop: Header=BB4_2093 Depth=2
	s_or_b32 exec_lo, exec_lo, s26
	s_and_saveexec_b32 s25, s11
	s_cbranch_execz .LBB4_2155
.LBB4_2154:                             ;   in Loop: Header=BB4_2093 Depth=2
	v_and_b32_e32 v96, 0xffff, v16
	v_lshlrev_b32_e32 v16, 24, v16
	s_delay_alu instid0(VALU_DEP_2) | instskip(NEXT) | instid1(VALU_DEP_2)
	v_and_b32_e32 v97, 7, v96
	v_and_b32_e32 v16, 0x80000000, v16
	s_delay_alu instid0(VALU_DEP_2) | instskip(NEXT) | instid1(VALU_DEP_1)
	v_clz_i32_u32_e32 v98, v97
	v_min_u32_e32 v98, 32, v98
	s_delay_alu instid0(VALU_DEP_1) | instskip(SKIP_1) | instid1(VALU_DEP_2)
	v_subrev_nc_u32_e32 v99, 28, v98
	v_sub_nc_u32_e32 v98, 29, v98
	v_lshlrev_b32_e32 v99, v99, v96
	v_bfe_u32 v96, v96, 3, 4
	s_delay_alu instid0(VALU_DEP_2) | instskip(NEXT) | instid1(VALU_DEP_2)
	v_and_b32_e32 v99, 7, v99
	v_cmp_eq_u32_e32 vcc_lo, 0, v96
	s_delay_alu instid0(VALU_DEP_2) | instskip(NEXT) | instid1(VALU_DEP_1)
	v_dual_cndmask_b32 v96, v96, v98 :: v_dual_cndmask_b32 v97, v97, v99
	v_lshl_add_u32 v96, v96, 23, 0x3b800000
	s_delay_alu instid0(VALU_DEP_2) | instskip(NEXT) | instid1(VALU_DEP_1)
	v_lshlrev_b32_e32 v97, 20, v97
	v_or3_b32 v96, v16, v96, v97
.LBB4_2155:                             ;   in Loop: Header=BB4_2093 Depth=2
	s_or_b32 exec_lo, exec_lo, s25
	s_delay_alu instid0(VALU_DEP_1) | instskip(SKIP_2) | instid1(VALU_DEP_2)
	v_mul_f32_e32 v16, v17, v96
	v_mov_b32_e32 v128, 0x80
	s_mov_b32 s25, exec_lo
	v_and_b32_e32 v96, 0x7f800000, v16
	s_delay_alu instid0(VALU_DEP_1)
	v_cmpx_ne_u32_e32 0x7f800000, v96
	s_cbranch_execz .LBB4_2163
; %bb.2156:                             ;   in Loop: Header=BB4_2093 Depth=2
	v_mov_b32_e32 v128, 0
	s_mov_b32 s26, exec_lo
	v_cmpx_ne_u32_e32 0, v16
	s_cbranch_execz .LBB4_2162
; %bb.2157:                             ;   in Loop: Header=BB4_2093 Depth=2
	v_bfe_u32 v96, v16, 23, 8
	s_delay_alu instid0(VALU_DEP_1) | instskip(SKIP_1) | instid1(VALU_DEP_2)
	v_sub_nc_u32_e32 v98, 0x78, v96
	v_cmp_gt_u32_e32 vcc_lo, 0x79, v96
	v_dual_cndmask_b32 v98, 0, v98 :: v_dual_and_b32 v97, 0x7fffff, v16
	s_delay_alu instid0(VALU_DEP_1) | instskip(SKIP_2) | instid1(VALU_DEP_4)
	v_or_b32_e32 v99, 0x800000, v97
	v_cmp_eq_u32_e32 vcc_lo, 0, v96
	v_add_nc_u32_e32 v96, 0xffffff89, v96
	v_cndmask_b32_e64 v98, v98, 0x77, vcc_lo
	s_delay_alu instid0(VALU_DEP_4) | instskip(NEXT) | instid1(VALU_DEP_3)
	v_cndmask_b32_e32 v97, v99, v97, vcc_lo
	v_cndmask_b32_e64 v96, v96, 0xffffff8a, vcc_lo
	s_delay_alu instid0(VALU_DEP_3) | instskip(NEXT) | instid1(VALU_DEP_3)
	v_lshl_add_u32 v99, 0x100000, v98, -1
	v_lshrrev_b32_e32 v101, v98, v97
	v_lshlrev_b32_e64 v103, v98, 0x80000
	s_delay_alu instid0(VALU_DEP_4) | instskip(NEXT) | instid1(VALU_DEP_4)
	v_add_nc_u32_e32 v98, v98, v96
	v_and_b32_e32 v97, v99, v97
	s_delay_alu instid0(VALU_DEP_4) | instskip(NEXT) | instid1(VALU_DEP_2)
	v_bfe_u32 v102, v101, 20, 1
	v_cmp_eq_u32_e64 s11, v97, v103
	s_delay_alu instid0(VALU_DEP_2) | instskip(NEXT) | instid1(VALU_DEP_1)
	v_add_nc_u32_e32 v99, -1, v102
	v_cndmask_b32_e64 v97, 0, v99, s11
	v_lshrrev_b32_e32 v99, 23, v101
	s_mov_b32 s11, exec_lo
	s_delay_alu instid0(VALU_DEP_2) | instskip(NEXT) | instid1(VALU_DEP_2)
	v_add_nc_u32_e32 v97, v97, v101
	v_xor_b32_e32 v99, 1, v99
	s_delay_alu instid0(VALU_DEP_2) | instskip(NEXT) | instid1(VALU_DEP_1)
	v_and_b32_e32 v96, 0xfffff, v97
	v_add_nc_u32_e32 v97, v96, v101
                                        ; implicit-def: $vgpr96
	s_delay_alu instid0(VALU_DEP_3)
	v_cmpx_ne_u32_e64 v98, v99
	s_xor_b32 s11, exec_lo, s11
; %bb.2158:                             ;   in Loop: Header=BB4_2093 Depth=2
	s_delay_alu instid0(VALU_DEP_2) | instskip(SKIP_2) | instid1(VALU_DEP_2)
	v_cmp_lt_u32_e32 vcc_lo, 0xffffff, v97
	v_sub_nc_u32_e32 v96, v98, v99
	v_cndmask_b32_e64 v98, 0, 1, vcc_lo
	v_add_co_ci_u32_e32 v96, vcc_lo, 0, v96, vcc_lo
	s_delay_alu instid0(VALU_DEP_2)
	v_lshrrev_b32_e32 v97, v98, v97
; %bb.2159:                             ;   in Loop: Header=BB4_2093 Depth=2
	s_and_not1_saveexec_b32 s11, s11
; %bb.2160:                             ;   in Loop: Header=BB4_2093 Depth=2
	s_delay_alu instid0(VALU_DEP_1)
	v_bfe_u32 v96, v97, 23, 1
; %bb.2161:                             ;   in Loop: Header=BB4_2093 Depth=2
	s_or_b32 exec_lo, exec_lo, s11
	v_lshrrev_b32_e32 v97, 20, v97
	s_delay_alu instid0(VALU_DEP_2) | instskip(SKIP_2) | instid1(VALU_DEP_2)
	v_cmp_gt_i32_e32 vcc_lo, 16, v96
	v_lshrrev_b32_e32 v16, 24, v16
	v_min_i32_e32 v98, 15, v96
	v_dual_cndmask_b32 v97, 7, v97 :: v_dual_and_b32 v16, 0x80, v16
	s_delay_alu instid0(VALU_DEP_2) | instskip(NEXT) | instid1(VALU_DEP_2)
	v_lshlrev_b32_e32 v98, 3, v98
	v_or_b32_e32 v96, v96, v97
	s_delay_alu instid0(VALU_DEP_1) | instskip(SKIP_1) | instid1(VALU_DEP_1)
	v_cmp_ne_u32_e32 vcc_lo, 0, v96
	v_and_b32_e32 v99, 7, v97
	v_or3_b32 v16, v98, v16, v99
	s_delay_alu instid0(VALU_DEP_1)
	v_cndmask_b32_e32 v128, 0, v16, vcc_lo
.LBB4_2162:                             ;   in Loop: Header=BB4_2093 Depth=2
	s_or_b32 exec_lo, exec_lo, s26
.LBB4_2163:                             ;   in Loop: Header=BB4_2093 Depth=2
	s_delay_alu instid0(SALU_CYCLE_1)
	s_or_b32 exec_lo, exec_lo, s25
	flat_load_u8 v16, v[10:11] offset:160 slc dlc
	s_mov_b32 s11, 0
	s_mov_b32 s26, exec_lo
                                        ; implicit-def: $sgpr25
	s_waitcnt vmcnt(0) lgkmcnt(0)
	v_cmpx_lt_i16_e32 0x7f, v16
	s_xor_b32 s26, exec_lo, s26
	s_cbranch_execnz .LBB4_2572
; %bb.2164:                             ;   in Loop: Header=BB4_2093 Depth=2
	s_or_saveexec_b32 s26, s26
	v_mov_b32_e32 v96, s25
	s_xor_b32 exec_lo, exec_lo, s26
	s_cbranch_execnz .LBB4_2575
.LBB4_2165:                             ;   in Loop: Header=BB4_2093 Depth=2
	s_or_b32 exec_lo, exec_lo, s26
	s_and_saveexec_b32 s25, s11
	s_cbranch_execz .LBB4_2167
.LBB4_2166:                             ;   in Loop: Header=BB4_2093 Depth=2
	v_and_b32_e32 v96, 0xffff, v16
	v_lshlrev_b32_e32 v16, 24, v16
	s_delay_alu instid0(VALU_DEP_2) | instskip(NEXT) | instid1(VALU_DEP_2)
	v_and_b32_e32 v97, 7, v96
	v_and_b32_e32 v16, 0x80000000, v16
	s_delay_alu instid0(VALU_DEP_2) | instskip(NEXT) | instid1(VALU_DEP_1)
	v_clz_i32_u32_e32 v98, v97
	v_min_u32_e32 v98, 32, v98
	s_delay_alu instid0(VALU_DEP_1) | instskip(SKIP_1) | instid1(VALU_DEP_2)
	v_subrev_nc_u32_e32 v99, 28, v98
	v_sub_nc_u32_e32 v98, 29, v98
	v_lshlrev_b32_e32 v99, v99, v96
	v_bfe_u32 v96, v96, 3, 4
	s_delay_alu instid0(VALU_DEP_2) | instskip(NEXT) | instid1(VALU_DEP_2)
	v_and_b32_e32 v99, 7, v99
	v_cmp_eq_u32_e32 vcc_lo, 0, v96
	s_delay_alu instid0(VALU_DEP_2) | instskip(NEXT) | instid1(VALU_DEP_1)
	v_dual_cndmask_b32 v96, v96, v98 :: v_dual_cndmask_b32 v97, v97, v99
	v_lshl_add_u32 v96, v96, 23, 0x3b800000
	s_delay_alu instid0(VALU_DEP_2) | instskip(NEXT) | instid1(VALU_DEP_1)
	v_lshlrev_b32_e32 v97, 20, v97
	v_or3_b32 v96, v16, v96, v97
.LBB4_2167:                             ;   in Loop: Header=BB4_2093 Depth=2
	s_or_b32 exec_lo, exec_lo, s25
	s_delay_alu instid0(VALU_DEP_1) | instskip(SKIP_2) | instid1(VALU_DEP_2)
	v_mul_f32_e32 v16, v17, v96
	v_mov_b32_e32 v118, 0x80
	s_mov_b32 s25, exec_lo
	v_and_b32_e32 v96, 0x7f800000, v16
	s_delay_alu instid0(VALU_DEP_1)
	v_cmpx_ne_u32_e32 0x7f800000, v96
	s_cbranch_execz .LBB4_2175
; %bb.2168:                             ;   in Loop: Header=BB4_2093 Depth=2
	v_mov_b32_e32 v118, 0
	s_mov_b32 s26, exec_lo
	v_cmpx_ne_u32_e32 0, v16
	s_cbranch_execz .LBB4_2174
; %bb.2169:                             ;   in Loop: Header=BB4_2093 Depth=2
	v_bfe_u32 v96, v16, 23, 8
	s_delay_alu instid0(VALU_DEP_1) | instskip(SKIP_1) | instid1(VALU_DEP_2)
	v_sub_nc_u32_e32 v98, 0x78, v96
	v_cmp_gt_u32_e32 vcc_lo, 0x79, v96
	v_dual_cndmask_b32 v98, 0, v98 :: v_dual_and_b32 v97, 0x7fffff, v16
	s_delay_alu instid0(VALU_DEP_1) | instskip(SKIP_2) | instid1(VALU_DEP_4)
	v_or_b32_e32 v99, 0x800000, v97
	v_cmp_eq_u32_e32 vcc_lo, 0, v96
	v_add_nc_u32_e32 v96, 0xffffff89, v96
	v_cndmask_b32_e64 v98, v98, 0x77, vcc_lo
	s_delay_alu instid0(VALU_DEP_4) | instskip(NEXT) | instid1(VALU_DEP_3)
	v_cndmask_b32_e32 v97, v99, v97, vcc_lo
	v_cndmask_b32_e64 v96, v96, 0xffffff8a, vcc_lo
	s_delay_alu instid0(VALU_DEP_3) | instskip(NEXT) | instid1(VALU_DEP_3)
	v_lshl_add_u32 v99, 0x100000, v98, -1
	v_lshrrev_b32_e32 v101, v98, v97
	v_lshlrev_b32_e64 v103, v98, 0x80000
	s_delay_alu instid0(VALU_DEP_4) | instskip(NEXT) | instid1(VALU_DEP_4)
	v_add_nc_u32_e32 v98, v98, v96
	v_and_b32_e32 v97, v99, v97
	s_delay_alu instid0(VALU_DEP_4) | instskip(NEXT) | instid1(VALU_DEP_2)
	v_bfe_u32 v102, v101, 20, 1
	v_cmp_eq_u32_e64 s11, v97, v103
	s_delay_alu instid0(VALU_DEP_2) | instskip(NEXT) | instid1(VALU_DEP_1)
	v_add_nc_u32_e32 v99, -1, v102
	v_cndmask_b32_e64 v97, 0, v99, s11
	v_lshrrev_b32_e32 v99, 23, v101
	s_mov_b32 s11, exec_lo
	s_delay_alu instid0(VALU_DEP_2) | instskip(NEXT) | instid1(VALU_DEP_2)
	v_add_nc_u32_e32 v97, v97, v101
	v_xor_b32_e32 v99, 1, v99
	s_delay_alu instid0(VALU_DEP_2) | instskip(NEXT) | instid1(VALU_DEP_1)
	v_and_b32_e32 v96, 0xfffff, v97
	v_add_nc_u32_e32 v97, v96, v101
                                        ; implicit-def: $vgpr96
	s_delay_alu instid0(VALU_DEP_3)
	v_cmpx_ne_u32_e64 v98, v99
	s_xor_b32 s11, exec_lo, s11
; %bb.2170:                             ;   in Loop: Header=BB4_2093 Depth=2
	s_delay_alu instid0(VALU_DEP_2) | instskip(SKIP_2) | instid1(VALU_DEP_2)
	v_cmp_lt_u32_e32 vcc_lo, 0xffffff, v97
	v_sub_nc_u32_e32 v96, v98, v99
	v_cndmask_b32_e64 v98, 0, 1, vcc_lo
	v_add_co_ci_u32_e32 v96, vcc_lo, 0, v96, vcc_lo
	s_delay_alu instid0(VALU_DEP_2)
	v_lshrrev_b32_e32 v97, v98, v97
; %bb.2171:                             ;   in Loop: Header=BB4_2093 Depth=2
	s_and_not1_saveexec_b32 s11, s11
; %bb.2172:                             ;   in Loop: Header=BB4_2093 Depth=2
	s_delay_alu instid0(VALU_DEP_1)
	v_bfe_u32 v96, v97, 23, 1
; %bb.2173:                             ;   in Loop: Header=BB4_2093 Depth=2
	s_or_b32 exec_lo, exec_lo, s11
	v_lshrrev_b32_e32 v97, 20, v97
	s_delay_alu instid0(VALU_DEP_2) | instskip(SKIP_2) | instid1(VALU_DEP_2)
	v_cmp_gt_i32_e32 vcc_lo, 16, v96
	v_lshrrev_b32_e32 v16, 24, v16
	v_min_i32_e32 v98, 15, v96
	v_dual_cndmask_b32 v97, 7, v97 :: v_dual_and_b32 v16, 0x80, v16
	s_delay_alu instid0(VALU_DEP_2) | instskip(NEXT) | instid1(VALU_DEP_2)
	v_lshlrev_b32_e32 v98, 3, v98
	v_or_b32_e32 v96, v96, v97
	s_delay_alu instid0(VALU_DEP_1) | instskip(SKIP_1) | instid1(VALU_DEP_1)
	v_cmp_ne_u32_e32 vcc_lo, 0, v96
	v_and_b32_e32 v99, 7, v97
	v_or3_b32 v16, v98, v16, v99
	s_delay_alu instid0(VALU_DEP_1)
	v_cndmask_b32_e32 v118, 0, v16, vcc_lo
.LBB4_2174:                             ;   in Loop: Header=BB4_2093 Depth=2
	s_or_b32 exec_lo, exec_lo, s26
.LBB4_2175:                             ;   in Loop: Header=BB4_2093 Depth=2
	s_delay_alu instid0(SALU_CYCLE_1)
	s_or_b32 exec_lo, exec_lo, s25
	flat_load_u8 v16, v[10:11] offset:192 slc dlc
	s_mov_b32 s11, 0
	s_mov_b32 s26, exec_lo
                                        ; implicit-def: $sgpr25
	s_waitcnt vmcnt(0) lgkmcnt(0)
	v_cmpx_lt_i16_e32 0x7f, v16
	s_xor_b32 s26, exec_lo, s26
	s_cbranch_execnz .LBB4_2576
; %bb.2176:                             ;   in Loop: Header=BB4_2093 Depth=2
	s_or_saveexec_b32 s26, s26
	v_mov_b32_e32 v96, s25
	s_xor_b32 exec_lo, exec_lo, s26
	s_cbranch_execnz .LBB4_2579
.LBB4_2177:                             ;   in Loop: Header=BB4_2093 Depth=2
	s_or_b32 exec_lo, exec_lo, s26
	s_and_saveexec_b32 s25, s11
	s_cbranch_execz .LBB4_2179
.LBB4_2178:                             ;   in Loop: Header=BB4_2093 Depth=2
	v_and_b32_e32 v96, 0xffff, v16
	v_lshlrev_b32_e32 v16, 24, v16
	s_delay_alu instid0(VALU_DEP_2) | instskip(NEXT) | instid1(VALU_DEP_2)
	v_and_b32_e32 v97, 7, v96
	v_and_b32_e32 v16, 0x80000000, v16
	s_delay_alu instid0(VALU_DEP_2) | instskip(NEXT) | instid1(VALU_DEP_1)
	v_clz_i32_u32_e32 v98, v97
	v_min_u32_e32 v98, 32, v98
	s_delay_alu instid0(VALU_DEP_1) | instskip(SKIP_1) | instid1(VALU_DEP_2)
	v_subrev_nc_u32_e32 v99, 28, v98
	v_sub_nc_u32_e32 v98, 29, v98
	v_lshlrev_b32_e32 v99, v99, v96
	v_bfe_u32 v96, v96, 3, 4
	s_delay_alu instid0(VALU_DEP_2) | instskip(NEXT) | instid1(VALU_DEP_2)
	v_and_b32_e32 v99, 7, v99
	v_cmp_eq_u32_e32 vcc_lo, 0, v96
	s_delay_alu instid0(VALU_DEP_2) | instskip(NEXT) | instid1(VALU_DEP_1)
	v_dual_cndmask_b32 v96, v96, v98 :: v_dual_cndmask_b32 v97, v97, v99
	v_lshl_add_u32 v96, v96, 23, 0x3b800000
	s_delay_alu instid0(VALU_DEP_2) | instskip(NEXT) | instid1(VALU_DEP_1)
	v_lshlrev_b32_e32 v97, 20, v97
	v_or3_b32 v96, v16, v96, v97
.LBB4_2179:                             ;   in Loop: Header=BB4_2093 Depth=2
	s_or_b32 exec_lo, exec_lo, s25
	s_delay_alu instid0(VALU_DEP_1) | instskip(SKIP_1) | instid1(VALU_DEP_1)
	v_dual_mul_f32 v16, v17, v96 :: v_dual_mov_b32 v117, 0x80
	s_mov_b32 s25, exec_lo
	v_and_b32_e32 v96, 0x7f800000, v16
	s_delay_alu instid0(VALU_DEP_1)
	v_cmpx_ne_u32_e32 0x7f800000, v96
	s_cbranch_execz .LBB4_2187
; %bb.2180:                             ;   in Loop: Header=BB4_2093 Depth=2
	v_mov_b32_e32 v117, 0
	s_mov_b32 s26, exec_lo
	v_cmpx_ne_u32_e32 0, v16
	s_cbranch_execz .LBB4_2186
; %bb.2181:                             ;   in Loop: Header=BB4_2093 Depth=2
	v_bfe_u32 v96, v16, 23, 8
	s_delay_alu instid0(VALU_DEP_1) | instskip(SKIP_1) | instid1(VALU_DEP_2)
	v_sub_nc_u32_e32 v98, 0x78, v96
	v_cmp_gt_u32_e32 vcc_lo, 0x79, v96
	v_dual_cndmask_b32 v98, 0, v98 :: v_dual_and_b32 v97, 0x7fffff, v16
	s_delay_alu instid0(VALU_DEP_1) | instskip(SKIP_2) | instid1(VALU_DEP_4)
	v_or_b32_e32 v99, 0x800000, v97
	v_cmp_eq_u32_e32 vcc_lo, 0, v96
	v_add_nc_u32_e32 v96, 0xffffff89, v96
	v_cndmask_b32_e64 v98, v98, 0x77, vcc_lo
	s_delay_alu instid0(VALU_DEP_4) | instskip(NEXT) | instid1(VALU_DEP_3)
	v_cndmask_b32_e32 v97, v99, v97, vcc_lo
	v_cndmask_b32_e64 v96, v96, 0xffffff8a, vcc_lo
	s_delay_alu instid0(VALU_DEP_3) | instskip(NEXT) | instid1(VALU_DEP_3)
	v_lshl_add_u32 v99, 0x100000, v98, -1
	v_lshrrev_b32_e32 v101, v98, v97
	v_lshlrev_b32_e64 v103, v98, 0x80000
	s_delay_alu instid0(VALU_DEP_4) | instskip(NEXT) | instid1(VALU_DEP_4)
	v_add_nc_u32_e32 v98, v98, v96
	v_and_b32_e32 v97, v99, v97
	s_delay_alu instid0(VALU_DEP_4) | instskip(NEXT) | instid1(VALU_DEP_2)
	v_bfe_u32 v102, v101, 20, 1
	v_cmp_eq_u32_e64 s11, v97, v103
	s_delay_alu instid0(VALU_DEP_2) | instskip(NEXT) | instid1(VALU_DEP_1)
	v_add_nc_u32_e32 v99, -1, v102
	v_cndmask_b32_e64 v97, 0, v99, s11
	v_lshrrev_b32_e32 v99, 23, v101
	s_mov_b32 s11, exec_lo
	s_delay_alu instid0(VALU_DEP_2) | instskip(NEXT) | instid1(VALU_DEP_2)
	v_add_nc_u32_e32 v97, v97, v101
	v_xor_b32_e32 v99, 1, v99
	s_delay_alu instid0(VALU_DEP_2) | instskip(NEXT) | instid1(VALU_DEP_1)
	v_and_b32_e32 v96, 0xfffff, v97
	v_add_nc_u32_e32 v97, v96, v101
                                        ; implicit-def: $vgpr96
	s_delay_alu instid0(VALU_DEP_3)
	v_cmpx_ne_u32_e64 v98, v99
	s_xor_b32 s11, exec_lo, s11
; %bb.2182:                             ;   in Loop: Header=BB4_2093 Depth=2
	s_delay_alu instid0(VALU_DEP_2) | instskip(SKIP_2) | instid1(VALU_DEP_2)
	v_cmp_lt_u32_e32 vcc_lo, 0xffffff, v97
	v_sub_nc_u32_e32 v96, v98, v99
	v_cndmask_b32_e64 v98, 0, 1, vcc_lo
	v_add_co_ci_u32_e32 v96, vcc_lo, 0, v96, vcc_lo
	s_delay_alu instid0(VALU_DEP_2)
	v_lshrrev_b32_e32 v97, v98, v97
; %bb.2183:                             ;   in Loop: Header=BB4_2093 Depth=2
	s_and_not1_saveexec_b32 s11, s11
; %bb.2184:                             ;   in Loop: Header=BB4_2093 Depth=2
	s_delay_alu instid0(VALU_DEP_1)
	v_bfe_u32 v96, v97, 23, 1
; %bb.2185:                             ;   in Loop: Header=BB4_2093 Depth=2
	s_or_b32 exec_lo, exec_lo, s11
	v_lshrrev_b32_e32 v97, 20, v97
	s_delay_alu instid0(VALU_DEP_2) | instskip(SKIP_2) | instid1(VALU_DEP_2)
	v_cmp_gt_i32_e32 vcc_lo, 16, v96
	v_lshrrev_b32_e32 v16, 24, v16
	v_min_i32_e32 v98, 15, v96
	v_dual_cndmask_b32 v97, 7, v97 :: v_dual_and_b32 v16, 0x80, v16
	s_delay_alu instid0(VALU_DEP_1) | instskip(SKIP_1) | instid1(VALU_DEP_2)
	v_or_b32_e32 v96, v96, v97
	v_and_b32_e32 v99, 7, v97
	v_cmp_ne_u32_e32 vcc_lo, 0, v96
	v_lshlrev_b32_e32 v98, 3, v98
	s_delay_alu instid0(VALU_DEP_1) | instskip(NEXT) | instid1(VALU_DEP_1)
	v_or3_b32 v16, v98, v16, v99
	v_cndmask_b32_e32 v117, 0, v16, vcc_lo
.LBB4_2186:                             ;   in Loop: Header=BB4_2093 Depth=2
	s_or_b32 exec_lo, exec_lo, s26
.LBB4_2187:                             ;   in Loop: Header=BB4_2093 Depth=2
	s_delay_alu instid0(SALU_CYCLE_1)
	s_or_b32 exec_lo, exec_lo, s25
	flat_load_u8 v16, v[10:11] offset:224 slc dlc
	s_mov_b32 s11, 0
	s_mov_b32 s26, exec_lo
                                        ; implicit-def: $sgpr25
	s_waitcnt vmcnt(0) lgkmcnt(0)
	v_cmpx_lt_i16_e32 0x7f, v16
	s_xor_b32 s26, exec_lo, s26
	s_cbranch_execnz .LBB4_2580
; %bb.2188:                             ;   in Loop: Header=BB4_2093 Depth=2
	s_or_saveexec_b32 s26, s26
	v_mov_b32_e32 v96, s25
	s_xor_b32 exec_lo, exec_lo, s26
	s_cbranch_execnz .LBB4_2583
.LBB4_2189:                             ;   in Loop: Header=BB4_2093 Depth=2
	s_or_b32 exec_lo, exec_lo, s26
	s_and_saveexec_b32 s25, s11
	s_cbranch_execz .LBB4_2191
.LBB4_2190:                             ;   in Loop: Header=BB4_2093 Depth=2
	v_and_b32_e32 v96, 0xffff, v16
	v_lshlrev_b32_e32 v16, 24, v16
	s_delay_alu instid0(VALU_DEP_2) | instskip(NEXT) | instid1(VALU_DEP_2)
	v_and_b32_e32 v97, 7, v96
	v_and_b32_e32 v16, 0x80000000, v16
	s_delay_alu instid0(VALU_DEP_2) | instskip(NEXT) | instid1(VALU_DEP_1)
	v_clz_i32_u32_e32 v98, v97
	v_min_u32_e32 v98, 32, v98
	s_delay_alu instid0(VALU_DEP_1) | instskip(SKIP_1) | instid1(VALU_DEP_2)
	v_subrev_nc_u32_e32 v99, 28, v98
	v_sub_nc_u32_e32 v98, 29, v98
	v_lshlrev_b32_e32 v99, v99, v96
	v_bfe_u32 v96, v96, 3, 4
	s_delay_alu instid0(VALU_DEP_2) | instskip(NEXT) | instid1(VALU_DEP_2)
	v_and_b32_e32 v99, 7, v99
	v_cmp_eq_u32_e32 vcc_lo, 0, v96
	s_delay_alu instid0(VALU_DEP_2) | instskip(NEXT) | instid1(VALU_DEP_1)
	v_dual_cndmask_b32 v96, v96, v98 :: v_dual_cndmask_b32 v97, v97, v99
	v_lshl_add_u32 v96, v96, 23, 0x3b800000
	s_delay_alu instid0(VALU_DEP_2) | instskip(NEXT) | instid1(VALU_DEP_1)
	v_lshlrev_b32_e32 v97, 20, v97
	v_or3_b32 v96, v16, v96, v97
.LBB4_2191:                             ;   in Loop: Header=BB4_2093 Depth=2
	s_or_b32 exec_lo, exec_lo, s25
	s_delay_alu instid0(VALU_DEP_1) | instskip(SKIP_1) | instid1(VALU_DEP_1)
	v_dual_mul_f32 v16, v17, v96 :: v_dual_mov_b32 v115, 0x80
	s_mov_b32 s25, exec_lo
	v_and_b32_e32 v96, 0x7f800000, v16
	s_delay_alu instid0(VALU_DEP_1)
	v_cmpx_ne_u32_e32 0x7f800000, v96
	s_cbranch_execz .LBB4_2199
; %bb.2192:                             ;   in Loop: Header=BB4_2093 Depth=2
	v_mov_b32_e32 v115, 0
	s_mov_b32 s26, exec_lo
	v_cmpx_ne_u32_e32 0, v16
	s_cbranch_execz .LBB4_2198
; %bb.2193:                             ;   in Loop: Header=BB4_2093 Depth=2
	v_bfe_u32 v96, v16, 23, 8
	s_delay_alu instid0(VALU_DEP_1) | instskip(SKIP_1) | instid1(VALU_DEP_2)
	v_sub_nc_u32_e32 v98, 0x78, v96
	v_cmp_gt_u32_e32 vcc_lo, 0x79, v96
	v_dual_cndmask_b32 v98, 0, v98 :: v_dual_and_b32 v97, 0x7fffff, v16
	s_delay_alu instid0(VALU_DEP_1) | instskip(SKIP_2) | instid1(VALU_DEP_4)
	v_or_b32_e32 v99, 0x800000, v97
	v_cmp_eq_u32_e32 vcc_lo, 0, v96
	v_add_nc_u32_e32 v96, 0xffffff89, v96
	v_cndmask_b32_e64 v98, v98, 0x77, vcc_lo
	s_delay_alu instid0(VALU_DEP_4) | instskip(NEXT) | instid1(VALU_DEP_3)
	v_cndmask_b32_e32 v97, v99, v97, vcc_lo
	v_cndmask_b32_e64 v96, v96, 0xffffff8a, vcc_lo
	s_delay_alu instid0(VALU_DEP_3) | instskip(NEXT) | instid1(VALU_DEP_3)
	v_lshl_add_u32 v99, 0x100000, v98, -1
	v_lshrrev_b32_e32 v101, v98, v97
	v_lshlrev_b32_e64 v103, v98, 0x80000
	s_delay_alu instid0(VALU_DEP_4) | instskip(NEXT) | instid1(VALU_DEP_4)
	v_add_nc_u32_e32 v98, v98, v96
	v_and_b32_e32 v97, v99, v97
	s_delay_alu instid0(VALU_DEP_4) | instskip(NEXT) | instid1(VALU_DEP_2)
	v_bfe_u32 v102, v101, 20, 1
	v_cmp_eq_u32_e64 s11, v97, v103
	s_delay_alu instid0(VALU_DEP_2) | instskip(NEXT) | instid1(VALU_DEP_1)
	v_add_nc_u32_e32 v99, -1, v102
	v_cndmask_b32_e64 v97, 0, v99, s11
	v_lshrrev_b32_e32 v99, 23, v101
	s_mov_b32 s11, exec_lo
	s_delay_alu instid0(VALU_DEP_2) | instskip(NEXT) | instid1(VALU_DEP_2)
	v_add_nc_u32_e32 v97, v97, v101
	v_xor_b32_e32 v99, 1, v99
	s_delay_alu instid0(VALU_DEP_2) | instskip(NEXT) | instid1(VALU_DEP_1)
	v_and_b32_e32 v96, 0xfffff, v97
	v_add_nc_u32_e32 v97, v96, v101
                                        ; implicit-def: $vgpr96
	s_delay_alu instid0(VALU_DEP_3)
	v_cmpx_ne_u32_e64 v98, v99
	s_xor_b32 s11, exec_lo, s11
; %bb.2194:                             ;   in Loop: Header=BB4_2093 Depth=2
	s_delay_alu instid0(VALU_DEP_2) | instskip(SKIP_2) | instid1(VALU_DEP_2)
	v_cmp_lt_u32_e32 vcc_lo, 0xffffff, v97
	v_sub_nc_u32_e32 v96, v98, v99
	v_cndmask_b32_e64 v98, 0, 1, vcc_lo
	v_add_co_ci_u32_e32 v96, vcc_lo, 0, v96, vcc_lo
	s_delay_alu instid0(VALU_DEP_2)
	v_lshrrev_b32_e32 v97, v98, v97
; %bb.2195:                             ;   in Loop: Header=BB4_2093 Depth=2
	s_and_not1_saveexec_b32 s11, s11
; %bb.2196:                             ;   in Loop: Header=BB4_2093 Depth=2
	s_delay_alu instid0(VALU_DEP_1)
	v_bfe_u32 v96, v97, 23, 1
; %bb.2197:                             ;   in Loop: Header=BB4_2093 Depth=2
	s_or_b32 exec_lo, exec_lo, s11
	v_lshrrev_b32_e32 v97, 20, v97
	s_delay_alu instid0(VALU_DEP_2) | instskip(SKIP_2) | instid1(VALU_DEP_2)
	v_cmp_gt_i32_e32 vcc_lo, 16, v96
	v_lshrrev_b32_e32 v16, 24, v16
	v_min_i32_e32 v98, 15, v96
	v_dual_cndmask_b32 v97, 7, v97 :: v_dual_and_b32 v16, 0x80, v16
	s_delay_alu instid0(VALU_DEP_1) | instskip(SKIP_1) | instid1(VALU_DEP_2)
	v_or_b32_e32 v96, v96, v97
	v_and_b32_e32 v99, 7, v97
	v_cmp_ne_u32_e32 vcc_lo, 0, v96
	v_lshlrev_b32_e32 v98, 3, v98
	s_delay_alu instid0(VALU_DEP_1) | instskip(NEXT) | instid1(VALU_DEP_1)
	v_or3_b32 v16, v98, v16, v99
	v_cndmask_b32_e32 v115, 0, v16, vcc_lo
.LBB4_2198:                             ;   in Loop: Header=BB4_2093 Depth=2
	s_or_b32 exec_lo, exec_lo, s26
.LBB4_2199:                             ;   in Loop: Header=BB4_2093 Depth=2
	s_delay_alu instid0(SALU_CYCLE_1)
	s_or_b32 exec_lo, exec_lo, s25
	flat_load_u8 v16, v[10:11] offset:256 slc dlc
	s_mov_b32 s11, 0
	s_mov_b32 s26, exec_lo
                                        ; implicit-def: $sgpr25
	s_waitcnt vmcnt(0) lgkmcnt(0)
	v_cmpx_lt_i16_e32 0x7f, v16
	s_xor_b32 s26, exec_lo, s26
	s_cbranch_execnz .LBB4_2584
; %bb.2200:                             ;   in Loop: Header=BB4_2093 Depth=2
	s_or_saveexec_b32 s26, s26
	v_mov_b32_e32 v96, s25
	s_xor_b32 exec_lo, exec_lo, s26
	s_cbranch_execnz .LBB4_2587
.LBB4_2201:                             ;   in Loop: Header=BB4_2093 Depth=2
	s_or_b32 exec_lo, exec_lo, s26
	s_and_saveexec_b32 s25, s11
	s_cbranch_execz .LBB4_2203
.LBB4_2202:                             ;   in Loop: Header=BB4_2093 Depth=2
	v_and_b32_e32 v96, 0xffff, v16
	v_lshlrev_b32_e32 v16, 24, v16
	s_delay_alu instid0(VALU_DEP_2) | instskip(NEXT) | instid1(VALU_DEP_2)
	v_and_b32_e32 v97, 7, v96
	v_and_b32_e32 v16, 0x80000000, v16
	s_delay_alu instid0(VALU_DEP_2) | instskip(NEXT) | instid1(VALU_DEP_1)
	v_clz_i32_u32_e32 v98, v97
	v_min_u32_e32 v98, 32, v98
	s_delay_alu instid0(VALU_DEP_1) | instskip(SKIP_1) | instid1(VALU_DEP_2)
	v_subrev_nc_u32_e32 v99, 28, v98
	v_sub_nc_u32_e32 v98, 29, v98
	v_lshlrev_b32_e32 v99, v99, v96
	v_bfe_u32 v96, v96, 3, 4
	s_delay_alu instid0(VALU_DEP_2) | instskip(NEXT) | instid1(VALU_DEP_2)
	v_and_b32_e32 v99, 7, v99
	v_cmp_eq_u32_e32 vcc_lo, 0, v96
	s_delay_alu instid0(VALU_DEP_2) | instskip(NEXT) | instid1(VALU_DEP_1)
	v_dual_cndmask_b32 v96, v96, v98 :: v_dual_cndmask_b32 v97, v97, v99
	v_lshl_add_u32 v96, v96, 23, 0x3b800000
	s_delay_alu instid0(VALU_DEP_2) | instskip(NEXT) | instid1(VALU_DEP_1)
	v_lshlrev_b32_e32 v97, 20, v97
	v_or3_b32 v96, v16, v96, v97
.LBB4_2203:                             ;   in Loop: Header=BB4_2093 Depth=2
	s_or_b32 exec_lo, exec_lo, s25
	s_delay_alu instid0(VALU_DEP_1) | instskip(SKIP_1) | instid1(VALU_DEP_1)
	v_dual_mul_f32 v16, v17, v96 :: v_dual_mov_b32 v113, 0x80
	s_mov_b32 s25, exec_lo
	v_and_b32_e32 v96, 0x7f800000, v16
	s_delay_alu instid0(VALU_DEP_1)
	v_cmpx_ne_u32_e32 0x7f800000, v96
	s_cbranch_execz .LBB4_2211
; %bb.2204:                             ;   in Loop: Header=BB4_2093 Depth=2
	v_mov_b32_e32 v113, 0
	s_mov_b32 s26, exec_lo
	v_cmpx_ne_u32_e32 0, v16
	s_cbranch_execz .LBB4_2210
; %bb.2205:                             ;   in Loop: Header=BB4_2093 Depth=2
	v_bfe_u32 v96, v16, 23, 8
	s_delay_alu instid0(VALU_DEP_1) | instskip(SKIP_1) | instid1(VALU_DEP_2)
	v_sub_nc_u32_e32 v98, 0x78, v96
	v_cmp_gt_u32_e32 vcc_lo, 0x79, v96
	v_dual_cndmask_b32 v98, 0, v98 :: v_dual_and_b32 v97, 0x7fffff, v16
	s_delay_alu instid0(VALU_DEP_1) | instskip(SKIP_2) | instid1(VALU_DEP_4)
	v_or_b32_e32 v99, 0x800000, v97
	v_cmp_eq_u32_e32 vcc_lo, 0, v96
	v_add_nc_u32_e32 v96, 0xffffff89, v96
	v_cndmask_b32_e64 v98, v98, 0x77, vcc_lo
	s_delay_alu instid0(VALU_DEP_4) | instskip(NEXT) | instid1(VALU_DEP_3)
	v_cndmask_b32_e32 v97, v99, v97, vcc_lo
	v_cndmask_b32_e64 v96, v96, 0xffffff8a, vcc_lo
	s_delay_alu instid0(VALU_DEP_3) | instskip(NEXT) | instid1(VALU_DEP_3)
	v_lshl_add_u32 v99, 0x100000, v98, -1
	v_lshrrev_b32_e32 v101, v98, v97
	v_lshlrev_b32_e64 v103, v98, 0x80000
	s_delay_alu instid0(VALU_DEP_4) | instskip(NEXT) | instid1(VALU_DEP_4)
	v_add_nc_u32_e32 v98, v98, v96
	v_and_b32_e32 v97, v99, v97
	s_delay_alu instid0(VALU_DEP_4) | instskip(NEXT) | instid1(VALU_DEP_2)
	v_bfe_u32 v102, v101, 20, 1
	v_cmp_eq_u32_e64 s11, v97, v103
	s_delay_alu instid0(VALU_DEP_2) | instskip(NEXT) | instid1(VALU_DEP_1)
	v_add_nc_u32_e32 v99, -1, v102
	v_cndmask_b32_e64 v97, 0, v99, s11
	v_lshrrev_b32_e32 v99, 23, v101
	s_mov_b32 s11, exec_lo
	s_delay_alu instid0(VALU_DEP_2) | instskip(NEXT) | instid1(VALU_DEP_2)
	v_add_nc_u32_e32 v97, v97, v101
	v_xor_b32_e32 v99, 1, v99
	s_delay_alu instid0(VALU_DEP_2) | instskip(NEXT) | instid1(VALU_DEP_1)
	v_and_b32_e32 v96, 0xfffff, v97
	v_add_nc_u32_e32 v97, v96, v101
                                        ; implicit-def: $vgpr96
	s_delay_alu instid0(VALU_DEP_3)
	v_cmpx_ne_u32_e64 v98, v99
	s_xor_b32 s11, exec_lo, s11
; %bb.2206:                             ;   in Loop: Header=BB4_2093 Depth=2
	s_delay_alu instid0(VALU_DEP_2) | instskip(SKIP_2) | instid1(VALU_DEP_2)
	v_cmp_lt_u32_e32 vcc_lo, 0xffffff, v97
	v_sub_nc_u32_e32 v96, v98, v99
	v_cndmask_b32_e64 v98, 0, 1, vcc_lo
	v_add_co_ci_u32_e32 v96, vcc_lo, 0, v96, vcc_lo
	s_delay_alu instid0(VALU_DEP_2)
	v_lshrrev_b32_e32 v97, v98, v97
; %bb.2207:                             ;   in Loop: Header=BB4_2093 Depth=2
	s_and_not1_saveexec_b32 s11, s11
; %bb.2208:                             ;   in Loop: Header=BB4_2093 Depth=2
	s_delay_alu instid0(VALU_DEP_1)
	v_bfe_u32 v96, v97, 23, 1
; %bb.2209:                             ;   in Loop: Header=BB4_2093 Depth=2
	s_or_b32 exec_lo, exec_lo, s11
	v_lshrrev_b32_e32 v97, 20, v97
	s_delay_alu instid0(VALU_DEP_2) | instskip(SKIP_2) | instid1(VALU_DEP_2)
	v_cmp_gt_i32_e32 vcc_lo, 16, v96
	v_lshrrev_b32_e32 v16, 24, v16
	v_min_i32_e32 v98, 15, v96
	v_dual_cndmask_b32 v97, 7, v97 :: v_dual_and_b32 v16, 0x80, v16
	s_delay_alu instid0(VALU_DEP_1) | instskip(SKIP_1) | instid1(VALU_DEP_2)
	v_or_b32_e32 v96, v96, v97
	v_and_b32_e32 v99, 7, v97
	v_cmp_ne_u32_e32 vcc_lo, 0, v96
	v_lshlrev_b32_e32 v98, 3, v98
	s_delay_alu instid0(VALU_DEP_1) | instskip(NEXT) | instid1(VALU_DEP_1)
	v_or3_b32 v16, v98, v16, v99
	v_cndmask_b32_e32 v113, 0, v16, vcc_lo
.LBB4_2210:                             ;   in Loop: Header=BB4_2093 Depth=2
	s_or_b32 exec_lo, exec_lo, s26
.LBB4_2211:                             ;   in Loop: Header=BB4_2093 Depth=2
	s_delay_alu instid0(SALU_CYCLE_1)
	s_or_b32 exec_lo, exec_lo, s25
	flat_load_u8 v16, v[10:11] offset:288 slc dlc
	s_mov_b32 s11, 0
	s_mov_b32 s26, exec_lo
                                        ; implicit-def: $sgpr25
	s_waitcnt vmcnt(0) lgkmcnt(0)
	v_cmpx_lt_i16_e32 0x7f, v16
	s_xor_b32 s26, exec_lo, s26
	s_cbranch_execnz .LBB4_2588
; %bb.2212:                             ;   in Loop: Header=BB4_2093 Depth=2
	s_or_saveexec_b32 s26, s26
	v_mov_b32_e32 v96, s25
	s_xor_b32 exec_lo, exec_lo, s26
	s_cbranch_execnz .LBB4_2591
.LBB4_2213:                             ;   in Loop: Header=BB4_2093 Depth=2
	s_or_b32 exec_lo, exec_lo, s26
	s_and_saveexec_b32 s25, s11
	s_cbranch_execz .LBB4_2215
.LBB4_2214:                             ;   in Loop: Header=BB4_2093 Depth=2
	v_and_b32_e32 v96, 0xffff, v16
	v_lshlrev_b32_e32 v16, 24, v16
	s_delay_alu instid0(VALU_DEP_2) | instskip(NEXT) | instid1(VALU_DEP_2)
	v_and_b32_e32 v97, 7, v96
	v_and_b32_e32 v16, 0x80000000, v16
	s_delay_alu instid0(VALU_DEP_2) | instskip(NEXT) | instid1(VALU_DEP_1)
	v_clz_i32_u32_e32 v98, v97
	v_min_u32_e32 v98, 32, v98
	s_delay_alu instid0(VALU_DEP_1) | instskip(SKIP_1) | instid1(VALU_DEP_2)
	v_subrev_nc_u32_e32 v99, 28, v98
	v_sub_nc_u32_e32 v98, 29, v98
	v_lshlrev_b32_e32 v99, v99, v96
	v_bfe_u32 v96, v96, 3, 4
	s_delay_alu instid0(VALU_DEP_2) | instskip(NEXT) | instid1(VALU_DEP_2)
	v_and_b32_e32 v99, 7, v99
	v_cmp_eq_u32_e32 vcc_lo, 0, v96
	s_delay_alu instid0(VALU_DEP_2) | instskip(NEXT) | instid1(VALU_DEP_1)
	v_dual_cndmask_b32 v96, v96, v98 :: v_dual_cndmask_b32 v97, v97, v99
	v_lshl_add_u32 v96, v96, 23, 0x3b800000
	s_delay_alu instid0(VALU_DEP_2) | instskip(NEXT) | instid1(VALU_DEP_1)
	v_lshlrev_b32_e32 v97, 20, v97
	v_or3_b32 v96, v16, v96, v97
.LBB4_2215:                             ;   in Loop: Header=BB4_2093 Depth=2
	s_or_b32 exec_lo, exec_lo, s25
	s_delay_alu instid0(VALU_DEP_1) | instskip(SKIP_2) | instid1(VALU_DEP_2)
	v_mul_f32_e32 v16, v17, v96
	v_mov_b32_e32 v112, 0x80
	s_mov_b32 s25, exec_lo
	v_and_b32_e32 v96, 0x7f800000, v16
	s_delay_alu instid0(VALU_DEP_1)
	v_cmpx_ne_u32_e32 0x7f800000, v96
	s_cbranch_execz .LBB4_2223
; %bb.2216:                             ;   in Loop: Header=BB4_2093 Depth=2
	v_mov_b32_e32 v112, 0
	s_mov_b32 s26, exec_lo
	v_cmpx_ne_u32_e32 0, v16
	s_cbranch_execz .LBB4_2222
; %bb.2217:                             ;   in Loop: Header=BB4_2093 Depth=2
	v_bfe_u32 v96, v16, 23, 8
	s_delay_alu instid0(VALU_DEP_1) | instskip(SKIP_1) | instid1(VALU_DEP_2)
	v_sub_nc_u32_e32 v98, 0x78, v96
	v_cmp_gt_u32_e32 vcc_lo, 0x79, v96
	v_dual_cndmask_b32 v98, 0, v98 :: v_dual_and_b32 v97, 0x7fffff, v16
	s_delay_alu instid0(VALU_DEP_1) | instskip(SKIP_2) | instid1(VALU_DEP_4)
	v_or_b32_e32 v99, 0x800000, v97
	v_cmp_eq_u32_e32 vcc_lo, 0, v96
	v_add_nc_u32_e32 v96, 0xffffff89, v96
	v_cndmask_b32_e64 v98, v98, 0x77, vcc_lo
	s_delay_alu instid0(VALU_DEP_4) | instskip(NEXT) | instid1(VALU_DEP_3)
	v_cndmask_b32_e32 v97, v99, v97, vcc_lo
	v_cndmask_b32_e64 v96, v96, 0xffffff8a, vcc_lo
	s_delay_alu instid0(VALU_DEP_3) | instskip(NEXT) | instid1(VALU_DEP_3)
	v_lshl_add_u32 v99, 0x100000, v98, -1
	v_lshrrev_b32_e32 v101, v98, v97
	v_lshlrev_b32_e64 v103, v98, 0x80000
	s_delay_alu instid0(VALU_DEP_4) | instskip(NEXT) | instid1(VALU_DEP_4)
	v_add_nc_u32_e32 v98, v98, v96
	v_and_b32_e32 v97, v99, v97
	s_delay_alu instid0(VALU_DEP_4) | instskip(NEXT) | instid1(VALU_DEP_2)
	v_bfe_u32 v102, v101, 20, 1
	v_cmp_eq_u32_e64 s11, v97, v103
	s_delay_alu instid0(VALU_DEP_2) | instskip(NEXT) | instid1(VALU_DEP_1)
	v_add_nc_u32_e32 v99, -1, v102
	v_cndmask_b32_e64 v97, 0, v99, s11
	v_lshrrev_b32_e32 v99, 23, v101
	s_mov_b32 s11, exec_lo
	s_delay_alu instid0(VALU_DEP_2) | instskip(NEXT) | instid1(VALU_DEP_2)
	v_add_nc_u32_e32 v97, v97, v101
	v_xor_b32_e32 v99, 1, v99
	s_delay_alu instid0(VALU_DEP_2) | instskip(NEXT) | instid1(VALU_DEP_1)
	v_and_b32_e32 v96, 0xfffff, v97
	v_add_nc_u32_e32 v97, v96, v101
                                        ; implicit-def: $vgpr96
	s_delay_alu instid0(VALU_DEP_3)
	v_cmpx_ne_u32_e64 v98, v99
	s_xor_b32 s11, exec_lo, s11
; %bb.2218:                             ;   in Loop: Header=BB4_2093 Depth=2
	s_delay_alu instid0(VALU_DEP_2) | instskip(SKIP_2) | instid1(VALU_DEP_2)
	v_cmp_lt_u32_e32 vcc_lo, 0xffffff, v97
	v_sub_nc_u32_e32 v96, v98, v99
	v_cndmask_b32_e64 v98, 0, 1, vcc_lo
	v_add_co_ci_u32_e32 v96, vcc_lo, 0, v96, vcc_lo
	s_delay_alu instid0(VALU_DEP_2)
	v_lshrrev_b32_e32 v97, v98, v97
; %bb.2219:                             ;   in Loop: Header=BB4_2093 Depth=2
	s_and_not1_saveexec_b32 s11, s11
; %bb.2220:                             ;   in Loop: Header=BB4_2093 Depth=2
	s_delay_alu instid0(VALU_DEP_1)
	v_bfe_u32 v96, v97, 23, 1
; %bb.2221:                             ;   in Loop: Header=BB4_2093 Depth=2
	s_or_b32 exec_lo, exec_lo, s11
	v_lshrrev_b32_e32 v97, 20, v97
	s_delay_alu instid0(VALU_DEP_2) | instskip(SKIP_2) | instid1(VALU_DEP_2)
	v_cmp_gt_i32_e32 vcc_lo, 16, v96
	v_lshrrev_b32_e32 v16, 24, v16
	v_min_i32_e32 v98, 15, v96
	v_dual_cndmask_b32 v97, 7, v97 :: v_dual_and_b32 v16, 0x80, v16
	s_delay_alu instid0(VALU_DEP_2) | instskip(NEXT) | instid1(VALU_DEP_2)
	v_lshlrev_b32_e32 v98, 3, v98
	v_or_b32_e32 v96, v96, v97
	s_delay_alu instid0(VALU_DEP_1) | instskip(SKIP_1) | instid1(VALU_DEP_1)
	v_cmp_ne_u32_e32 vcc_lo, 0, v96
	v_and_b32_e32 v99, 7, v97
	v_or3_b32 v16, v98, v16, v99
	s_delay_alu instid0(VALU_DEP_1)
	v_cndmask_b32_e32 v112, 0, v16, vcc_lo
.LBB4_2222:                             ;   in Loop: Header=BB4_2093 Depth=2
	s_or_b32 exec_lo, exec_lo, s26
.LBB4_2223:                             ;   in Loop: Header=BB4_2093 Depth=2
	s_delay_alu instid0(SALU_CYCLE_1)
	s_or_b32 exec_lo, exec_lo, s25
	flat_load_u8 v16, v[10:11] offset:320 slc dlc
	s_mov_b32 s11, 0
	s_mov_b32 s26, exec_lo
                                        ; implicit-def: $sgpr25
	s_waitcnt vmcnt(0) lgkmcnt(0)
	v_cmpx_lt_i16_e32 0x7f, v16
	s_xor_b32 s26, exec_lo, s26
	s_cbranch_execnz .LBB4_2592
; %bb.2224:                             ;   in Loop: Header=BB4_2093 Depth=2
	s_or_saveexec_b32 s26, s26
	v_mov_b32_e32 v96, s25
	s_xor_b32 exec_lo, exec_lo, s26
	s_cbranch_execnz .LBB4_2595
.LBB4_2225:                             ;   in Loop: Header=BB4_2093 Depth=2
	s_or_b32 exec_lo, exec_lo, s26
	s_and_saveexec_b32 s25, s11
	s_cbranch_execz .LBB4_2227
.LBB4_2226:                             ;   in Loop: Header=BB4_2093 Depth=2
	v_and_b32_e32 v96, 0xffff, v16
	v_lshlrev_b32_e32 v16, 24, v16
	s_delay_alu instid0(VALU_DEP_2) | instskip(NEXT) | instid1(VALU_DEP_2)
	v_and_b32_e32 v97, 7, v96
	v_and_b32_e32 v16, 0x80000000, v16
	s_delay_alu instid0(VALU_DEP_2) | instskip(NEXT) | instid1(VALU_DEP_1)
	v_clz_i32_u32_e32 v98, v97
	v_min_u32_e32 v98, 32, v98
	s_delay_alu instid0(VALU_DEP_1) | instskip(SKIP_1) | instid1(VALU_DEP_2)
	v_subrev_nc_u32_e32 v99, 28, v98
	v_sub_nc_u32_e32 v98, 29, v98
	v_lshlrev_b32_e32 v99, v99, v96
	v_bfe_u32 v96, v96, 3, 4
	s_delay_alu instid0(VALU_DEP_2) | instskip(NEXT) | instid1(VALU_DEP_2)
	v_and_b32_e32 v99, 7, v99
	v_cmp_eq_u32_e32 vcc_lo, 0, v96
	s_delay_alu instid0(VALU_DEP_2) | instskip(NEXT) | instid1(VALU_DEP_1)
	v_dual_cndmask_b32 v96, v96, v98 :: v_dual_cndmask_b32 v97, v97, v99
	v_lshl_add_u32 v96, v96, 23, 0x3b800000
	s_delay_alu instid0(VALU_DEP_2) | instskip(NEXT) | instid1(VALU_DEP_1)
	v_lshlrev_b32_e32 v97, 20, v97
	v_or3_b32 v96, v16, v96, v97
.LBB4_2227:                             ;   in Loop: Header=BB4_2093 Depth=2
	s_or_b32 exec_lo, exec_lo, s25
	s_delay_alu instid0(VALU_DEP_1) | instskip(SKIP_2) | instid1(VALU_DEP_2)
	v_mul_f32_e32 v16, v17, v96
	v_mov_b32_e32 v102, 0x80
	s_mov_b32 s25, exec_lo
	v_and_b32_e32 v96, 0x7f800000, v16
	s_delay_alu instid0(VALU_DEP_1)
	v_cmpx_ne_u32_e32 0x7f800000, v96
	s_cbranch_execz .LBB4_2235
; %bb.2228:                             ;   in Loop: Header=BB4_2093 Depth=2
	v_mov_b32_e32 v102, 0
	s_mov_b32 s26, exec_lo
	v_cmpx_ne_u32_e32 0, v16
	s_cbranch_execz .LBB4_2234
; %bb.2229:                             ;   in Loop: Header=BB4_2093 Depth=2
	v_bfe_u32 v96, v16, 23, 8
	s_delay_alu instid0(VALU_DEP_1) | instskip(SKIP_1) | instid1(VALU_DEP_2)
	v_sub_nc_u32_e32 v98, 0x78, v96
	v_cmp_gt_u32_e32 vcc_lo, 0x79, v96
	v_dual_cndmask_b32 v98, 0, v98 :: v_dual_and_b32 v97, 0x7fffff, v16
	s_delay_alu instid0(VALU_DEP_1) | instskip(SKIP_2) | instid1(VALU_DEP_4)
	v_or_b32_e32 v99, 0x800000, v97
	v_cmp_eq_u32_e32 vcc_lo, 0, v96
	v_add_nc_u32_e32 v96, 0xffffff89, v96
	v_cndmask_b32_e64 v98, v98, 0x77, vcc_lo
	s_delay_alu instid0(VALU_DEP_4) | instskip(NEXT) | instid1(VALU_DEP_3)
	v_cndmask_b32_e32 v97, v99, v97, vcc_lo
	v_cndmask_b32_e64 v96, v96, 0xffffff8a, vcc_lo
	s_delay_alu instid0(VALU_DEP_3) | instskip(NEXT) | instid1(VALU_DEP_3)
	v_lshl_add_u32 v99, 0x100000, v98, -1
	v_lshrrev_b32_e32 v101, v98, v97
	v_lshlrev_b32_e64 v103, v98, 0x80000
	s_delay_alu instid0(VALU_DEP_4) | instskip(NEXT) | instid1(VALU_DEP_4)
	v_add_nc_u32_e32 v98, v98, v96
	v_and_b32_e32 v97, v99, v97
	s_delay_alu instid0(VALU_DEP_4) | instskip(NEXT) | instid1(VALU_DEP_2)
	v_bfe_u32 v102, v101, 20, 1
	v_cmp_eq_u32_e64 s11, v97, v103
	s_delay_alu instid0(VALU_DEP_2) | instskip(NEXT) | instid1(VALU_DEP_1)
	v_add_nc_u32_e32 v99, -1, v102
	v_cndmask_b32_e64 v97, 0, v99, s11
	v_lshrrev_b32_e32 v99, 23, v101
	s_mov_b32 s11, exec_lo
	s_delay_alu instid0(VALU_DEP_2) | instskip(NEXT) | instid1(VALU_DEP_2)
	v_add_nc_u32_e32 v97, v97, v101
	v_xor_b32_e32 v99, 1, v99
	s_delay_alu instid0(VALU_DEP_2) | instskip(NEXT) | instid1(VALU_DEP_1)
	v_and_b32_e32 v96, 0xfffff, v97
	v_add_nc_u32_e32 v97, v96, v101
                                        ; implicit-def: $vgpr96
	s_delay_alu instid0(VALU_DEP_3)
	v_cmpx_ne_u32_e64 v98, v99
	s_xor_b32 s11, exec_lo, s11
; %bb.2230:                             ;   in Loop: Header=BB4_2093 Depth=2
	s_delay_alu instid0(VALU_DEP_2) | instskip(SKIP_2) | instid1(VALU_DEP_2)
	v_cmp_lt_u32_e32 vcc_lo, 0xffffff, v97
	v_sub_nc_u32_e32 v96, v98, v99
	v_cndmask_b32_e64 v98, 0, 1, vcc_lo
	v_add_co_ci_u32_e32 v96, vcc_lo, 0, v96, vcc_lo
	s_delay_alu instid0(VALU_DEP_2)
	v_lshrrev_b32_e32 v97, v98, v97
; %bb.2231:                             ;   in Loop: Header=BB4_2093 Depth=2
	s_and_not1_saveexec_b32 s11, s11
; %bb.2232:                             ;   in Loop: Header=BB4_2093 Depth=2
	s_delay_alu instid0(VALU_DEP_1)
	v_bfe_u32 v96, v97, 23, 1
; %bb.2233:                             ;   in Loop: Header=BB4_2093 Depth=2
	s_or_b32 exec_lo, exec_lo, s11
	v_lshrrev_b32_e32 v97, 20, v97
	s_delay_alu instid0(VALU_DEP_2) | instskip(SKIP_2) | instid1(VALU_DEP_2)
	v_cmp_gt_i32_e32 vcc_lo, 16, v96
	v_lshrrev_b32_e32 v16, 24, v16
	v_min_i32_e32 v98, 15, v96
	v_dual_cndmask_b32 v97, 7, v97 :: v_dual_and_b32 v16, 0x80, v16
	s_delay_alu instid0(VALU_DEP_2) | instskip(NEXT) | instid1(VALU_DEP_2)
	v_lshlrev_b32_e32 v98, 3, v98
	v_or_b32_e32 v96, v96, v97
	s_delay_alu instid0(VALU_DEP_1) | instskip(SKIP_1) | instid1(VALU_DEP_1)
	v_cmp_ne_u32_e32 vcc_lo, 0, v96
	v_and_b32_e32 v99, 7, v97
	v_or3_b32 v16, v98, v16, v99
	s_delay_alu instid0(VALU_DEP_1)
	v_cndmask_b32_e32 v102, 0, v16, vcc_lo
.LBB4_2234:                             ;   in Loop: Header=BB4_2093 Depth=2
	s_or_b32 exec_lo, exec_lo, s26
.LBB4_2235:                             ;   in Loop: Header=BB4_2093 Depth=2
	s_delay_alu instid0(SALU_CYCLE_1)
	s_or_b32 exec_lo, exec_lo, s25
	flat_load_u8 v16, v[10:11] offset:352 slc dlc
	s_mov_b32 s11, 0
	s_mov_b32 s26, exec_lo
                                        ; implicit-def: $sgpr25
	s_waitcnt vmcnt(0) lgkmcnt(0)
	v_cmpx_lt_i16_e32 0x7f, v16
	s_xor_b32 s26, exec_lo, s26
	s_cbranch_execnz .LBB4_2596
; %bb.2236:                             ;   in Loop: Header=BB4_2093 Depth=2
	s_or_saveexec_b32 s26, s26
	v_mov_b32_e32 v96, s25
	s_xor_b32 exec_lo, exec_lo, s26
	s_cbranch_execnz .LBB4_2599
.LBB4_2237:                             ;   in Loop: Header=BB4_2093 Depth=2
	s_or_b32 exec_lo, exec_lo, s26
	s_and_saveexec_b32 s25, s11
	s_cbranch_execz .LBB4_2239
.LBB4_2238:                             ;   in Loop: Header=BB4_2093 Depth=2
	v_and_b32_e32 v96, 0xffff, v16
	v_lshlrev_b32_e32 v16, 24, v16
	s_delay_alu instid0(VALU_DEP_2) | instskip(NEXT) | instid1(VALU_DEP_2)
	v_and_b32_e32 v97, 7, v96
	v_and_b32_e32 v16, 0x80000000, v16
	s_delay_alu instid0(VALU_DEP_2) | instskip(NEXT) | instid1(VALU_DEP_1)
	v_clz_i32_u32_e32 v98, v97
	v_min_u32_e32 v98, 32, v98
	s_delay_alu instid0(VALU_DEP_1) | instskip(SKIP_1) | instid1(VALU_DEP_2)
	v_subrev_nc_u32_e32 v99, 28, v98
	v_sub_nc_u32_e32 v98, 29, v98
	v_lshlrev_b32_e32 v99, v99, v96
	v_bfe_u32 v96, v96, 3, 4
	s_delay_alu instid0(VALU_DEP_2) | instskip(NEXT) | instid1(VALU_DEP_2)
	v_and_b32_e32 v99, 7, v99
	v_cmp_eq_u32_e32 vcc_lo, 0, v96
	s_delay_alu instid0(VALU_DEP_2) | instskip(NEXT) | instid1(VALU_DEP_1)
	v_dual_cndmask_b32 v96, v96, v98 :: v_dual_cndmask_b32 v97, v97, v99
	v_lshl_add_u32 v96, v96, 23, 0x3b800000
	s_delay_alu instid0(VALU_DEP_2) | instskip(NEXT) | instid1(VALU_DEP_1)
	v_lshlrev_b32_e32 v97, 20, v97
	v_or3_b32 v96, v16, v96, v97
.LBB4_2239:                             ;   in Loop: Header=BB4_2093 Depth=2
	s_or_b32 exec_lo, exec_lo, s25
	s_delay_alu instid0(VALU_DEP_1) | instskip(SKIP_1) | instid1(VALU_DEP_1)
	v_dual_mul_f32 v16, v17, v96 :: v_dual_mov_b32 v101, 0x80
	s_mov_b32 s25, exec_lo
	v_and_b32_e32 v96, 0x7f800000, v16
	s_delay_alu instid0(VALU_DEP_1)
	v_cmpx_ne_u32_e32 0x7f800000, v96
	s_cbranch_execz .LBB4_2247
; %bb.2240:                             ;   in Loop: Header=BB4_2093 Depth=2
	v_mov_b32_e32 v101, 0
	s_mov_b32 s26, exec_lo
	v_cmpx_ne_u32_e32 0, v16
	s_cbranch_execz .LBB4_2246
; %bb.2241:                             ;   in Loop: Header=BB4_2093 Depth=2
	v_bfe_u32 v96, v16, 23, 8
	s_delay_alu instid0(VALU_DEP_1) | instskip(SKIP_1) | instid1(VALU_DEP_2)
	v_sub_nc_u32_e32 v98, 0x78, v96
	v_cmp_gt_u32_e32 vcc_lo, 0x79, v96
	v_dual_cndmask_b32 v98, 0, v98 :: v_dual_and_b32 v97, 0x7fffff, v16
	s_delay_alu instid0(VALU_DEP_1) | instskip(SKIP_2) | instid1(VALU_DEP_4)
	v_or_b32_e32 v99, 0x800000, v97
	v_cmp_eq_u32_e32 vcc_lo, 0, v96
	v_add_nc_u32_e32 v96, 0xffffff89, v96
	v_cndmask_b32_e64 v98, v98, 0x77, vcc_lo
	s_delay_alu instid0(VALU_DEP_4) | instskip(NEXT) | instid1(VALU_DEP_3)
	v_cndmask_b32_e32 v97, v99, v97, vcc_lo
	v_cndmask_b32_e64 v96, v96, 0xffffff8a, vcc_lo
	s_delay_alu instid0(VALU_DEP_3) | instskip(NEXT) | instid1(VALU_DEP_3)
	v_lshl_add_u32 v99, 0x100000, v98, -1
	v_lshrrev_b32_e32 v101, v98, v97
	v_lshlrev_b32_e64 v116, v98, 0x80000
	s_delay_alu instid0(VALU_DEP_4) | instskip(NEXT) | instid1(VALU_DEP_4)
	v_add_nc_u32_e32 v98, v98, v96
	v_and_b32_e32 v97, v99, v97
	s_delay_alu instid0(VALU_DEP_4) | instskip(NEXT) | instid1(VALU_DEP_2)
	v_bfe_u32 v103, v101, 20, 1
	v_cmp_eq_u32_e64 s11, v97, v116
	s_delay_alu instid0(VALU_DEP_2) | instskip(NEXT) | instid1(VALU_DEP_1)
	v_add_nc_u32_e32 v99, -1, v103
	v_cndmask_b32_e64 v97, 0, v99, s11
	v_lshrrev_b32_e32 v99, 23, v101
	s_mov_b32 s11, exec_lo
	s_delay_alu instid0(VALU_DEP_2) | instskip(NEXT) | instid1(VALU_DEP_2)
	v_add_nc_u32_e32 v97, v97, v101
	v_xor_b32_e32 v99, 1, v99
	s_delay_alu instid0(VALU_DEP_2) | instskip(NEXT) | instid1(VALU_DEP_1)
	v_and_b32_e32 v96, 0xfffff, v97
	v_add_nc_u32_e32 v97, v96, v101
                                        ; implicit-def: $vgpr96
	s_delay_alu instid0(VALU_DEP_3)
	v_cmpx_ne_u32_e64 v98, v99
	s_xor_b32 s11, exec_lo, s11
; %bb.2242:                             ;   in Loop: Header=BB4_2093 Depth=2
	s_delay_alu instid0(VALU_DEP_2) | instskip(SKIP_2) | instid1(VALU_DEP_2)
	v_cmp_lt_u32_e32 vcc_lo, 0xffffff, v97
	v_sub_nc_u32_e32 v96, v98, v99
	v_cndmask_b32_e64 v98, 0, 1, vcc_lo
	v_add_co_ci_u32_e32 v96, vcc_lo, 0, v96, vcc_lo
	s_delay_alu instid0(VALU_DEP_2)
	v_lshrrev_b32_e32 v97, v98, v97
; %bb.2243:                             ;   in Loop: Header=BB4_2093 Depth=2
	s_and_not1_saveexec_b32 s11, s11
; %bb.2244:                             ;   in Loop: Header=BB4_2093 Depth=2
	s_delay_alu instid0(VALU_DEP_1)
	v_bfe_u32 v96, v97, 23, 1
; %bb.2245:                             ;   in Loop: Header=BB4_2093 Depth=2
	s_or_b32 exec_lo, exec_lo, s11
	v_lshrrev_b32_e32 v97, 20, v97
	s_delay_alu instid0(VALU_DEP_2) | instskip(SKIP_2) | instid1(VALU_DEP_2)
	v_cmp_gt_i32_e32 vcc_lo, 16, v96
	v_lshrrev_b32_e32 v16, 24, v16
	v_min_i32_e32 v98, 15, v96
	v_dual_cndmask_b32 v97, 7, v97 :: v_dual_and_b32 v16, 0x80, v16
	s_delay_alu instid0(VALU_DEP_1) | instskip(SKIP_1) | instid1(VALU_DEP_2)
	v_or_b32_e32 v96, v96, v97
	v_and_b32_e32 v99, 7, v97
	v_cmp_ne_u32_e32 vcc_lo, 0, v96
	v_lshlrev_b32_e32 v98, 3, v98
	s_delay_alu instid0(VALU_DEP_1) | instskip(NEXT) | instid1(VALU_DEP_1)
	v_or3_b32 v16, v98, v16, v99
	v_cndmask_b32_e32 v101, 0, v16, vcc_lo
.LBB4_2246:                             ;   in Loop: Header=BB4_2093 Depth=2
	s_or_b32 exec_lo, exec_lo, s26
.LBB4_2247:                             ;   in Loop: Header=BB4_2093 Depth=2
	s_delay_alu instid0(SALU_CYCLE_1)
	s_or_b32 exec_lo, exec_lo, s25
	flat_load_u8 v16, v[10:11] offset:384 slc dlc
	s_mov_b32 s11, 0
	s_mov_b32 s26, exec_lo
                                        ; implicit-def: $sgpr25
	s_waitcnt vmcnt(0) lgkmcnt(0)
	v_cmpx_lt_i16_e32 0x7f, v16
	s_xor_b32 s26, exec_lo, s26
	s_cbranch_execnz .LBB4_2600
; %bb.2248:                             ;   in Loop: Header=BB4_2093 Depth=2
	s_or_saveexec_b32 s26, s26
	v_mov_b32_e32 v96, s25
	s_xor_b32 exec_lo, exec_lo, s26
	s_cbranch_execnz .LBB4_2603
.LBB4_2249:                             ;   in Loop: Header=BB4_2093 Depth=2
	s_or_b32 exec_lo, exec_lo, s26
	s_and_saveexec_b32 s25, s11
	s_cbranch_execz .LBB4_2251
.LBB4_2250:                             ;   in Loop: Header=BB4_2093 Depth=2
	v_and_b32_e32 v96, 0xffff, v16
	v_lshlrev_b32_e32 v16, 24, v16
	s_delay_alu instid0(VALU_DEP_2) | instskip(NEXT) | instid1(VALU_DEP_2)
	v_and_b32_e32 v97, 7, v96
	v_and_b32_e32 v16, 0x80000000, v16
	s_delay_alu instid0(VALU_DEP_2) | instskip(NEXT) | instid1(VALU_DEP_1)
	v_clz_i32_u32_e32 v98, v97
	v_min_u32_e32 v98, 32, v98
	s_delay_alu instid0(VALU_DEP_1) | instskip(SKIP_1) | instid1(VALU_DEP_2)
	v_subrev_nc_u32_e32 v99, 28, v98
	v_sub_nc_u32_e32 v98, 29, v98
	v_lshlrev_b32_e32 v99, v99, v96
	v_bfe_u32 v96, v96, 3, 4
	s_delay_alu instid0(VALU_DEP_2) | instskip(NEXT) | instid1(VALU_DEP_2)
	v_and_b32_e32 v99, 7, v99
	v_cmp_eq_u32_e32 vcc_lo, 0, v96
	s_delay_alu instid0(VALU_DEP_2) | instskip(NEXT) | instid1(VALU_DEP_1)
	v_dual_cndmask_b32 v96, v96, v98 :: v_dual_cndmask_b32 v97, v97, v99
	v_lshl_add_u32 v96, v96, 23, 0x3b800000
	s_delay_alu instid0(VALU_DEP_2) | instskip(NEXT) | instid1(VALU_DEP_1)
	v_lshlrev_b32_e32 v97, 20, v97
	v_or3_b32 v96, v16, v96, v97
.LBB4_2251:                             ;   in Loop: Header=BB4_2093 Depth=2
	s_or_b32 exec_lo, exec_lo, s25
	s_delay_alu instid0(VALU_DEP_1) | instskip(SKIP_1) | instid1(VALU_DEP_1)
	v_dual_mul_f32 v16, v17, v96 :: v_dual_mov_b32 v99, 0x80
	s_mov_b32 s25, exec_lo
	v_and_b32_e32 v96, 0x7f800000, v16
	s_delay_alu instid0(VALU_DEP_1)
	v_cmpx_ne_u32_e32 0x7f800000, v96
	s_cbranch_execz .LBB4_2259
; %bb.2252:                             ;   in Loop: Header=BB4_2093 Depth=2
	v_mov_b32_e32 v99, 0
	s_mov_b32 s26, exec_lo
	v_cmpx_ne_u32_e32 0, v16
	s_cbranch_execz .LBB4_2258
; %bb.2253:                             ;   in Loop: Header=BB4_2093 Depth=2
	v_bfe_u32 v96, v16, 23, 8
	s_delay_alu instid0(VALU_DEP_1) | instskip(SKIP_1) | instid1(VALU_DEP_2)
	v_sub_nc_u32_e32 v98, 0x78, v96
	v_cmp_gt_u32_e32 vcc_lo, 0x79, v96
	v_dual_cndmask_b32 v98, 0, v98 :: v_dual_and_b32 v97, 0x7fffff, v16
	s_delay_alu instid0(VALU_DEP_1) | instskip(SKIP_2) | instid1(VALU_DEP_4)
	v_or_b32_e32 v99, 0x800000, v97
	v_cmp_eq_u32_e32 vcc_lo, 0, v96
	v_add_nc_u32_e32 v96, 0xffffff89, v96
	v_cndmask_b32_e64 v98, v98, 0x77, vcc_lo
	s_delay_alu instid0(VALU_DEP_4) | instskip(NEXT) | instid1(VALU_DEP_3)
	v_cndmask_b32_e32 v97, v99, v97, vcc_lo
	v_cndmask_b32_e64 v96, v96, 0xffffff8a, vcc_lo
	s_delay_alu instid0(VALU_DEP_3) | instskip(NEXT) | instid1(VALU_DEP_3)
	v_lshl_add_u32 v99, 0x100000, v98, -1
	v_lshrrev_b32_e32 v103, v98, v97
	v_lshlrev_b32_e64 v129, v98, 0x80000
	s_delay_alu instid0(VALU_DEP_4) | instskip(NEXT) | instid1(VALU_DEP_4)
	v_add_nc_u32_e32 v98, v98, v96
	v_and_b32_e32 v97, v99, v97
	s_delay_alu instid0(VALU_DEP_4) | instskip(NEXT) | instid1(VALU_DEP_2)
	v_bfe_u32 v116, v103, 20, 1
	v_cmp_eq_u32_e64 s11, v97, v129
	s_delay_alu instid0(VALU_DEP_2) | instskip(NEXT) | instid1(VALU_DEP_1)
	v_add_nc_u32_e32 v99, -1, v116
	v_cndmask_b32_e64 v97, 0, v99, s11
	v_lshrrev_b32_e32 v99, 23, v103
	s_mov_b32 s11, exec_lo
	s_delay_alu instid0(VALU_DEP_2) | instskip(NEXT) | instid1(VALU_DEP_2)
	v_add_nc_u32_e32 v97, v97, v103
	v_xor_b32_e32 v99, 1, v99
	s_delay_alu instid0(VALU_DEP_2) | instskip(NEXT) | instid1(VALU_DEP_1)
	v_and_b32_e32 v96, 0xfffff, v97
	v_add_nc_u32_e32 v97, v96, v103
                                        ; implicit-def: $vgpr96
	s_delay_alu instid0(VALU_DEP_3)
	v_cmpx_ne_u32_e64 v98, v99
	s_xor_b32 s11, exec_lo, s11
; %bb.2254:                             ;   in Loop: Header=BB4_2093 Depth=2
	s_delay_alu instid0(VALU_DEP_2) | instskip(SKIP_2) | instid1(VALU_DEP_2)
	v_cmp_lt_u32_e32 vcc_lo, 0xffffff, v97
	v_sub_nc_u32_e32 v96, v98, v99
	v_cndmask_b32_e64 v98, 0, 1, vcc_lo
	v_add_co_ci_u32_e32 v96, vcc_lo, 0, v96, vcc_lo
	s_delay_alu instid0(VALU_DEP_2)
	v_lshrrev_b32_e32 v97, v98, v97
; %bb.2255:                             ;   in Loop: Header=BB4_2093 Depth=2
	s_and_not1_saveexec_b32 s11, s11
; %bb.2256:                             ;   in Loop: Header=BB4_2093 Depth=2
	s_delay_alu instid0(VALU_DEP_1)
	v_bfe_u32 v96, v97, 23, 1
; %bb.2257:                             ;   in Loop: Header=BB4_2093 Depth=2
	s_or_b32 exec_lo, exec_lo, s11
	v_lshrrev_b32_e32 v97, 20, v97
	s_delay_alu instid0(VALU_DEP_2) | instskip(SKIP_2) | instid1(VALU_DEP_2)
	v_cmp_gt_i32_e32 vcc_lo, 16, v96
	v_lshrrev_b32_e32 v16, 24, v16
	v_min_i32_e32 v98, 15, v96
	v_dual_cndmask_b32 v97, 7, v97 :: v_dual_and_b32 v16, 0x80, v16
	s_delay_alu instid0(VALU_DEP_1) | instskip(SKIP_1) | instid1(VALU_DEP_2)
	v_or_b32_e32 v96, v96, v97
	v_and_b32_e32 v99, 7, v97
	v_cmp_ne_u32_e32 vcc_lo, 0, v96
	v_lshlrev_b32_e32 v98, 3, v98
	s_delay_alu instid0(VALU_DEP_1) | instskip(NEXT) | instid1(VALU_DEP_1)
	v_or3_b32 v16, v98, v16, v99
	v_cndmask_b32_e32 v99, 0, v16, vcc_lo
.LBB4_2258:                             ;   in Loop: Header=BB4_2093 Depth=2
	s_or_b32 exec_lo, exec_lo, s26
.LBB4_2259:                             ;   in Loop: Header=BB4_2093 Depth=2
	s_delay_alu instid0(SALU_CYCLE_1)
	s_or_b32 exec_lo, exec_lo, s25
	flat_load_u8 v16, v[10:11] offset:416 slc dlc
	s_mov_b32 s11, 0
	s_mov_b32 s26, exec_lo
                                        ; implicit-def: $sgpr25
	s_waitcnt vmcnt(0) lgkmcnt(0)
	v_cmpx_lt_i16_e32 0x7f, v16
	s_xor_b32 s26, exec_lo, s26
	s_cbranch_execnz .LBB4_2604
; %bb.2260:                             ;   in Loop: Header=BB4_2093 Depth=2
	s_or_saveexec_b32 s26, s26
	v_mov_b32_e32 v96, s25
	s_xor_b32 exec_lo, exec_lo, s26
	s_cbranch_execnz .LBB4_2607
.LBB4_2261:                             ;   in Loop: Header=BB4_2093 Depth=2
	s_or_b32 exec_lo, exec_lo, s26
	s_and_saveexec_b32 s25, s11
	s_cbranch_execz .LBB4_2263
.LBB4_2262:                             ;   in Loop: Header=BB4_2093 Depth=2
	v_and_b32_e32 v96, 0xffff, v16
	v_lshlrev_b32_e32 v16, 24, v16
	s_delay_alu instid0(VALU_DEP_2) | instskip(NEXT) | instid1(VALU_DEP_2)
	v_and_b32_e32 v97, 7, v96
	v_and_b32_e32 v16, 0x80000000, v16
	s_delay_alu instid0(VALU_DEP_2) | instskip(NEXT) | instid1(VALU_DEP_1)
	v_clz_i32_u32_e32 v98, v97
	v_min_u32_e32 v98, 32, v98
	s_delay_alu instid0(VALU_DEP_1) | instskip(SKIP_1) | instid1(VALU_DEP_2)
	v_subrev_nc_u32_e32 v103, 28, v98
	v_sub_nc_u32_e32 v98, 29, v98
	v_lshlrev_b32_e32 v103, v103, v96
	v_bfe_u32 v96, v96, 3, 4
	s_delay_alu instid0(VALU_DEP_2) | instskip(NEXT) | instid1(VALU_DEP_2)
	v_and_b32_e32 v103, 7, v103
	v_cmp_eq_u32_e32 vcc_lo, 0, v96
	s_delay_alu instid0(VALU_DEP_2) | instskip(NEXT) | instid1(VALU_DEP_1)
	v_dual_cndmask_b32 v96, v96, v98 :: v_dual_cndmask_b32 v97, v97, v103
	v_lshl_add_u32 v96, v96, 23, 0x3b800000
	s_delay_alu instid0(VALU_DEP_2) | instskip(NEXT) | instid1(VALU_DEP_1)
	v_lshlrev_b32_e32 v97, 20, v97
	v_or3_b32 v96, v16, v96, v97
.LBB4_2263:                             ;   in Loop: Header=BB4_2093 Depth=2
	s_or_b32 exec_lo, exec_lo, s25
	s_delay_alu instid0(VALU_DEP_1) | instskip(SKIP_1) | instid1(VALU_DEP_1)
	v_dual_mul_f32 v16, v17, v96 :: v_dual_mov_b32 v97, 0x80
	s_mov_b32 s25, exec_lo
	v_and_b32_e32 v96, 0x7f800000, v16
	s_delay_alu instid0(VALU_DEP_1)
	v_cmpx_ne_u32_e32 0x7f800000, v96
	s_cbranch_execz .LBB4_2271
; %bb.2264:                             ;   in Loop: Header=BB4_2093 Depth=2
	v_mov_b32_e32 v97, 0
	s_mov_b32 s26, exec_lo
	v_cmpx_ne_u32_e32 0, v16
	s_cbranch_execz .LBB4_2270
; %bb.2265:                             ;   in Loop: Header=BB4_2093 Depth=2
	v_bfe_u32 v96, v16, 23, 8
	s_delay_alu instid0(VALU_DEP_1) | instskip(SKIP_1) | instid1(VALU_DEP_2)
	v_sub_nc_u32_e32 v98, 0x78, v96
	v_cmp_gt_u32_e32 vcc_lo, 0x79, v96
	v_dual_cndmask_b32 v98, 0, v98 :: v_dual_and_b32 v97, 0x7fffff, v16
	s_delay_alu instid0(VALU_DEP_1) | instskip(SKIP_2) | instid1(VALU_DEP_4)
	v_or_b32_e32 v103, 0x800000, v97
	v_cmp_eq_u32_e32 vcc_lo, 0, v96
	v_add_nc_u32_e32 v96, 0xffffff89, v96
	v_cndmask_b32_e64 v98, v98, 0x77, vcc_lo
	s_delay_alu instid0(VALU_DEP_4) | instskip(NEXT) | instid1(VALU_DEP_3)
	v_cndmask_b32_e32 v97, v103, v97, vcc_lo
	v_cndmask_b32_e64 v96, v96, 0xffffff8a, vcc_lo
	s_delay_alu instid0(VALU_DEP_3) | instskip(NEXT) | instid1(VALU_DEP_3)
	v_lshl_add_u32 v103, 0x100000, v98, -1
	v_lshrrev_b32_e32 v116, v98, v97
	v_lshlrev_b32_e64 v130, v98, 0x80000
	s_delay_alu instid0(VALU_DEP_4) | instskip(NEXT) | instid1(VALU_DEP_4)
	v_add_nc_u32_e32 v98, v98, v96
	v_and_b32_e32 v97, v103, v97
	s_delay_alu instid0(VALU_DEP_4) | instskip(NEXT) | instid1(VALU_DEP_2)
	v_bfe_u32 v129, v116, 20, 1
	v_cmp_eq_u32_e64 s11, v97, v130
	s_delay_alu instid0(VALU_DEP_2) | instskip(NEXT) | instid1(VALU_DEP_1)
	v_add_nc_u32_e32 v103, -1, v129
	v_cndmask_b32_e64 v97, 0, v103, s11
	v_lshrrev_b32_e32 v103, 23, v116
	s_mov_b32 s11, exec_lo
	s_delay_alu instid0(VALU_DEP_2) | instskip(NEXT) | instid1(VALU_DEP_2)
	v_add_nc_u32_e32 v97, v97, v116
	v_xor_b32_e32 v103, 1, v103
	s_delay_alu instid0(VALU_DEP_2) | instskip(NEXT) | instid1(VALU_DEP_1)
	v_and_b32_e32 v96, 0xfffff, v97
	v_add_nc_u32_e32 v97, v96, v116
                                        ; implicit-def: $vgpr96
	s_delay_alu instid0(VALU_DEP_3)
	v_cmpx_ne_u32_e64 v98, v103
	s_xor_b32 s11, exec_lo, s11
; %bb.2266:                             ;   in Loop: Header=BB4_2093 Depth=2
	s_delay_alu instid0(VALU_DEP_2) | instskip(SKIP_2) | instid1(VALU_DEP_2)
	v_cmp_lt_u32_e32 vcc_lo, 0xffffff, v97
	v_sub_nc_u32_e32 v96, v98, v103
	v_cndmask_b32_e64 v98, 0, 1, vcc_lo
	v_add_co_ci_u32_e32 v96, vcc_lo, 0, v96, vcc_lo
	s_delay_alu instid0(VALU_DEP_2)
	v_lshrrev_b32_e32 v97, v98, v97
; %bb.2267:                             ;   in Loop: Header=BB4_2093 Depth=2
	s_and_not1_saveexec_b32 s11, s11
; %bb.2268:                             ;   in Loop: Header=BB4_2093 Depth=2
	s_delay_alu instid0(VALU_DEP_1)
	v_bfe_u32 v96, v97, 23, 1
; %bb.2269:                             ;   in Loop: Header=BB4_2093 Depth=2
	s_or_b32 exec_lo, exec_lo, s11
	v_lshrrev_b32_e32 v97, 20, v97
	s_delay_alu instid0(VALU_DEP_2) | instskip(SKIP_2) | instid1(VALU_DEP_2)
	v_cmp_gt_i32_e32 vcc_lo, 16, v96
	v_lshrrev_b32_e32 v16, 24, v16
	v_min_i32_e32 v98, 15, v96
	v_dual_cndmask_b32 v97, 7, v97 :: v_dual_and_b32 v16, 0x80, v16
	s_delay_alu instid0(VALU_DEP_1) | instskip(SKIP_1) | instid1(VALU_DEP_2)
	v_or_b32_e32 v96, v96, v97
	v_and_b32_e32 v103, 7, v97
	v_cmp_ne_u32_e32 vcc_lo, 0, v96
	v_lshlrev_b32_e32 v98, 3, v98
	s_delay_alu instid0(VALU_DEP_1) | instskip(NEXT) | instid1(VALU_DEP_1)
	v_or3_b32 v16, v98, v16, v103
	v_cndmask_b32_e32 v97, 0, v16, vcc_lo
.LBB4_2270:                             ;   in Loop: Header=BB4_2093 Depth=2
	s_or_b32 exec_lo, exec_lo, s26
.LBB4_2271:                             ;   in Loop: Header=BB4_2093 Depth=2
	s_delay_alu instid0(SALU_CYCLE_1)
	s_or_b32 exec_lo, exec_lo, s25
	flat_load_u8 v16, v[10:11] offset:448 slc dlc
	s_mov_b32 s11, 0
	s_mov_b32 s26, exec_lo
                                        ; implicit-def: $sgpr25
	s_waitcnt vmcnt(0) lgkmcnt(0)
	v_cmpx_lt_i16_e32 0x7f, v16
	s_xor_b32 s26, exec_lo, s26
	s_cbranch_execnz .LBB4_2608
; %bb.2272:                             ;   in Loop: Header=BB4_2093 Depth=2
	s_or_saveexec_b32 s26, s26
	v_mov_b32_e32 v96, s25
	s_xor_b32 exec_lo, exec_lo, s26
	s_cbranch_execnz .LBB4_2611
.LBB4_2273:                             ;   in Loop: Header=BB4_2093 Depth=2
	s_or_b32 exec_lo, exec_lo, s26
	s_and_saveexec_b32 s25, s11
	s_cbranch_execz .LBB4_2275
.LBB4_2274:                             ;   in Loop: Header=BB4_2093 Depth=2
	v_and_b32_e32 v96, 0xffff, v16
	v_lshlrev_b32_e32 v16, 24, v16
	s_delay_alu instid0(VALU_DEP_2) | instskip(NEXT) | instid1(VALU_DEP_2)
	v_and_b32_e32 v98, 7, v96
	v_and_b32_e32 v16, 0x80000000, v16
	s_delay_alu instid0(VALU_DEP_2) | instskip(NEXT) | instid1(VALU_DEP_1)
	v_clz_i32_u32_e32 v103, v98
	v_min_u32_e32 v103, 32, v103
	s_delay_alu instid0(VALU_DEP_1) | instskip(SKIP_1) | instid1(VALU_DEP_2)
	v_subrev_nc_u32_e32 v116, 28, v103
	v_sub_nc_u32_e32 v103, 29, v103
	v_lshlrev_b32_e32 v116, v116, v96
	v_bfe_u32 v96, v96, 3, 4
	s_delay_alu instid0(VALU_DEP_2) | instskip(NEXT) | instid1(VALU_DEP_2)
	v_and_b32_e32 v116, 7, v116
	v_cmp_eq_u32_e32 vcc_lo, 0, v96
	v_cndmask_b32_e32 v96, v96, v103, vcc_lo
	s_delay_alu instid0(VALU_DEP_3) | instskip(NEXT) | instid1(VALU_DEP_2)
	v_cndmask_b32_e32 v98, v98, v116, vcc_lo
	v_lshl_add_u32 v96, v96, 23, 0x3b800000
	s_delay_alu instid0(VALU_DEP_2) | instskip(NEXT) | instid1(VALU_DEP_1)
	v_lshlrev_b32_e32 v98, 20, v98
	v_or3_b32 v96, v16, v96, v98
.LBB4_2275:                             ;   in Loop: Header=BB4_2093 Depth=2
	s_or_b32 exec_lo, exec_lo, s25
	s_delay_alu instid0(VALU_DEP_1) | instskip(NEXT) | instid1(VALU_DEP_1)
	v_mul_f32_e32 v16, v17, v96
	v_and_b32_e32 v96, 0x7f800000, v16
	s_delay_alu instid0(VALU_DEP_1)
	v_cmp_ne_u32_e32 vcc_lo, 0x7f800000, v96
	v_mov_b32_e32 v96, 0x80
	s_and_saveexec_b32 s25, vcc_lo
	s_cbranch_execz .LBB4_2283
; %bb.2276:                             ;   in Loop: Header=BB4_2093 Depth=2
	v_mov_b32_e32 v96, 0
	s_mov_b32 s26, exec_lo
	v_cmpx_ne_u32_e32 0, v16
	s_cbranch_execz .LBB4_2282
; %bb.2277:                             ;   in Loop: Header=BB4_2093 Depth=2
	v_bfe_u32 v96, v16, 23, 8
	s_delay_alu instid0(VALU_DEP_1) | instskip(SKIP_1) | instid1(VALU_DEP_2)
	v_sub_nc_u32_e32 v103, 0x78, v96
	v_cmp_gt_u32_e32 vcc_lo, 0x79, v96
	v_dual_cndmask_b32 v103, 0, v103 :: v_dual_and_b32 v98, 0x7fffff, v16
	s_delay_alu instid0(VALU_DEP_1) | instskip(SKIP_2) | instid1(VALU_DEP_4)
	v_or_b32_e32 v116, 0x800000, v98
	v_cmp_eq_u32_e32 vcc_lo, 0, v96
	v_add_nc_u32_e32 v96, 0xffffff89, v96
	v_cndmask_b32_e64 v103, v103, 0x77, vcc_lo
	s_delay_alu instid0(VALU_DEP_2) | instskip(SKIP_1) | instid1(VALU_DEP_3)
	v_cndmask_b32_e64 v96, v96, 0xffffff8a, vcc_lo
	v_cndmask_b32_e32 v98, v116, v98, vcc_lo
	v_lshl_add_u32 v116, 0x100000, v103, -1
	v_lshlrev_b32_e64 v131, v103, 0x80000
	s_delay_alu instid0(VALU_DEP_3) | instskip(SKIP_1) | instid1(VALU_DEP_4)
	v_lshrrev_b32_e32 v129, v103, v98
	v_add_nc_u32_e32 v103, v103, v96
	v_and_b32_e32 v98, v116, v98
	s_delay_alu instid0(VALU_DEP_3) | instskip(NEXT) | instid1(VALU_DEP_2)
	v_bfe_u32 v130, v129, 20, 1
	v_cmp_eq_u32_e64 s11, v98, v131
	s_delay_alu instid0(VALU_DEP_2) | instskip(NEXT) | instid1(VALU_DEP_1)
	v_add_nc_u32_e32 v116, -1, v130
	v_cndmask_b32_e64 v98, 0, v116, s11
	v_lshrrev_b32_e32 v116, 23, v129
	s_mov_b32 s11, exec_lo
	s_delay_alu instid0(VALU_DEP_2) | instskip(NEXT) | instid1(VALU_DEP_2)
	v_add_nc_u32_e32 v98, v98, v129
	v_xor_b32_e32 v116, 1, v116
	s_delay_alu instid0(VALU_DEP_2) | instskip(NEXT) | instid1(VALU_DEP_1)
	v_and_b32_e32 v96, 0xfffff, v98
	v_add_nc_u32_e32 v98, v96, v129
                                        ; implicit-def: $vgpr96
	s_delay_alu instid0(VALU_DEP_3)
	v_cmpx_ne_u32_e64 v103, v116
	s_xor_b32 s11, exec_lo, s11
; %bb.2278:                             ;   in Loop: Header=BB4_2093 Depth=2
	s_delay_alu instid0(VALU_DEP_2) | instskip(SKIP_2) | instid1(VALU_DEP_2)
	v_cmp_lt_u32_e32 vcc_lo, 0xffffff, v98
	v_sub_nc_u32_e32 v96, v103, v116
	v_cndmask_b32_e64 v103, 0, 1, vcc_lo
	v_add_co_ci_u32_e32 v96, vcc_lo, 0, v96, vcc_lo
	s_delay_alu instid0(VALU_DEP_2)
	v_lshrrev_b32_e32 v98, v103, v98
; %bb.2279:                             ;   in Loop: Header=BB4_2093 Depth=2
	s_and_not1_saveexec_b32 s11, s11
; %bb.2280:                             ;   in Loop: Header=BB4_2093 Depth=2
	s_delay_alu instid0(VALU_DEP_1)
	v_bfe_u32 v96, v98, 23, 1
; %bb.2281:                             ;   in Loop: Header=BB4_2093 Depth=2
	s_or_b32 exec_lo, exec_lo, s11
	v_lshrrev_b32_e32 v98, 20, v98
	s_delay_alu instid0(VALU_DEP_2) | instskip(SKIP_2) | instid1(VALU_DEP_4)
	v_cmp_gt_i32_e32 vcc_lo, 16, v96
	v_lshrrev_b32_e32 v16, 24, v16
	v_min_i32_e32 v103, 15, v96
	v_cndmask_b32_e32 v98, 7, v98, vcc_lo
	s_delay_alu instid0(VALU_DEP_3) | instskip(NEXT) | instid1(VALU_DEP_3)
	v_and_b32_e32 v16, 0x80, v16
	v_lshlrev_b32_e32 v103, 3, v103
	s_delay_alu instid0(VALU_DEP_3) | instskip(SKIP_1) | instid1(VALU_DEP_2)
	v_and_b32_e32 v116, 7, v98
	v_or_b32_e32 v96, v96, v98
	v_or3_b32 v16, v103, v16, v116
	s_delay_alu instid0(VALU_DEP_2) | instskip(NEXT) | instid1(VALU_DEP_2)
	v_cmp_ne_u32_e32 vcc_lo, 0, v96
	v_cndmask_b32_e32 v96, 0, v16, vcc_lo
.LBB4_2282:                             ;   in Loop: Header=BB4_2093 Depth=2
	s_or_b32 exec_lo, exec_lo, s26
.LBB4_2283:                             ;   in Loop: Header=BB4_2093 Depth=2
	s_delay_alu instid0(SALU_CYCLE_1)
	s_or_b32 exec_lo, exec_lo, s25
	flat_load_u8 v16, v[10:11] offset:480 slc dlc
	s_mov_b32 s11, 0
	s_mov_b32 s26, exec_lo
                                        ; implicit-def: $sgpr25
	s_waitcnt vmcnt(0) lgkmcnt(0)
	v_cmpx_lt_i16_e32 0x7f, v16
	s_xor_b32 s26, exec_lo, s26
	s_cbranch_execnz .LBB4_2612
; %bb.2284:                             ;   in Loop: Header=BB4_2093 Depth=2
	s_or_saveexec_b32 s26, s26
	v_mov_b32_e32 v98, s25
	s_xor_b32 exec_lo, exec_lo, s26
	s_cbranch_execnz .LBB4_2615
.LBB4_2285:                             ;   in Loop: Header=BB4_2093 Depth=2
	s_or_b32 exec_lo, exec_lo, s26
	s_and_saveexec_b32 s25, s11
	s_cbranch_execz .LBB4_2287
.LBB4_2286:                             ;   in Loop: Header=BB4_2093 Depth=2
	v_and_b32_e32 v98, 0xffff, v16
	v_lshlrev_b32_e32 v16, 24, v16
	s_delay_alu instid0(VALU_DEP_2) | instskip(NEXT) | instid1(VALU_DEP_2)
	v_and_b32_e32 v103, 7, v98
	v_and_b32_e32 v16, 0x80000000, v16
	s_delay_alu instid0(VALU_DEP_2) | instskip(NEXT) | instid1(VALU_DEP_1)
	v_clz_i32_u32_e32 v116, v103
	v_min_u32_e32 v116, 32, v116
	s_delay_alu instid0(VALU_DEP_1) | instskip(SKIP_1) | instid1(VALU_DEP_2)
	v_subrev_nc_u32_e32 v129, 28, v116
	v_sub_nc_u32_e32 v116, 29, v116
	v_lshlrev_b32_e32 v129, v129, v98
	v_bfe_u32 v98, v98, 3, 4
	s_delay_alu instid0(VALU_DEP_2) | instskip(NEXT) | instid1(VALU_DEP_2)
	v_and_b32_e32 v129, 7, v129
	v_cmp_eq_u32_e32 vcc_lo, 0, v98
	s_delay_alu instid0(VALU_DEP_2) | instskip(NEXT) | instid1(VALU_DEP_1)
	v_dual_cndmask_b32 v98, v98, v116 :: v_dual_cndmask_b32 v103, v103, v129
	v_lshl_add_u32 v98, v98, 23, 0x3b800000
	s_delay_alu instid0(VALU_DEP_2) | instskip(NEXT) | instid1(VALU_DEP_1)
	v_lshlrev_b32_e32 v103, 20, v103
	v_or3_b32 v98, v16, v98, v103
.LBB4_2287:                             ;   in Loop: Header=BB4_2093 Depth=2
	s_or_b32 exec_lo, exec_lo, s25
	s_delay_alu instid0(VALU_DEP_1) | instskip(NEXT) | instid1(VALU_DEP_1)
	v_mul_f32_e32 v16, v17, v98
	v_and_b32_e32 v17, 0x7f800000, v16
	s_delay_alu instid0(VALU_DEP_1)
	v_cmp_ne_u32_e32 vcc_lo, 0x7f800000, v17
	v_mov_b32_e32 v17, 0x80
	s_and_saveexec_b32 s25, vcc_lo
	s_cbranch_execz .LBB4_2295
; %bb.2288:                             ;   in Loop: Header=BB4_2093 Depth=2
	v_mov_b32_e32 v17, 0
	s_mov_b32 s26, exec_lo
	v_cmpx_ne_u32_e32 0, v16
	s_cbranch_execz .LBB4_2294
; %bb.2289:                             ;   in Loop: Header=BB4_2093 Depth=2
	v_bfe_u32 v17, v16, 23, 8
	s_delay_alu instid0(VALU_DEP_1) | instskip(SKIP_1) | instid1(VALU_DEP_2)
	v_sub_nc_u32_e32 v103, 0x78, v17
	v_cmp_gt_u32_e32 vcc_lo, 0x79, v17
	v_dual_cndmask_b32 v103, 0, v103 :: v_dual_and_b32 v98, 0x7fffff, v16
	s_delay_alu instid0(VALU_DEP_1) | instskip(SKIP_2) | instid1(VALU_DEP_4)
	v_or_b32_e32 v116, 0x800000, v98
	v_cmp_eq_u32_e32 vcc_lo, 0, v17
	v_add_nc_u32_e32 v17, 0xffffff89, v17
	v_cndmask_b32_e64 v103, v103, 0x77, vcc_lo
	s_delay_alu instid0(VALU_DEP_4) | instskip(NEXT) | instid1(VALU_DEP_3)
	v_cndmask_b32_e32 v98, v116, v98, vcc_lo
	v_cndmask_b32_e64 v17, v17, 0xffffff8a, vcc_lo
	s_delay_alu instid0(VALU_DEP_3) | instskip(NEXT) | instid1(VALU_DEP_3)
	v_lshl_add_u32 v116, 0x100000, v103, -1
	v_lshrrev_b32_e32 v129, v103, v98
	v_lshlrev_b32_e64 v131, v103, 0x80000
	s_delay_alu instid0(VALU_DEP_4) | instskip(NEXT) | instid1(VALU_DEP_4)
	v_add_nc_u32_e32 v103, v103, v17
	v_and_b32_e32 v98, v116, v98
	s_delay_alu instid0(VALU_DEP_4) | instskip(NEXT) | instid1(VALU_DEP_2)
	v_bfe_u32 v130, v129, 20, 1
	v_cmp_eq_u32_e64 s11, v98, v131
	s_delay_alu instid0(VALU_DEP_2) | instskip(NEXT) | instid1(VALU_DEP_1)
	v_add_nc_u32_e32 v116, -1, v130
	v_cndmask_b32_e64 v98, 0, v116, s11
	v_lshrrev_b32_e32 v116, 23, v129
	s_mov_b32 s11, exec_lo
	s_delay_alu instid0(VALU_DEP_2) | instskip(NEXT) | instid1(VALU_DEP_2)
	v_add_nc_u32_e32 v98, v98, v129
	v_xor_b32_e32 v116, 1, v116
	s_delay_alu instid0(VALU_DEP_2) | instskip(NEXT) | instid1(VALU_DEP_1)
	v_and_b32_e32 v17, 0xfffff, v98
	v_add_nc_u32_e32 v98, v17, v129
                                        ; implicit-def: $vgpr17
	s_delay_alu instid0(VALU_DEP_3)
	v_cmpx_ne_u32_e64 v103, v116
	s_xor_b32 s11, exec_lo, s11
; %bb.2290:                             ;   in Loop: Header=BB4_2093 Depth=2
	s_delay_alu instid0(VALU_DEP_2) | instskip(SKIP_2) | instid1(VALU_DEP_2)
	v_cmp_lt_u32_e32 vcc_lo, 0xffffff, v98
	v_sub_nc_u32_e32 v17, v103, v116
	v_cndmask_b32_e64 v103, 0, 1, vcc_lo
	v_add_co_ci_u32_e32 v17, vcc_lo, 0, v17, vcc_lo
	s_delay_alu instid0(VALU_DEP_2)
	v_lshrrev_b32_e32 v98, v103, v98
; %bb.2291:                             ;   in Loop: Header=BB4_2093 Depth=2
	s_and_not1_saveexec_b32 s11, s11
; %bb.2292:                             ;   in Loop: Header=BB4_2093 Depth=2
	s_delay_alu instid0(VALU_DEP_1)
	v_bfe_u32 v17, v98, 23, 1
; %bb.2293:                             ;   in Loop: Header=BB4_2093 Depth=2
	s_or_b32 exec_lo, exec_lo, s11
	v_lshrrev_b32_e32 v98, 20, v98
	s_delay_alu instid0(VALU_DEP_2) | instskip(SKIP_2) | instid1(VALU_DEP_2)
	v_cmp_gt_i32_e32 vcc_lo, 16, v17
	v_min_i32_e32 v103, 15, v17
	v_lshrrev_b32_e32 v16, 24, v16
	v_dual_cndmask_b32 v98, 7, v98 :: v_dual_lshlrev_b32 v103, 3, v103
	s_delay_alu instid0(VALU_DEP_2) | instskip(NEXT) | instid1(VALU_DEP_2)
	v_and_b32_e32 v16, 0x80, v16
	v_or_b32_e32 v17, v17, v98
	s_delay_alu instid0(VALU_DEP_1) | instskip(SKIP_1) | instid1(VALU_DEP_1)
	v_cmp_ne_u32_e32 vcc_lo, 0, v17
	v_and_b32_e32 v116, 7, v98
	v_or3_b32 v16, v103, v16, v116
	s_delay_alu instid0(VALU_DEP_1)
	v_cndmask_b32_e32 v17, 0, v16, vcc_lo
.LBB4_2294:                             ;   in Loop: Header=BB4_2093 Depth=2
	s_or_b32 exec_lo, exec_lo, s26
.LBB4_2295:                             ;   in Loop: Header=BB4_2093 Depth=2
	s_delay_alu instid0(SALU_CYCLE_1)
	s_or_b32 exec_lo, exec_lo, s25
	s_clause 0xf
	flat_load_u8 v148, v[12:13] slc dlc
	flat_load_u8 v147, v[12:13] offset:32 slc dlc
	flat_load_u8 v146, v[12:13] offset:64 slc dlc
	;; [unrolled: 1-line block ×15, first 2 shown]
	v_and_b32_e32 v150, 0xff, v55
	s_mov_b32 s11, 0
	s_mov_b32 s26, exec_lo
                                        ; implicit-def: $sgpr25
	s_delay_alu instid0(VALU_DEP_1)
	v_cmpx_lt_i16_e64 0x7f, v150
	s_xor_b32 s26, exec_lo, s26
	s_cbranch_execnz .LBB4_2616
; %bb.2296:                             ;   in Loop: Header=BB4_2093 Depth=2
	s_or_saveexec_b32 s26, s26
	v_mov_b32_e32 v149, s25
	s_xor_b32 exec_lo, exec_lo, s26
	s_cbranch_execnz .LBB4_2619
.LBB4_2297:                             ;   in Loop: Header=BB4_2093 Depth=2
	s_or_b32 exec_lo, exec_lo, s26
	s_and_saveexec_b32 s25, s11
	s_cbranch_execz .LBB4_2299
.LBB4_2298:                             ;   in Loop: Header=BB4_2093 Depth=2
	v_lshrrev_b16 v160, 3, v55
	s_delay_alu instid0(VALU_DEP_1) | instskip(NEXT) | instid1(VALU_DEP_1)
	v_and_b32_e32 v160, 15, v160
	v_cmp_eq_u32_e32 vcc_lo, 0, v160
	v_and_b32_e32 v149, 7, v55
	s_delay_alu instid0(VALU_DEP_1) | instskip(NEXT) | instid1(VALU_DEP_1)
	v_clz_i32_u32_e32 v150, v149
	v_min_u32_e32 v150, 32, v150
	s_delay_alu instid0(VALU_DEP_1) | instskip(SKIP_1) | instid1(VALU_DEP_1)
	v_subrev_nc_u32_e32 v151, 28, v150
	v_sub_nc_u32_e32 v150, 29, v150
	v_dual_cndmask_b32 v150, v160, v150 :: v_dual_lshlrev_b32 v151, v151, v55
	v_lshlrev_b32_e32 v55, 24, v55
	s_delay_alu instid0(VALU_DEP_2) | instskip(NEXT) | instid1(VALU_DEP_3)
	v_and_b32_e32 v151, 7, v151
	v_lshl_add_u32 v150, v150, 23, 0x3b800000
	s_delay_alu instid0(VALU_DEP_3) | instskip(NEXT) | instid1(VALU_DEP_3)
	v_and_b32_e32 v55, 0x80000000, v55
	v_cndmask_b32_e32 v149, v149, v151, vcc_lo
	s_delay_alu instid0(VALU_DEP_1) | instskip(NEXT) | instid1(VALU_DEP_1)
	v_lshlrev_b32_e32 v149, 20, v149
	v_or3_b32 v149, v55, v150, v149
.LBB4_2299:                             ;   in Loop: Header=BB4_2093 Depth=2
	s_or_b32 exec_lo, exec_lo, s25
	s_waitcnt vmcnt(15) lgkmcnt(15)
	v_and_b32_e32 v150, 0xff, v148
	s_mov_b32 s11, 0
	s_mov_b32 s26, exec_lo
                                        ; implicit-def: $sgpr25
	s_delay_alu instid0(VALU_DEP_1)
	v_cmpx_lt_i16_e64 0x7f, v150
	s_xor_b32 s26, exec_lo, s26
	s_cbranch_execnz .LBB4_2620
; %bb.2300:                             ;   in Loop: Header=BB4_2093 Depth=2
	s_or_saveexec_b32 s26, s26
	v_mov_b32_e32 v55, s25
	s_xor_b32 exec_lo, exec_lo, s26
	s_cbranch_execnz .LBB4_2623
.LBB4_2301:                             ;   in Loop: Header=BB4_2093 Depth=2
	s_or_b32 exec_lo, exec_lo, s26
	s_and_saveexec_b32 s25, s11
	s_cbranch_execz .LBB4_2303
.LBB4_2302:                             ;   in Loop: Header=BB4_2093 Depth=2
	v_lshrrev_b16 v160, 3, v148
	s_delay_alu instid0(VALU_DEP_1) | instskip(NEXT) | instid1(VALU_DEP_1)
	v_and_b32_e32 v160, 15, v160
	v_cmp_eq_u32_e32 vcc_lo, 0, v160
	v_and_b32_e32 v55, 7, v148
	s_delay_alu instid0(VALU_DEP_1) | instskip(NEXT) | instid1(VALU_DEP_1)
	v_clz_i32_u32_e32 v150, v55
	v_min_u32_e32 v150, 32, v150
	s_delay_alu instid0(VALU_DEP_1) | instskip(SKIP_1) | instid1(VALU_DEP_1)
	v_subrev_nc_u32_e32 v151, 28, v150
	v_sub_nc_u32_e32 v150, 29, v150
	v_dual_cndmask_b32 v150, v160, v150 :: v_dual_lshlrev_b32 v151, v151, v148
	v_lshlrev_b32_e32 v148, 24, v148
	s_delay_alu instid0(VALU_DEP_2) | instskip(NEXT) | instid1(VALU_DEP_3)
	v_and_b32_e32 v151, 7, v151
	v_lshl_add_u32 v150, v150, 23, 0x3b800000
	s_delay_alu instid0(VALU_DEP_2) | instskip(NEXT) | instid1(VALU_DEP_1)
	v_dual_cndmask_b32 v55, v55, v151 :: v_dual_and_b32 v148, 0x80000000, v148
	v_lshlrev_b32_e32 v55, 20, v55
	s_delay_alu instid0(VALU_DEP_1)
	v_or3_b32 v55, v148, v150, v55
.LBB4_2303:                             ;   in Loop: Header=BB4_2093 Depth=2
	s_or_b32 exec_lo, exec_lo, s25
	s_delay_alu instid0(VALU_DEP_1) | instskip(NEXT) | instid1(VALU_DEP_1)
	v_add_f32_e32 v148, v149, v55
	v_and_b32_e32 v55, 0x7f800000, v148
	s_delay_alu instid0(VALU_DEP_1)
	v_cmp_ne_u32_e32 vcc_lo, 0x7f800000, v55
	v_mov_b32_e32 v55, 0x80
	s_and_saveexec_b32 s25, vcc_lo
	s_cbranch_execz .LBB4_2311
; %bb.2304:                             ;   in Loop: Header=BB4_2093 Depth=2
	v_mov_b32_e32 v55, 0
	s_mov_b32 s26, exec_lo
	v_cmpx_ne_u32_e32 0, v148
	s_cbranch_execz .LBB4_2310
; %bb.2305:                             ;   in Loop: Header=BB4_2093 Depth=2
	v_bfe_u32 v55, v148, 23, 8
	s_delay_alu instid0(VALU_DEP_1) | instskip(SKIP_1) | instid1(VALU_DEP_2)
	v_sub_nc_u32_e32 v150, 0x78, v55
	v_cmp_gt_u32_e32 vcc_lo, 0x79, v55
	v_dual_cndmask_b32 v150, 0, v150 :: v_dual_and_b32 v149, 0x7fffff, v148
	s_delay_alu instid0(VALU_DEP_1) | instskip(SKIP_2) | instid1(VALU_DEP_4)
	v_or_b32_e32 v151, 0x800000, v149
	v_cmp_eq_u32_e32 vcc_lo, 0, v55
	v_add_nc_u32_e32 v55, 0xffffff89, v55
	v_cndmask_b32_e64 v150, v150, 0x77, vcc_lo
	s_delay_alu instid0(VALU_DEP_2) | instskip(SKIP_1) | instid1(VALU_DEP_3)
	v_cndmask_b32_e64 v55, v55, 0xffffff8a, vcc_lo
	v_cndmask_b32_e32 v149, v151, v149, vcc_lo
	v_lshl_add_u32 v151, 0x100000, v150, -1
	v_lshlrev_b32_e64 v162, v150, 0x80000
	s_delay_alu instid0(VALU_DEP_3) | instskip(SKIP_1) | instid1(VALU_DEP_4)
	v_lshrrev_b32_e32 v160, v150, v149
	v_add_nc_u32_e32 v150, v150, v55
	v_and_b32_e32 v149, v151, v149
	s_delay_alu instid0(VALU_DEP_3) | instskip(NEXT) | instid1(VALU_DEP_2)
	v_bfe_u32 v161, v160, 20, 1
	v_cmp_eq_u32_e64 s11, v149, v162
	s_delay_alu instid0(VALU_DEP_2) | instskip(NEXT) | instid1(VALU_DEP_1)
	v_add_nc_u32_e32 v151, -1, v161
	v_cndmask_b32_e64 v149, 0, v151, s11
	v_lshrrev_b32_e32 v151, 23, v160
	s_mov_b32 s11, exec_lo
	s_delay_alu instid0(VALU_DEP_2) | instskip(NEXT) | instid1(VALU_DEP_2)
	v_add_nc_u32_e32 v149, v149, v160
	v_xor_b32_e32 v151, 1, v151
	s_delay_alu instid0(VALU_DEP_2) | instskip(NEXT) | instid1(VALU_DEP_1)
	v_and_b32_e32 v55, 0xfffff, v149
	v_add_nc_u32_e32 v149, v55, v160
                                        ; implicit-def: $vgpr55
	s_delay_alu instid0(VALU_DEP_3)
	v_cmpx_ne_u32_e64 v150, v151
	s_xor_b32 s11, exec_lo, s11
; %bb.2306:                             ;   in Loop: Header=BB4_2093 Depth=2
	s_delay_alu instid0(VALU_DEP_2) | instskip(SKIP_2) | instid1(VALU_DEP_2)
	v_cmp_lt_u32_e32 vcc_lo, 0xffffff, v149
	v_sub_nc_u32_e32 v55, v150, v151
	v_cndmask_b32_e64 v150, 0, 1, vcc_lo
	v_add_co_ci_u32_e32 v55, vcc_lo, 0, v55, vcc_lo
	s_delay_alu instid0(VALU_DEP_2)
	v_lshrrev_b32_e32 v149, v150, v149
; %bb.2307:                             ;   in Loop: Header=BB4_2093 Depth=2
	s_and_not1_saveexec_b32 s11, s11
; %bb.2308:                             ;   in Loop: Header=BB4_2093 Depth=2
	s_delay_alu instid0(VALU_DEP_1)
	v_bfe_u32 v55, v149, 23, 1
; %bb.2309:                             ;   in Loop: Header=BB4_2093 Depth=2
	s_or_b32 exec_lo, exec_lo, s11
	v_lshrrev_b32_e32 v149, 20, v149
	s_delay_alu instid0(VALU_DEP_2) | instskip(SKIP_2) | instid1(VALU_DEP_2)
	v_cmp_gt_i32_e32 vcc_lo, 16, v55
	v_lshrrev_b32_e32 v148, 24, v148
	v_min_i32_e32 v150, 15, v55
	v_dual_cndmask_b32 v149, 7, v149 :: v_dual_and_b32 v148, 0x80, v148
	s_delay_alu instid0(VALU_DEP_1) | instskip(SKIP_1) | instid1(VALU_DEP_2)
	v_or_b32_e32 v55, v55, v149
	v_and_b32_e32 v151, 7, v149
	v_cmp_ne_u32_e32 vcc_lo, 0, v55
	v_lshlrev_b32_e32 v150, 3, v150
	s_delay_alu instid0(VALU_DEP_1) | instskip(NEXT) | instid1(VALU_DEP_1)
	v_or3_b32 v148, v150, v148, v151
	v_cndmask_b32_e32 v55, 0, v148, vcc_lo
.LBB4_2310:                             ;   in Loop: Header=BB4_2093 Depth=2
	s_or_b32 exec_lo, exec_lo, s26
.LBB4_2311:                             ;   in Loop: Header=BB4_2093 Depth=2
	s_delay_alu instid0(SALU_CYCLE_1) | instskip(SKIP_3) | instid1(VALU_DEP_1)
	s_or_b32 exec_lo, exec_lo, s25
	v_and_b32_e32 v149, 0xff, v100
	s_mov_b32 s11, 0
	s_mov_b32 s26, exec_lo
                                        ; implicit-def: $sgpr25
	v_cmpx_lt_i16_e64 0x7f, v149
	s_xor_b32 s26, exec_lo, s26
	s_cbranch_execnz .LBB4_2624
; %bb.2312:                             ;   in Loop: Header=BB4_2093 Depth=2
	s_or_saveexec_b32 s26, s26
	v_mov_b32_e32 v148, s25
	s_xor_b32 exec_lo, exec_lo, s26
	s_cbranch_execnz .LBB4_2627
.LBB4_2313:                             ;   in Loop: Header=BB4_2093 Depth=2
	s_or_b32 exec_lo, exec_lo, s26
	s_and_saveexec_b32 s25, s11
	s_cbranch_execz .LBB4_2315
.LBB4_2314:                             ;   in Loop: Header=BB4_2093 Depth=2
	v_lshrrev_b16 v151, 3, v100
	s_delay_alu instid0(VALU_DEP_1) | instskip(NEXT) | instid1(VALU_DEP_1)
	v_and_b32_e32 v151, 15, v151
	v_cmp_eq_u32_e32 vcc_lo, 0, v151
	v_and_b32_e32 v148, 7, v100
	s_delay_alu instid0(VALU_DEP_1) | instskip(NEXT) | instid1(VALU_DEP_1)
	v_clz_i32_u32_e32 v149, v148
	v_min_u32_e32 v149, 32, v149
	s_delay_alu instid0(VALU_DEP_1) | instskip(SKIP_1) | instid1(VALU_DEP_1)
	v_subrev_nc_u32_e32 v150, 28, v149
	v_sub_nc_u32_e32 v149, 29, v149
	v_dual_cndmask_b32 v149, v151, v149 :: v_dual_lshlrev_b32 v150, v150, v100
	v_lshlrev_b32_e32 v100, 24, v100
	s_delay_alu instid0(VALU_DEP_2) | instskip(NEXT) | instid1(VALU_DEP_3)
	v_and_b32_e32 v150, 7, v150
	v_lshl_add_u32 v149, v149, 23, 0x3b800000
	s_delay_alu instid0(VALU_DEP_3) | instskip(NEXT) | instid1(VALU_DEP_3)
	v_and_b32_e32 v100, 0x80000000, v100
	v_cndmask_b32_e32 v148, v148, v150, vcc_lo
	s_delay_alu instid0(VALU_DEP_1) | instskip(NEXT) | instid1(VALU_DEP_1)
	v_lshlrev_b32_e32 v148, 20, v148
	v_or3_b32 v148, v100, v149, v148
.LBB4_2315:                             ;   in Loop: Header=BB4_2093 Depth=2
	s_or_b32 exec_lo, exec_lo, s25
	s_waitcnt vmcnt(14) lgkmcnt(14)
	v_and_b32_e32 v149, 0xff, v147
	s_mov_b32 s11, 0
	s_mov_b32 s26, exec_lo
                                        ; implicit-def: $sgpr25
	s_delay_alu instid0(VALU_DEP_1)
	v_cmpx_lt_i16_e64 0x7f, v149
	s_xor_b32 s26, exec_lo, s26
	s_cbranch_execnz .LBB4_2628
; %bb.2316:                             ;   in Loop: Header=BB4_2093 Depth=2
	s_or_saveexec_b32 s26, s26
	v_mov_b32_e32 v100, s25
	s_xor_b32 exec_lo, exec_lo, s26
	s_cbranch_execnz .LBB4_2631
.LBB4_2317:                             ;   in Loop: Header=BB4_2093 Depth=2
	s_or_b32 exec_lo, exec_lo, s26
	s_and_saveexec_b32 s25, s11
	s_cbranch_execz .LBB4_2319
.LBB4_2318:                             ;   in Loop: Header=BB4_2093 Depth=2
	v_lshrrev_b16 v151, 3, v147
	s_delay_alu instid0(VALU_DEP_1) | instskip(NEXT) | instid1(VALU_DEP_1)
	v_and_b32_e32 v151, 15, v151
	v_cmp_eq_u32_e32 vcc_lo, 0, v151
	v_and_b32_e32 v100, 7, v147
	s_delay_alu instid0(VALU_DEP_1) | instskip(NEXT) | instid1(VALU_DEP_1)
	v_clz_i32_u32_e32 v149, v100
	v_min_u32_e32 v149, 32, v149
	s_delay_alu instid0(VALU_DEP_1) | instskip(SKIP_1) | instid1(VALU_DEP_1)
	v_subrev_nc_u32_e32 v150, 28, v149
	v_sub_nc_u32_e32 v149, 29, v149
	v_dual_cndmask_b32 v149, v151, v149 :: v_dual_lshlrev_b32 v150, v150, v147
	v_lshlrev_b32_e32 v147, 24, v147
	s_delay_alu instid0(VALU_DEP_2) | instskip(NEXT) | instid1(VALU_DEP_3)
	v_and_b32_e32 v150, 7, v150
	v_lshl_add_u32 v149, v149, 23, 0x3b800000
	s_delay_alu instid0(VALU_DEP_2) | instskip(NEXT) | instid1(VALU_DEP_1)
	v_dual_cndmask_b32 v100, v100, v150 :: v_dual_and_b32 v147, 0x80000000, v147
	v_lshlrev_b32_e32 v100, 20, v100
	s_delay_alu instid0(VALU_DEP_1)
	v_or3_b32 v100, v147, v149, v100
.LBB4_2319:                             ;   in Loop: Header=BB4_2093 Depth=2
	s_or_b32 exec_lo, exec_lo, s25
	s_delay_alu instid0(VALU_DEP_1) | instskip(NEXT) | instid1(VALU_DEP_1)
	v_add_f32_e32 v147, v148, v100
	v_and_b32_e32 v100, 0x7f800000, v147
	s_delay_alu instid0(VALU_DEP_1)
	v_cmp_ne_u32_e32 vcc_lo, 0x7f800000, v100
	v_mov_b32_e32 v100, 0x80
	s_and_saveexec_b32 s25, vcc_lo
	s_cbranch_execz .LBB4_2327
; %bb.2320:                             ;   in Loop: Header=BB4_2093 Depth=2
	v_mov_b32_e32 v100, 0
	s_mov_b32 s26, exec_lo
	v_cmpx_ne_u32_e32 0, v147
	s_cbranch_execz .LBB4_2326
; %bb.2321:                             ;   in Loop: Header=BB4_2093 Depth=2
	v_bfe_u32 v100, v147, 23, 8
	s_delay_alu instid0(VALU_DEP_1) | instskip(SKIP_1) | instid1(VALU_DEP_2)
	v_sub_nc_u32_e32 v149, 0x78, v100
	v_cmp_gt_u32_e32 vcc_lo, 0x79, v100
	v_dual_cndmask_b32 v149, 0, v149 :: v_dual_and_b32 v148, 0x7fffff, v147
	s_delay_alu instid0(VALU_DEP_1) | instskip(SKIP_2) | instid1(VALU_DEP_4)
	v_or_b32_e32 v150, 0x800000, v148
	v_cmp_eq_u32_e32 vcc_lo, 0, v100
	v_add_nc_u32_e32 v100, 0xffffff89, v100
	v_cndmask_b32_e64 v149, v149, 0x77, vcc_lo
	s_delay_alu instid0(VALU_DEP_4) | instskip(NEXT) | instid1(VALU_DEP_3)
	v_cndmask_b32_e32 v148, v150, v148, vcc_lo
	v_cndmask_b32_e64 v100, v100, 0xffffff8a, vcc_lo
	s_delay_alu instid0(VALU_DEP_3) | instskip(NEXT) | instid1(VALU_DEP_3)
	v_lshl_add_u32 v150, 0x100000, v149, -1
	v_lshrrev_b32_e32 v151, v149, v148
	v_lshlrev_b32_e64 v161, v149, 0x80000
	s_delay_alu instid0(VALU_DEP_4) | instskip(NEXT) | instid1(VALU_DEP_4)
	v_add_nc_u32_e32 v149, v149, v100
	v_and_b32_e32 v148, v150, v148
	s_delay_alu instid0(VALU_DEP_4) | instskip(NEXT) | instid1(VALU_DEP_2)
	v_bfe_u32 v160, v151, 20, 1
	v_cmp_eq_u32_e64 s11, v148, v161
	s_delay_alu instid0(VALU_DEP_2) | instskip(NEXT) | instid1(VALU_DEP_1)
	v_add_nc_u32_e32 v150, -1, v160
	v_cndmask_b32_e64 v148, 0, v150, s11
	v_lshrrev_b32_e32 v150, 23, v151
	s_mov_b32 s11, exec_lo
	s_delay_alu instid0(VALU_DEP_2) | instskip(NEXT) | instid1(VALU_DEP_2)
	v_add_nc_u32_e32 v148, v148, v151
	v_xor_b32_e32 v150, 1, v150
	s_delay_alu instid0(VALU_DEP_2) | instskip(NEXT) | instid1(VALU_DEP_1)
	v_and_b32_e32 v100, 0xfffff, v148
	v_add_nc_u32_e32 v148, v100, v151
                                        ; implicit-def: $vgpr100
	s_delay_alu instid0(VALU_DEP_3)
	v_cmpx_ne_u32_e64 v149, v150
	s_xor_b32 s11, exec_lo, s11
; %bb.2322:                             ;   in Loop: Header=BB4_2093 Depth=2
	s_delay_alu instid0(VALU_DEP_2) | instskip(SKIP_2) | instid1(VALU_DEP_2)
	v_cmp_lt_u32_e32 vcc_lo, 0xffffff, v148
	v_sub_nc_u32_e32 v100, v149, v150
	v_cndmask_b32_e64 v149, 0, 1, vcc_lo
	v_add_co_ci_u32_e32 v100, vcc_lo, 0, v100, vcc_lo
	s_delay_alu instid0(VALU_DEP_2)
	v_lshrrev_b32_e32 v148, v149, v148
; %bb.2323:                             ;   in Loop: Header=BB4_2093 Depth=2
	s_and_not1_saveexec_b32 s11, s11
; %bb.2324:                             ;   in Loop: Header=BB4_2093 Depth=2
	s_delay_alu instid0(VALU_DEP_1)
	v_bfe_u32 v100, v148, 23, 1
; %bb.2325:                             ;   in Loop: Header=BB4_2093 Depth=2
	s_or_b32 exec_lo, exec_lo, s11
	v_lshrrev_b32_e32 v148, 20, v148
	s_delay_alu instid0(VALU_DEP_2) | instskip(SKIP_2) | instid1(VALU_DEP_2)
	v_cmp_gt_i32_e32 vcc_lo, 16, v100
	v_lshrrev_b32_e32 v147, 24, v147
	v_min_i32_e32 v149, 15, v100
	v_dual_cndmask_b32 v148, 7, v148 :: v_dual_and_b32 v147, 0x80, v147
	s_delay_alu instid0(VALU_DEP_1) | instskip(SKIP_1) | instid1(VALU_DEP_2)
	v_or_b32_e32 v100, v100, v148
	v_and_b32_e32 v150, 7, v148
	v_cmp_ne_u32_e32 vcc_lo, 0, v100
	v_lshlrev_b32_e32 v149, 3, v149
	s_delay_alu instid0(VALU_DEP_1) | instskip(NEXT) | instid1(VALU_DEP_1)
	v_or3_b32 v147, v149, v147, v150
	v_cndmask_b32_e32 v100, 0, v147, vcc_lo
.LBB4_2326:                             ;   in Loop: Header=BB4_2093 Depth=2
	s_or_b32 exec_lo, exec_lo, s26
.LBB4_2327:                             ;   in Loop: Header=BB4_2093 Depth=2
	s_delay_alu instid0(SALU_CYCLE_1) | instskip(SKIP_3) | instid1(VALU_DEP_1)
	s_or_b32 exec_lo, exec_lo, s25
	v_and_b32_e32 v148, 0xff, v114
	s_mov_b32 s11, 0
	s_mov_b32 s26, exec_lo
                                        ; implicit-def: $sgpr25
	v_cmpx_lt_i16_e64 0x7f, v148
	s_xor_b32 s26, exec_lo, s26
	s_cbranch_execnz .LBB4_2632
; %bb.2328:                             ;   in Loop: Header=BB4_2093 Depth=2
	s_or_saveexec_b32 s26, s26
	v_mov_b32_e32 v147, s25
	s_xor_b32 exec_lo, exec_lo, s26
	s_cbranch_execnz .LBB4_2635
.LBB4_2329:                             ;   in Loop: Header=BB4_2093 Depth=2
	s_or_b32 exec_lo, exec_lo, s26
	s_and_saveexec_b32 s25, s11
	s_cbranch_execz .LBB4_2331
.LBB4_2330:                             ;   in Loop: Header=BB4_2093 Depth=2
	v_lshrrev_b16 v150, 3, v114
	s_delay_alu instid0(VALU_DEP_1) | instskip(NEXT) | instid1(VALU_DEP_1)
	v_and_b32_e32 v150, 15, v150
	v_cmp_eq_u32_e32 vcc_lo, 0, v150
	v_and_b32_e32 v147, 7, v114
	s_delay_alu instid0(VALU_DEP_1) | instskip(NEXT) | instid1(VALU_DEP_1)
	v_clz_i32_u32_e32 v148, v147
	v_min_u32_e32 v148, 32, v148
	s_delay_alu instid0(VALU_DEP_1) | instskip(SKIP_1) | instid1(VALU_DEP_1)
	v_subrev_nc_u32_e32 v149, 28, v148
	v_sub_nc_u32_e32 v148, 29, v148
	v_dual_cndmask_b32 v148, v150, v148 :: v_dual_lshlrev_b32 v149, v149, v114
	v_lshlrev_b32_e32 v114, 24, v114
	s_delay_alu instid0(VALU_DEP_2) | instskip(NEXT) | instid1(VALU_DEP_3)
	v_and_b32_e32 v149, 7, v149
	v_lshl_add_u32 v148, v148, 23, 0x3b800000
	s_delay_alu instid0(VALU_DEP_2) | instskip(NEXT) | instid1(VALU_DEP_1)
	v_dual_cndmask_b32 v147, v147, v149 :: v_dual_and_b32 v114, 0x80000000, v114
	v_lshlrev_b32_e32 v147, 20, v147
	s_delay_alu instid0(VALU_DEP_1)
	v_or3_b32 v147, v114, v148, v147
.LBB4_2331:                             ;   in Loop: Header=BB4_2093 Depth=2
	s_or_b32 exec_lo, exec_lo, s25
	s_waitcnt vmcnt(13) lgkmcnt(13)
	v_and_b32_e32 v148, 0xff, v146
	s_mov_b32 s11, 0
	s_mov_b32 s26, exec_lo
                                        ; implicit-def: $sgpr25
	s_delay_alu instid0(VALU_DEP_1)
	v_cmpx_lt_i16_e64 0x7f, v148
	s_xor_b32 s26, exec_lo, s26
	s_cbranch_execnz .LBB4_2636
; %bb.2332:                             ;   in Loop: Header=BB4_2093 Depth=2
	s_or_saveexec_b32 s26, s26
	v_mov_b32_e32 v114, s25
	s_xor_b32 exec_lo, exec_lo, s26
	s_cbranch_execnz .LBB4_2639
.LBB4_2333:                             ;   in Loop: Header=BB4_2093 Depth=2
	s_or_b32 exec_lo, exec_lo, s26
	s_and_saveexec_b32 s25, s11
	s_cbranch_execz .LBB4_2335
.LBB4_2334:                             ;   in Loop: Header=BB4_2093 Depth=2
	v_and_b32_e32 v114, 7, v146
	v_lshrrev_b16 v150, 3, v146
	s_delay_alu instid0(VALU_DEP_2) | instskip(NEXT) | instid1(VALU_DEP_2)
	v_clz_i32_u32_e32 v148, v114
	v_and_b32_e32 v150, 15, v150
	s_delay_alu instid0(VALU_DEP_2) | instskip(NEXT) | instid1(VALU_DEP_2)
	v_min_u32_e32 v148, 32, v148
	v_cmp_eq_u32_e32 vcc_lo, 0, v150
	s_delay_alu instid0(VALU_DEP_2) | instskip(SKIP_1) | instid1(VALU_DEP_1)
	v_subrev_nc_u32_e32 v149, 28, v148
	v_sub_nc_u32_e32 v148, 29, v148
	v_dual_cndmask_b32 v148, v150, v148 :: v_dual_lshlrev_b32 v149, v149, v146
	v_lshlrev_b32_e32 v146, 24, v146
	s_delay_alu instid0(VALU_DEP_2) | instskip(NEXT) | instid1(VALU_DEP_3)
	v_and_b32_e32 v149, 7, v149
	v_lshl_add_u32 v148, v148, 23, 0x3b800000
	s_delay_alu instid0(VALU_DEP_3) | instskip(NEXT) | instid1(VALU_DEP_3)
	v_and_b32_e32 v146, 0x80000000, v146
	v_cndmask_b32_e32 v114, v114, v149, vcc_lo
	s_delay_alu instid0(VALU_DEP_1) | instskip(NEXT) | instid1(VALU_DEP_1)
	v_lshlrev_b32_e32 v114, 20, v114
	v_or3_b32 v114, v146, v148, v114
.LBB4_2335:                             ;   in Loop: Header=BB4_2093 Depth=2
	s_or_b32 exec_lo, exec_lo, s25
	s_delay_alu instid0(VALU_DEP_1) | instskip(NEXT) | instid1(VALU_DEP_1)
	v_add_f32_e32 v146, v147, v114
	v_and_b32_e32 v114, 0x7f800000, v146
	s_delay_alu instid0(VALU_DEP_1)
	v_cmp_ne_u32_e32 vcc_lo, 0x7f800000, v114
	v_mov_b32_e32 v114, 0x80
	s_and_saveexec_b32 s25, vcc_lo
	s_cbranch_execz .LBB4_2343
; %bb.2336:                             ;   in Loop: Header=BB4_2093 Depth=2
	v_mov_b32_e32 v114, 0
	s_mov_b32 s26, exec_lo
	v_cmpx_ne_u32_e32 0, v146
	s_cbranch_execz .LBB4_2342
; %bb.2337:                             ;   in Loop: Header=BB4_2093 Depth=2
	v_bfe_u32 v114, v146, 23, 8
	s_delay_alu instid0(VALU_DEP_1) | instskip(SKIP_1) | instid1(VALU_DEP_2)
	v_sub_nc_u32_e32 v148, 0x78, v114
	v_cmp_gt_u32_e32 vcc_lo, 0x79, v114
	v_dual_cndmask_b32 v148, 0, v148 :: v_dual_and_b32 v147, 0x7fffff, v146
	s_delay_alu instid0(VALU_DEP_1) | instskip(SKIP_2) | instid1(VALU_DEP_4)
	v_or_b32_e32 v149, 0x800000, v147
	v_cmp_eq_u32_e32 vcc_lo, 0, v114
	v_add_nc_u32_e32 v114, 0xffffff89, v114
	v_cndmask_b32_e64 v148, v148, 0x77, vcc_lo
	s_delay_alu instid0(VALU_DEP_4) | instskip(NEXT) | instid1(VALU_DEP_3)
	v_cndmask_b32_e32 v147, v149, v147, vcc_lo
	v_cndmask_b32_e64 v114, v114, 0xffffff8a, vcc_lo
	s_delay_alu instid0(VALU_DEP_3) | instskip(NEXT) | instid1(VALU_DEP_3)
	v_lshl_add_u32 v149, 0x100000, v148, -1
	v_lshrrev_b32_e32 v150, v148, v147
	v_lshlrev_b32_e64 v160, v148, 0x80000
	s_delay_alu instid0(VALU_DEP_4) | instskip(NEXT) | instid1(VALU_DEP_4)
	v_add_nc_u32_e32 v148, v148, v114
	v_and_b32_e32 v147, v149, v147
	s_delay_alu instid0(VALU_DEP_4) | instskip(NEXT) | instid1(VALU_DEP_2)
	v_bfe_u32 v151, v150, 20, 1
	v_cmp_eq_u32_e64 s11, v147, v160
	s_delay_alu instid0(VALU_DEP_2) | instskip(NEXT) | instid1(VALU_DEP_1)
	v_add_nc_u32_e32 v149, -1, v151
	v_cndmask_b32_e64 v147, 0, v149, s11
	v_lshrrev_b32_e32 v149, 23, v150
	s_mov_b32 s11, exec_lo
	s_delay_alu instid0(VALU_DEP_2) | instskip(NEXT) | instid1(VALU_DEP_2)
	v_add_nc_u32_e32 v147, v147, v150
	v_xor_b32_e32 v149, 1, v149
	s_delay_alu instid0(VALU_DEP_2) | instskip(NEXT) | instid1(VALU_DEP_1)
	v_and_b32_e32 v114, 0xfffff, v147
	v_add_nc_u32_e32 v147, v114, v150
                                        ; implicit-def: $vgpr114
	s_delay_alu instid0(VALU_DEP_3)
	v_cmpx_ne_u32_e64 v148, v149
	s_xor_b32 s11, exec_lo, s11
; %bb.2338:                             ;   in Loop: Header=BB4_2093 Depth=2
	s_delay_alu instid0(VALU_DEP_2) | instskip(SKIP_2) | instid1(VALU_DEP_2)
	v_cmp_lt_u32_e32 vcc_lo, 0xffffff, v147
	v_sub_nc_u32_e32 v114, v148, v149
	v_cndmask_b32_e64 v148, 0, 1, vcc_lo
	v_add_co_ci_u32_e32 v114, vcc_lo, 0, v114, vcc_lo
	s_delay_alu instid0(VALU_DEP_2)
	v_lshrrev_b32_e32 v147, v148, v147
; %bb.2339:                             ;   in Loop: Header=BB4_2093 Depth=2
	s_and_not1_saveexec_b32 s11, s11
; %bb.2340:                             ;   in Loop: Header=BB4_2093 Depth=2
	s_delay_alu instid0(VALU_DEP_1)
	v_bfe_u32 v114, v147, 23, 1
; %bb.2341:                             ;   in Loop: Header=BB4_2093 Depth=2
	s_or_b32 exec_lo, exec_lo, s11
	v_lshrrev_b32_e32 v147, 20, v147
	s_delay_alu instid0(VALU_DEP_2) | instskip(SKIP_2) | instid1(VALU_DEP_2)
	v_cmp_gt_i32_e32 vcc_lo, 16, v114
	v_lshrrev_b32_e32 v146, 24, v146
	v_min_i32_e32 v148, 15, v114
	v_dual_cndmask_b32 v147, 7, v147 :: v_dual_and_b32 v146, 0x80, v146
	s_delay_alu instid0(VALU_DEP_2) | instskip(NEXT) | instid1(VALU_DEP_2)
	v_lshlrev_b32_e32 v148, 3, v148
	v_or_b32_e32 v114, v114, v147
	s_delay_alu instid0(VALU_DEP_1) | instskip(SKIP_1) | instid1(VALU_DEP_1)
	v_cmp_ne_u32_e32 vcc_lo, 0, v114
	v_and_b32_e32 v149, 7, v147
	v_or3_b32 v146, v148, v146, v149
	s_delay_alu instid0(VALU_DEP_1)
	v_cndmask_b32_e32 v114, 0, v146, vcc_lo
.LBB4_2342:                             ;   in Loop: Header=BB4_2093 Depth=2
	s_or_b32 exec_lo, exec_lo, s26
.LBB4_2343:                             ;   in Loop: Header=BB4_2093 Depth=2
	s_delay_alu instid0(SALU_CYCLE_1) | instskip(SKIP_3) | instid1(VALU_DEP_1)
	s_or_b32 exec_lo, exec_lo, s25
	v_and_b32_e32 v147, 0xff, v119
	s_mov_b32 s11, 0
	s_mov_b32 s26, exec_lo
                                        ; implicit-def: $sgpr25
	v_cmpx_lt_i16_e64 0x7f, v147
	s_xor_b32 s26, exec_lo, s26
	s_cbranch_execnz .LBB4_2640
; %bb.2344:                             ;   in Loop: Header=BB4_2093 Depth=2
	s_or_saveexec_b32 s26, s26
	v_mov_b32_e32 v146, s25
	s_xor_b32 exec_lo, exec_lo, s26
	s_cbranch_execnz .LBB4_2643
.LBB4_2345:                             ;   in Loop: Header=BB4_2093 Depth=2
	s_or_b32 exec_lo, exec_lo, s26
	s_and_saveexec_b32 s25, s11
	s_cbranch_execz .LBB4_2347
.LBB4_2346:                             ;   in Loop: Header=BB4_2093 Depth=2
	v_and_b32_e32 v146, 7, v119
	v_lshrrev_b16 v149, 3, v119
	s_delay_alu instid0(VALU_DEP_2) | instskip(NEXT) | instid1(VALU_DEP_1)
	v_clz_i32_u32_e32 v147, v146
	v_min_u32_e32 v147, 32, v147
	s_delay_alu instid0(VALU_DEP_1) | instskip(SKIP_1) | instid1(VALU_DEP_2)
	v_subrev_nc_u32_e32 v148, 28, v147
	v_sub_nc_u32_e32 v147, 29, v147
	v_lshlrev_b32_e32 v148, v148, v119
	v_lshlrev_b32_e32 v119, 24, v119
	s_delay_alu instid0(VALU_DEP_2) | instskip(SKIP_1) | instid1(VALU_DEP_3)
	v_and_b32_e32 v148, 7, v148
	v_and_b32_e32 v149, 15, v149
	;; [unrolled: 1-line block ×3, first 2 shown]
	s_delay_alu instid0(VALU_DEP_2) | instskip(NEXT) | instid1(VALU_DEP_4)
	v_cmp_eq_u32_e32 vcc_lo, 0, v149
	v_dual_cndmask_b32 v146, v146, v148 :: v_dual_cndmask_b32 v147, v149, v147
	s_delay_alu instid0(VALU_DEP_1) | instskip(NEXT) | instid1(VALU_DEP_2)
	v_lshlrev_b32_e32 v146, 20, v146
	v_lshl_add_u32 v147, v147, 23, 0x3b800000
	s_delay_alu instid0(VALU_DEP_1)
	v_or3_b32 v146, v119, v147, v146
.LBB4_2347:                             ;   in Loop: Header=BB4_2093 Depth=2
	s_or_b32 exec_lo, exec_lo, s25
	s_waitcnt vmcnt(12) lgkmcnt(12)
	v_and_b32_e32 v147, 0xff, v145
	s_mov_b32 s11, 0
	s_mov_b32 s26, exec_lo
                                        ; implicit-def: $sgpr25
	s_delay_alu instid0(VALU_DEP_1)
	v_cmpx_lt_i16_e64 0x7f, v147
	s_xor_b32 s26, exec_lo, s26
	s_cbranch_execnz .LBB4_2644
; %bb.2348:                             ;   in Loop: Header=BB4_2093 Depth=2
	s_or_saveexec_b32 s26, s26
	v_mov_b32_e32 v119, s25
	s_xor_b32 exec_lo, exec_lo, s26
	s_cbranch_execnz .LBB4_2647
.LBB4_2349:                             ;   in Loop: Header=BB4_2093 Depth=2
	s_or_b32 exec_lo, exec_lo, s26
	s_and_saveexec_b32 s25, s11
	s_cbranch_execz .LBB4_2351
.LBB4_2350:                             ;   in Loop: Header=BB4_2093 Depth=2
	v_and_b32_e32 v119, 7, v145
	v_lshrrev_b16 v149, 3, v145
	s_delay_alu instid0(VALU_DEP_2) | instskip(NEXT) | instid1(VALU_DEP_2)
	v_clz_i32_u32_e32 v147, v119
	v_and_b32_e32 v149, 15, v149
	s_delay_alu instid0(VALU_DEP_2) | instskip(NEXT) | instid1(VALU_DEP_2)
	v_min_u32_e32 v147, 32, v147
	v_cmp_eq_u32_e32 vcc_lo, 0, v149
	s_delay_alu instid0(VALU_DEP_2) | instskip(SKIP_1) | instid1(VALU_DEP_1)
	v_subrev_nc_u32_e32 v148, 28, v147
	v_sub_nc_u32_e32 v147, 29, v147
	v_dual_cndmask_b32 v147, v149, v147 :: v_dual_lshlrev_b32 v148, v148, v145
	v_lshlrev_b32_e32 v145, 24, v145
	s_delay_alu instid0(VALU_DEP_2) | instskip(NEXT) | instid1(VALU_DEP_3)
	v_and_b32_e32 v148, 7, v148
	v_lshl_add_u32 v147, v147, 23, 0x3b800000
	s_delay_alu instid0(VALU_DEP_3) | instskip(NEXT) | instid1(VALU_DEP_3)
	v_and_b32_e32 v145, 0x80000000, v145
	v_cndmask_b32_e32 v119, v119, v148, vcc_lo
	s_delay_alu instid0(VALU_DEP_1) | instskip(NEXT) | instid1(VALU_DEP_1)
	v_lshlrev_b32_e32 v119, 20, v119
	v_or3_b32 v119, v145, v147, v119
.LBB4_2351:                             ;   in Loop: Header=BB4_2093 Depth=2
	s_or_b32 exec_lo, exec_lo, s25
	s_delay_alu instid0(VALU_DEP_1) | instskip(NEXT) | instid1(VALU_DEP_1)
	v_add_f32_e32 v145, v146, v119
	v_and_b32_e32 v119, 0x7f800000, v145
	s_delay_alu instid0(VALU_DEP_1)
	v_cmp_ne_u32_e32 vcc_lo, 0x7f800000, v119
	v_mov_b32_e32 v119, 0x80
	s_and_saveexec_b32 s25, vcc_lo
	s_cbranch_execz .LBB4_2359
; %bb.2352:                             ;   in Loop: Header=BB4_2093 Depth=2
	v_mov_b32_e32 v119, 0
	s_mov_b32 s26, exec_lo
	v_cmpx_ne_u32_e32 0, v145
	s_cbranch_execz .LBB4_2358
; %bb.2353:                             ;   in Loop: Header=BB4_2093 Depth=2
	v_bfe_u32 v119, v145, 23, 8
	s_delay_alu instid0(VALU_DEP_1) | instskip(SKIP_1) | instid1(VALU_DEP_2)
	v_sub_nc_u32_e32 v147, 0x78, v119
	v_cmp_gt_u32_e32 vcc_lo, 0x79, v119
	v_dual_cndmask_b32 v147, 0, v147 :: v_dual_and_b32 v146, 0x7fffff, v145
	s_delay_alu instid0(VALU_DEP_1) | instskip(SKIP_2) | instid1(VALU_DEP_4)
	v_or_b32_e32 v148, 0x800000, v146
	v_cmp_eq_u32_e32 vcc_lo, 0, v119
	v_add_nc_u32_e32 v119, 0xffffff89, v119
	v_cndmask_b32_e64 v147, v147, 0x77, vcc_lo
	s_delay_alu instid0(VALU_DEP_4) | instskip(NEXT) | instid1(VALU_DEP_3)
	v_cndmask_b32_e32 v146, v148, v146, vcc_lo
	v_cndmask_b32_e64 v119, v119, 0xffffff8a, vcc_lo
	s_delay_alu instid0(VALU_DEP_3) | instskip(NEXT) | instid1(VALU_DEP_3)
	v_lshl_add_u32 v148, 0x100000, v147, -1
	v_lshrrev_b32_e32 v149, v147, v146
	v_lshlrev_b32_e64 v151, v147, 0x80000
	s_delay_alu instid0(VALU_DEP_4) | instskip(NEXT) | instid1(VALU_DEP_4)
	v_add_nc_u32_e32 v147, v147, v119
	v_and_b32_e32 v146, v148, v146
	s_delay_alu instid0(VALU_DEP_4) | instskip(NEXT) | instid1(VALU_DEP_2)
	v_bfe_u32 v150, v149, 20, 1
	v_cmp_eq_u32_e64 s11, v146, v151
	s_delay_alu instid0(VALU_DEP_2) | instskip(NEXT) | instid1(VALU_DEP_1)
	v_add_nc_u32_e32 v148, -1, v150
	v_cndmask_b32_e64 v146, 0, v148, s11
	v_lshrrev_b32_e32 v148, 23, v149
	s_mov_b32 s11, exec_lo
	s_delay_alu instid0(VALU_DEP_2) | instskip(NEXT) | instid1(VALU_DEP_2)
	v_add_nc_u32_e32 v146, v146, v149
	v_xor_b32_e32 v148, 1, v148
	s_delay_alu instid0(VALU_DEP_2) | instskip(NEXT) | instid1(VALU_DEP_1)
	v_and_b32_e32 v119, 0xfffff, v146
	v_add_nc_u32_e32 v146, v119, v149
                                        ; implicit-def: $vgpr119
	s_delay_alu instid0(VALU_DEP_3)
	v_cmpx_ne_u32_e64 v147, v148
	s_xor_b32 s11, exec_lo, s11
; %bb.2354:                             ;   in Loop: Header=BB4_2093 Depth=2
	s_delay_alu instid0(VALU_DEP_2) | instskip(SKIP_2) | instid1(VALU_DEP_2)
	v_cmp_lt_u32_e32 vcc_lo, 0xffffff, v146
	v_sub_nc_u32_e32 v119, v147, v148
	v_cndmask_b32_e64 v147, 0, 1, vcc_lo
	v_add_co_ci_u32_e32 v119, vcc_lo, 0, v119, vcc_lo
	s_delay_alu instid0(VALU_DEP_2)
	v_lshrrev_b32_e32 v146, v147, v146
; %bb.2355:                             ;   in Loop: Header=BB4_2093 Depth=2
	s_and_not1_saveexec_b32 s11, s11
; %bb.2356:                             ;   in Loop: Header=BB4_2093 Depth=2
	s_delay_alu instid0(VALU_DEP_1)
	v_bfe_u32 v119, v146, 23, 1
; %bb.2357:                             ;   in Loop: Header=BB4_2093 Depth=2
	s_or_b32 exec_lo, exec_lo, s11
	v_lshrrev_b32_e32 v146, 20, v146
	s_delay_alu instid0(VALU_DEP_2) | instskip(SKIP_2) | instid1(VALU_DEP_2)
	v_cmp_gt_i32_e32 vcc_lo, 16, v119
	v_lshrrev_b32_e32 v145, 24, v145
	v_min_i32_e32 v147, 15, v119
	v_dual_cndmask_b32 v146, 7, v146 :: v_dual_and_b32 v145, 0x80, v145
	s_delay_alu instid0(VALU_DEP_2) | instskip(NEXT) | instid1(VALU_DEP_2)
	v_lshlrev_b32_e32 v147, 3, v147
	v_or_b32_e32 v119, v119, v146
	s_delay_alu instid0(VALU_DEP_1) | instskip(SKIP_1) | instid1(VALU_DEP_1)
	v_cmp_ne_u32_e32 vcc_lo, 0, v119
	v_and_b32_e32 v148, 7, v146
	v_or3_b32 v145, v147, v145, v148
	s_delay_alu instid0(VALU_DEP_1)
	v_cndmask_b32_e32 v119, 0, v145, vcc_lo
.LBB4_2358:                             ;   in Loop: Header=BB4_2093 Depth=2
	s_or_b32 exec_lo, exec_lo, s26
.LBB4_2359:                             ;   in Loop: Header=BB4_2093 Depth=2
	s_delay_alu instid0(SALU_CYCLE_1) | instskip(SKIP_3) | instid1(VALU_DEP_1)
	s_or_b32 exec_lo, exec_lo, s25
	v_and_b32_e32 v146, 0xff, v128
	s_mov_b32 s11, 0
	s_mov_b32 s26, exec_lo
                                        ; implicit-def: $sgpr25
	v_cmpx_lt_i16_e64 0x7f, v146
	s_xor_b32 s26, exec_lo, s26
	s_cbranch_execnz .LBB4_2648
; %bb.2360:                             ;   in Loop: Header=BB4_2093 Depth=2
	s_or_saveexec_b32 s26, s26
	v_mov_b32_e32 v145, s25
	s_xor_b32 exec_lo, exec_lo, s26
	s_cbranch_execnz .LBB4_2651
.LBB4_2361:                             ;   in Loop: Header=BB4_2093 Depth=2
	s_or_b32 exec_lo, exec_lo, s26
	s_and_saveexec_b32 s25, s11
	s_cbranch_execz .LBB4_2363
.LBB4_2362:                             ;   in Loop: Header=BB4_2093 Depth=2
	v_lshrrev_b16 v148, 3, v128
	s_delay_alu instid0(VALU_DEP_1) | instskip(NEXT) | instid1(VALU_DEP_1)
	v_and_b32_e32 v148, 15, v148
	v_cmp_eq_u32_e32 vcc_lo, 0, v148
	v_and_b32_e32 v145, 7, v128
	s_delay_alu instid0(VALU_DEP_1) | instskip(NEXT) | instid1(VALU_DEP_1)
	v_clz_i32_u32_e32 v146, v145
	v_min_u32_e32 v146, 32, v146
	s_delay_alu instid0(VALU_DEP_1) | instskip(SKIP_1) | instid1(VALU_DEP_1)
	v_subrev_nc_u32_e32 v147, 28, v146
	v_sub_nc_u32_e32 v146, 29, v146
	v_dual_cndmask_b32 v146, v148, v146 :: v_dual_lshlrev_b32 v147, v147, v128
	v_lshlrev_b32_e32 v128, 24, v128
	s_delay_alu instid0(VALU_DEP_2) | instskip(NEXT) | instid1(VALU_DEP_3)
	v_and_b32_e32 v147, 7, v147
	v_lshl_add_u32 v146, v146, 23, 0x3b800000
	s_delay_alu instid0(VALU_DEP_2) | instskip(NEXT) | instid1(VALU_DEP_1)
	v_dual_cndmask_b32 v145, v145, v147 :: v_dual_and_b32 v128, 0x80000000, v128
	v_lshlrev_b32_e32 v145, 20, v145
	s_delay_alu instid0(VALU_DEP_1)
	v_or3_b32 v145, v128, v146, v145
.LBB4_2363:                             ;   in Loop: Header=BB4_2093 Depth=2
	s_or_b32 exec_lo, exec_lo, s25
	s_waitcnt vmcnt(11) lgkmcnt(11)
	v_and_b32_e32 v146, 0xff, v144
	s_mov_b32 s11, 0
	s_mov_b32 s26, exec_lo
                                        ; implicit-def: $sgpr25
	s_delay_alu instid0(VALU_DEP_1)
	v_cmpx_lt_i16_e64 0x7f, v146
	s_xor_b32 s26, exec_lo, s26
	s_cbranch_execnz .LBB4_2652
; %bb.2364:                             ;   in Loop: Header=BB4_2093 Depth=2
	s_or_saveexec_b32 s26, s26
	v_mov_b32_e32 v128, s25
	s_xor_b32 exec_lo, exec_lo, s26
	s_cbranch_execnz .LBB4_2655
.LBB4_2365:                             ;   in Loop: Header=BB4_2093 Depth=2
	s_or_b32 exec_lo, exec_lo, s26
	s_and_saveexec_b32 s25, s11
	s_cbranch_execz .LBB4_2367
.LBB4_2366:                             ;   in Loop: Header=BB4_2093 Depth=2
	v_and_b32_e32 v128, 7, v144
	v_lshrrev_b16 v148, 3, v144
	s_delay_alu instid0(VALU_DEP_2) | instskip(NEXT) | instid1(VALU_DEP_2)
	v_clz_i32_u32_e32 v146, v128
	v_and_b32_e32 v148, 15, v148
	s_delay_alu instid0(VALU_DEP_2) | instskip(NEXT) | instid1(VALU_DEP_2)
	v_min_u32_e32 v146, 32, v146
	v_cmp_eq_u32_e32 vcc_lo, 0, v148
	s_delay_alu instid0(VALU_DEP_2) | instskip(SKIP_1) | instid1(VALU_DEP_1)
	v_subrev_nc_u32_e32 v147, 28, v146
	v_sub_nc_u32_e32 v146, 29, v146
	v_dual_cndmask_b32 v146, v148, v146 :: v_dual_lshlrev_b32 v147, v147, v144
	v_lshlrev_b32_e32 v144, 24, v144
	s_delay_alu instid0(VALU_DEP_2) | instskip(NEXT) | instid1(VALU_DEP_3)
	v_and_b32_e32 v147, 7, v147
	v_lshl_add_u32 v146, v146, 23, 0x3b800000
	s_delay_alu instid0(VALU_DEP_3) | instskip(NEXT) | instid1(VALU_DEP_3)
	v_and_b32_e32 v144, 0x80000000, v144
	v_cndmask_b32_e32 v128, v128, v147, vcc_lo
	s_delay_alu instid0(VALU_DEP_1) | instskip(NEXT) | instid1(VALU_DEP_1)
	v_lshlrev_b32_e32 v128, 20, v128
	v_or3_b32 v128, v144, v146, v128
.LBB4_2367:                             ;   in Loop: Header=BB4_2093 Depth=2
	s_or_b32 exec_lo, exec_lo, s25
	s_delay_alu instid0(VALU_DEP_1) | instskip(NEXT) | instid1(VALU_DEP_1)
	v_add_f32_e32 v144, v145, v128
	v_and_b32_e32 v128, 0x7f800000, v144
	s_delay_alu instid0(VALU_DEP_1)
	v_cmp_ne_u32_e32 vcc_lo, 0x7f800000, v128
	v_mov_b32_e32 v128, 0x80
	s_and_saveexec_b32 s25, vcc_lo
	s_cbranch_execz .LBB4_2375
; %bb.2368:                             ;   in Loop: Header=BB4_2093 Depth=2
	v_mov_b32_e32 v128, 0
	s_mov_b32 s26, exec_lo
	v_cmpx_ne_u32_e32 0, v144
	s_cbranch_execz .LBB4_2374
; %bb.2369:                             ;   in Loop: Header=BB4_2093 Depth=2
	v_bfe_u32 v128, v144, 23, 8
	s_delay_alu instid0(VALU_DEP_1) | instskip(SKIP_1) | instid1(VALU_DEP_2)
	v_sub_nc_u32_e32 v146, 0x78, v128
	v_cmp_gt_u32_e32 vcc_lo, 0x79, v128
	v_dual_cndmask_b32 v146, 0, v146 :: v_dual_and_b32 v145, 0x7fffff, v144
	s_delay_alu instid0(VALU_DEP_1) | instskip(SKIP_2) | instid1(VALU_DEP_4)
	v_or_b32_e32 v147, 0x800000, v145
	v_cmp_eq_u32_e32 vcc_lo, 0, v128
	v_add_nc_u32_e32 v128, 0xffffff89, v128
	v_cndmask_b32_e64 v146, v146, 0x77, vcc_lo
	s_delay_alu instid0(VALU_DEP_4) | instskip(NEXT) | instid1(VALU_DEP_3)
	v_cndmask_b32_e32 v145, v147, v145, vcc_lo
	v_cndmask_b32_e64 v128, v128, 0xffffff8a, vcc_lo
	s_delay_alu instid0(VALU_DEP_3) | instskip(NEXT) | instid1(VALU_DEP_3)
	v_lshl_add_u32 v147, 0x100000, v146, -1
	v_lshrrev_b32_e32 v148, v146, v145
	v_lshlrev_b32_e64 v150, v146, 0x80000
	s_delay_alu instid0(VALU_DEP_4) | instskip(NEXT) | instid1(VALU_DEP_4)
	v_add_nc_u32_e32 v146, v146, v128
	v_and_b32_e32 v145, v147, v145
	s_delay_alu instid0(VALU_DEP_4) | instskip(NEXT) | instid1(VALU_DEP_2)
	v_bfe_u32 v149, v148, 20, 1
	v_cmp_eq_u32_e64 s11, v145, v150
	s_delay_alu instid0(VALU_DEP_2) | instskip(NEXT) | instid1(VALU_DEP_1)
	v_add_nc_u32_e32 v147, -1, v149
	v_cndmask_b32_e64 v145, 0, v147, s11
	v_lshrrev_b32_e32 v147, 23, v148
	s_mov_b32 s11, exec_lo
	s_delay_alu instid0(VALU_DEP_2) | instskip(NEXT) | instid1(VALU_DEP_2)
	v_add_nc_u32_e32 v145, v145, v148
	v_xor_b32_e32 v147, 1, v147
	s_delay_alu instid0(VALU_DEP_2) | instskip(NEXT) | instid1(VALU_DEP_1)
	v_and_b32_e32 v128, 0xfffff, v145
	v_add_nc_u32_e32 v145, v128, v148
                                        ; implicit-def: $vgpr128
	s_delay_alu instid0(VALU_DEP_3)
	v_cmpx_ne_u32_e64 v146, v147
	s_xor_b32 s11, exec_lo, s11
; %bb.2370:                             ;   in Loop: Header=BB4_2093 Depth=2
	s_delay_alu instid0(VALU_DEP_2) | instskip(SKIP_2) | instid1(VALU_DEP_2)
	v_cmp_lt_u32_e32 vcc_lo, 0xffffff, v145
	v_sub_nc_u32_e32 v128, v146, v147
	v_cndmask_b32_e64 v146, 0, 1, vcc_lo
	v_add_co_ci_u32_e32 v128, vcc_lo, 0, v128, vcc_lo
	s_delay_alu instid0(VALU_DEP_2)
	v_lshrrev_b32_e32 v145, v146, v145
; %bb.2371:                             ;   in Loop: Header=BB4_2093 Depth=2
	s_and_not1_saveexec_b32 s11, s11
; %bb.2372:                             ;   in Loop: Header=BB4_2093 Depth=2
	s_delay_alu instid0(VALU_DEP_1)
	v_bfe_u32 v128, v145, 23, 1
; %bb.2373:                             ;   in Loop: Header=BB4_2093 Depth=2
	s_or_b32 exec_lo, exec_lo, s11
	v_lshrrev_b32_e32 v145, 20, v145
	s_delay_alu instid0(VALU_DEP_2) | instskip(SKIP_2) | instid1(VALU_DEP_2)
	v_cmp_gt_i32_e32 vcc_lo, 16, v128
	v_lshrrev_b32_e32 v144, 24, v144
	v_min_i32_e32 v146, 15, v128
	v_dual_cndmask_b32 v145, 7, v145 :: v_dual_and_b32 v144, 0x80, v144
	s_delay_alu instid0(VALU_DEP_2) | instskip(NEXT) | instid1(VALU_DEP_2)
	v_lshlrev_b32_e32 v146, 3, v146
	v_or_b32_e32 v128, v128, v145
	s_delay_alu instid0(VALU_DEP_1) | instskip(SKIP_1) | instid1(VALU_DEP_1)
	v_cmp_ne_u32_e32 vcc_lo, 0, v128
	v_and_b32_e32 v147, 7, v145
	v_or3_b32 v144, v146, v144, v147
	s_delay_alu instid0(VALU_DEP_1)
	v_cndmask_b32_e32 v128, 0, v144, vcc_lo
.LBB4_2374:                             ;   in Loop: Header=BB4_2093 Depth=2
	s_or_b32 exec_lo, exec_lo, s26
.LBB4_2375:                             ;   in Loop: Header=BB4_2093 Depth=2
	s_delay_alu instid0(SALU_CYCLE_1) | instskip(SKIP_3) | instid1(VALU_DEP_1)
	s_or_b32 exec_lo, exec_lo, s25
	v_and_b32_e32 v145, 0xff, v118
	s_mov_b32 s11, 0
	s_mov_b32 s26, exec_lo
                                        ; implicit-def: $sgpr25
	v_cmpx_lt_i16_e64 0x7f, v145
	s_xor_b32 s26, exec_lo, s26
	s_cbranch_execnz .LBB4_2656
; %bb.2376:                             ;   in Loop: Header=BB4_2093 Depth=2
	s_or_saveexec_b32 s26, s26
	v_mov_b32_e32 v144, s25
	s_xor_b32 exec_lo, exec_lo, s26
	s_cbranch_execnz .LBB4_2659
.LBB4_2377:                             ;   in Loop: Header=BB4_2093 Depth=2
	s_or_b32 exec_lo, exec_lo, s26
	s_and_saveexec_b32 s25, s11
	s_cbranch_execz .LBB4_2379
.LBB4_2378:                             ;   in Loop: Header=BB4_2093 Depth=2
	v_lshrrev_b16 v147, 3, v118
	s_delay_alu instid0(VALU_DEP_1) | instskip(NEXT) | instid1(VALU_DEP_1)
	v_and_b32_e32 v147, 15, v147
	v_cmp_eq_u32_e32 vcc_lo, 0, v147
	v_and_b32_e32 v144, 7, v118
	s_delay_alu instid0(VALU_DEP_1) | instskip(NEXT) | instid1(VALU_DEP_1)
	v_clz_i32_u32_e32 v145, v144
	v_min_u32_e32 v145, 32, v145
	s_delay_alu instid0(VALU_DEP_1) | instskip(SKIP_1) | instid1(VALU_DEP_1)
	v_subrev_nc_u32_e32 v146, 28, v145
	v_sub_nc_u32_e32 v145, 29, v145
	v_dual_cndmask_b32 v145, v147, v145 :: v_dual_lshlrev_b32 v146, v146, v118
	v_lshlrev_b32_e32 v118, 24, v118
	s_delay_alu instid0(VALU_DEP_2) | instskip(NEXT) | instid1(VALU_DEP_3)
	v_and_b32_e32 v146, 7, v146
	v_lshl_add_u32 v145, v145, 23, 0x3b800000
	s_delay_alu instid0(VALU_DEP_3) | instskip(NEXT) | instid1(VALU_DEP_3)
	v_and_b32_e32 v118, 0x80000000, v118
	v_cndmask_b32_e32 v144, v144, v146, vcc_lo
	s_delay_alu instid0(VALU_DEP_1) | instskip(NEXT) | instid1(VALU_DEP_1)
	v_lshlrev_b32_e32 v144, 20, v144
	v_or3_b32 v144, v118, v145, v144
.LBB4_2379:                             ;   in Loop: Header=BB4_2093 Depth=2
	s_or_b32 exec_lo, exec_lo, s25
	s_waitcnt vmcnt(10) lgkmcnt(10)
	v_and_b32_e32 v145, 0xff, v135
	s_mov_b32 s11, 0
	s_mov_b32 s26, exec_lo
                                        ; implicit-def: $sgpr25
	s_delay_alu instid0(VALU_DEP_1)
	v_cmpx_lt_i16_e64 0x7f, v145
	s_xor_b32 s26, exec_lo, s26
	s_cbranch_execnz .LBB4_2660
; %bb.2380:                             ;   in Loop: Header=BB4_2093 Depth=2
	s_or_saveexec_b32 s26, s26
	v_mov_b32_e32 v118, s25
	s_xor_b32 exec_lo, exec_lo, s26
	s_cbranch_execnz .LBB4_2663
.LBB4_2381:                             ;   in Loop: Header=BB4_2093 Depth=2
	s_or_b32 exec_lo, exec_lo, s26
	s_and_saveexec_b32 s25, s11
	s_cbranch_execz .LBB4_2383
.LBB4_2382:                             ;   in Loop: Header=BB4_2093 Depth=2
	v_lshrrev_b16 v147, 3, v135
	s_delay_alu instid0(VALU_DEP_1) | instskip(NEXT) | instid1(VALU_DEP_1)
	v_and_b32_e32 v147, 15, v147
	v_cmp_eq_u32_e32 vcc_lo, 0, v147
	v_and_b32_e32 v118, 7, v135
	s_delay_alu instid0(VALU_DEP_1) | instskip(NEXT) | instid1(VALU_DEP_1)
	v_clz_i32_u32_e32 v145, v118
	v_min_u32_e32 v145, 32, v145
	s_delay_alu instid0(VALU_DEP_1) | instskip(SKIP_1) | instid1(VALU_DEP_1)
	v_subrev_nc_u32_e32 v146, 28, v145
	v_sub_nc_u32_e32 v145, 29, v145
	v_dual_cndmask_b32 v145, v147, v145 :: v_dual_lshlrev_b32 v146, v146, v135
	v_lshlrev_b32_e32 v135, 24, v135
	s_delay_alu instid0(VALU_DEP_2) | instskip(NEXT) | instid1(VALU_DEP_3)
	v_and_b32_e32 v146, 7, v146
	v_lshl_add_u32 v145, v145, 23, 0x3b800000
	s_delay_alu instid0(VALU_DEP_2) | instskip(NEXT) | instid1(VALU_DEP_1)
	v_dual_cndmask_b32 v118, v118, v146 :: v_dual_and_b32 v135, 0x80000000, v135
	v_lshlrev_b32_e32 v118, 20, v118
	s_delay_alu instid0(VALU_DEP_1)
	v_or3_b32 v118, v135, v145, v118
.LBB4_2383:                             ;   in Loop: Header=BB4_2093 Depth=2
	s_or_b32 exec_lo, exec_lo, s25
	s_delay_alu instid0(VALU_DEP_1) | instskip(NEXT) | instid1(VALU_DEP_1)
	v_add_f32_e32 v135, v144, v118
	v_and_b32_e32 v118, 0x7f800000, v135
	s_delay_alu instid0(VALU_DEP_1)
	v_cmp_ne_u32_e32 vcc_lo, 0x7f800000, v118
	v_mov_b32_e32 v118, 0x80
	s_and_saveexec_b32 s25, vcc_lo
	s_cbranch_execz .LBB4_2391
; %bb.2384:                             ;   in Loop: Header=BB4_2093 Depth=2
	v_mov_b32_e32 v118, 0
	s_mov_b32 s26, exec_lo
	v_cmpx_ne_u32_e32 0, v135
	s_cbranch_execz .LBB4_2390
; %bb.2385:                             ;   in Loop: Header=BB4_2093 Depth=2
	v_bfe_u32 v118, v135, 23, 8
	s_delay_alu instid0(VALU_DEP_1) | instskip(SKIP_1) | instid1(VALU_DEP_2)
	v_sub_nc_u32_e32 v145, 0x78, v118
	v_cmp_gt_u32_e32 vcc_lo, 0x79, v118
	v_dual_cndmask_b32 v145, 0, v145 :: v_dual_and_b32 v144, 0x7fffff, v135
	s_delay_alu instid0(VALU_DEP_1) | instskip(SKIP_2) | instid1(VALU_DEP_4)
	v_or_b32_e32 v146, 0x800000, v144
	v_cmp_eq_u32_e32 vcc_lo, 0, v118
	v_add_nc_u32_e32 v118, 0xffffff89, v118
	v_cndmask_b32_e64 v145, v145, 0x77, vcc_lo
	s_delay_alu instid0(VALU_DEP_2) | instskip(SKIP_1) | instid1(VALU_DEP_3)
	v_cndmask_b32_e64 v118, v118, 0xffffff8a, vcc_lo
	v_cndmask_b32_e32 v144, v146, v144, vcc_lo
	v_lshl_add_u32 v146, 0x100000, v145, -1
	v_lshlrev_b32_e64 v149, v145, 0x80000
	s_delay_alu instid0(VALU_DEP_3) | instskip(SKIP_1) | instid1(VALU_DEP_4)
	v_lshrrev_b32_e32 v147, v145, v144
	v_add_nc_u32_e32 v145, v145, v118
	v_and_b32_e32 v144, v146, v144
	s_delay_alu instid0(VALU_DEP_3) | instskip(NEXT) | instid1(VALU_DEP_2)
	v_bfe_u32 v148, v147, 20, 1
	v_cmp_eq_u32_e64 s11, v144, v149
	s_delay_alu instid0(VALU_DEP_2) | instskip(NEXT) | instid1(VALU_DEP_1)
	v_add_nc_u32_e32 v146, -1, v148
	v_cndmask_b32_e64 v144, 0, v146, s11
	v_lshrrev_b32_e32 v146, 23, v147
	s_mov_b32 s11, exec_lo
	s_delay_alu instid0(VALU_DEP_2) | instskip(NEXT) | instid1(VALU_DEP_2)
	v_add_nc_u32_e32 v144, v144, v147
	v_xor_b32_e32 v146, 1, v146
	s_delay_alu instid0(VALU_DEP_2) | instskip(NEXT) | instid1(VALU_DEP_1)
	v_and_b32_e32 v118, 0xfffff, v144
	v_add_nc_u32_e32 v144, v118, v147
                                        ; implicit-def: $vgpr118
	s_delay_alu instid0(VALU_DEP_3)
	v_cmpx_ne_u32_e64 v145, v146
	s_xor_b32 s11, exec_lo, s11
; %bb.2386:                             ;   in Loop: Header=BB4_2093 Depth=2
	s_delay_alu instid0(VALU_DEP_2) | instskip(SKIP_2) | instid1(VALU_DEP_2)
	v_cmp_lt_u32_e32 vcc_lo, 0xffffff, v144
	v_sub_nc_u32_e32 v118, v145, v146
	v_cndmask_b32_e64 v145, 0, 1, vcc_lo
	v_add_co_ci_u32_e32 v118, vcc_lo, 0, v118, vcc_lo
	s_delay_alu instid0(VALU_DEP_2)
	v_lshrrev_b32_e32 v144, v145, v144
; %bb.2387:                             ;   in Loop: Header=BB4_2093 Depth=2
	s_and_not1_saveexec_b32 s11, s11
; %bb.2388:                             ;   in Loop: Header=BB4_2093 Depth=2
	s_delay_alu instid0(VALU_DEP_1)
	v_bfe_u32 v118, v144, 23, 1
; %bb.2389:                             ;   in Loop: Header=BB4_2093 Depth=2
	s_or_b32 exec_lo, exec_lo, s11
	v_lshrrev_b32_e32 v144, 20, v144
	s_delay_alu instid0(VALU_DEP_2) | instskip(SKIP_2) | instid1(VALU_DEP_2)
	v_cmp_gt_i32_e32 vcc_lo, 16, v118
	v_lshrrev_b32_e32 v135, 24, v135
	v_min_i32_e32 v145, 15, v118
	v_dual_cndmask_b32 v144, 7, v144 :: v_dual_and_b32 v135, 0x80, v135
	s_delay_alu instid0(VALU_DEP_1) | instskip(SKIP_1) | instid1(VALU_DEP_2)
	v_or_b32_e32 v118, v118, v144
	v_and_b32_e32 v146, 7, v144
	v_cmp_ne_u32_e32 vcc_lo, 0, v118
	v_lshlrev_b32_e32 v145, 3, v145
	s_delay_alu instid0(VALU_DEP_1) | instskip(NEXT) | instid1(VALU_DEP_1)
	v_or3_b32 v135, v145, v135, v146
	v_cndmask_b32_e32 v118, 0, v135, vcc_lo
.LBB4_2390:                             ;   in Loop: Header=BB4_2093 Depth=2
	s_or_b32 exec_lo, exec_lo, s26
.LBB4_2391:                             ;   in Loop: Header=BB4_2093 Depth=2
	s_delay_alu instid0(SALU_CYCLE_1) | instskip(SKIP_3) | instid1(VALU_DEP_1)
	s_or_b32 exec_lo, exec_lo, s25
	v_and_b32_e32 v144, 0xff, v117
	s_mov_b32 s11, 0
	s_mov_b32 s26, exec_lo
                                        ; implicit-def: $sgpr25
	v_cmpx_lt_i16_e64 0x7f, v144
	s_xor_b32 s26, exec_lo, s26
	s_cbranch_execnz .LBB4_2664
; %bb.2392:                             ;   in Loop: Header=BB4_2093 Depth=2
	s_or_saveexec_b32 s26, s26
	v_mov_b32_e32 v135, s25
	s_xor_b32 exec_lo, exec_lo, s26
	s_cbranch_execnz .LBB4_2667
.LBB4_2393:                             ;   in Loop: Header=BB4_2093 Depth=2
	s_or_b32 exec_lo, exec_lo, s26
	s_and_saveexec_b32 s25, s11
	s_cbranch_execz .LBB4_2395
.LBB4_2394:                             ;   in Loop: Header=BB4_2093 Depth=2
	v_lshrrev_b16 v146, 3, v117
	s_delay_alu instid0(VALU_DEP_1) | instskip(NEXT) | instid1(VALU_DEP_1)
	v_and_b32_e32 v146, 15, v146
	v_cmp_eq_u32_e32 vcc_lo, 0, v146
	v_and_b32_e32 v135, 7, v117
	s_delay_alu instid0(VALU_DEP_1) | instskip(NEXT) | instid1(VALU_DEP_1)
	v_clz_i32_u32_e32 v144, v135
	v_min_u32_e32 v144, 32, v144
	s_delay_alu instid0(VALU_DEP_1) | instskip(SKIP_1) | instid1(VALU_DEP_1)
	v_subrev_nc_u32_e32 v145, 28, v144
	v_sub_nc_u32_e32 v144, 29, v144
	v_dual_cndmask_b32 v144, v146, v144 :: v_dual_lshlrev_b32 v145, v145, v117
	v_lshlrev_b32_e32 v117, 24, v117
	s_delay_alu instid0(VALU_DEP_2) | instskip(NEXT) | instid1(VALU_DEP_3)
	v_and_b32_e32 v145, 7, v145
	v_lshl_add_u32 v144, v144, 23, 0x3b800000
	s_delay_alu instid0(VALU_DEP_3) | instskip(NEXT) | instid1(VALU_DEP_3)
	v_and_b32_e32 v117, 0x80000000, v117
	v_cndmask_b32_e32 v135, v135, v145, vcc_lo
	s_delay_alu instid0(VALU_DEP_1) | instskip(NEXT) | instid1(VALU_DEP_1)
	v_lshlrev_b32_e32 v135, 20, v135
	v_or3_b32 v135, v117, v144, v135
.LBB4_2395:                             ;   in Loop: Header=BB4_2093 Depth=2
	s_or_b32 exec_lo, exec_lo, s25
	s_waitcnt vmcnt(9) lgkmcnt(9)
	v_and_b32_e32 v144, 0xff, v134
	s_mov_b32 s11, 0
	s_mov_b32 s26, exec_lo
                                        ; implicit-def: $sgpr25
	s_delay_alu instid0(VALU_DEP_1)
	v_cmpx_lt_i16_e64 0x7f, v144
	s_xor_b32 s26, exec_lo, s26
	s_cbranch_execnz .LBB4_2668
; %bb.2396:                             ;   in Loop: Header=BB4_2093 Depth=2
	s_or_saveexec_b32 s26, s26
	v_mov_b32_e32 v117, s25
	s_xor_b32 exec_lo, exec_lo, s26
	s_cbranch_execnz .LBB4_2671
.LBB4_2397:                             ;   in Loop: Header=BB4_2093 Depth=2
	s_or_b32 exec_lo, exec_lo, s26
	s_and_saveexec_b32 s25, s11
	s_cbranch_execz .LBB4_2399
.LBB4_2398:                             ;   in Loop: Header=BB4_2093 Depth=2
	v_lshrrev_b16 v146, 3, v134
	s_delay_alu instid0(VALU_DEP_1) | instskip(NEXT) | instid1(VALU_DEP_1)
	v_and_b32_e32 v146, 15, v146
	v_cmp_eq_u32_e32 vcc_lo, 0, v146
	v_and_b32_e32 v117, 7, v134
	s_delay_alu instid0(VALU_DEP_1) | instskip(NEXT) | instid1(VALU_DEP_1)
	v_clz_i32_u32_e32 v144, v117
	v_min_u32_e32 v144, 32, v144
	s_delay_alu instid0(VALU_DEP_1) | instskip(SKIP_1) | instid1(VALU_DEP_1)
	v_subrev_nc_u32_e32 v145, 28, v144
	v_sub_nc_u32_e32 v144, 29, v144
	v_dual_cndmask_b32 v144, v146, v144 :: v_dual_lshlrev_b32 v145, v145, v134
	v_lshlrev_b32_e32 v134, 24, v134
	s_delay_alu instid0(VALU_DEP_2) | instskip(NEXT) | instid1(VALU_DEP_3)
	v_and_b32_e32 v145, 7, v145
	v_lshl_add_u32 v144, v144, 23, 0x3b800000
	s_delay_alu instid0(VALU_DEP_2) | instskip(NEXT) | instid1(VALU_DEP_1)
	v_dual_cndmask_b32 v117, v117, v145 :: v_dual_and_b32 v134, 0x80000000, v134
	v_lshlrev_b32_e32 v117, 20, v117
	s_delay_alu instid0(VALU_DEP_1)
	v_or3_b32 v117, v134, v144, v117
.LBB4_2399:                             ;   in Loop: Header=BB4_2093 Depth=2
	s_or_b32 exec_lo, exec_lo, s25
	s_delay_alu instid0(VALU_DEP_1) | instskip(NEXT) | instid1(VALU_DEP_1)
	v_add_f32_e32 v134, v135, v117
	v_and_b32_e32 v117, 0x7f800000, v134
	s_delay_alu instid0(VALU_DEP_1)
	v_cmp_ne_u32_e32 vcc_lo, 0x7f800000, v117
	v_mov_b32_e32 v117, 0x80
	s_and_saveexec_b32 s25, vcc_lo
	s_cbranch_execz .LBB4_2407
; %bb.2400:                             ;   in Loop: Header=BB4_2093 Depth=2
	v_mov_b32_e32 v117, 0
	s_mov_b32 s26, exec_lo
	v_cmpx_ne_u32_e32 0, v134
	s_cbranch_execz .LBB4_2406
; %bb.2401:                             ;   in Loop: Header=BB4_2093 Depth=2
	v_bfe_u32 v117, v134, 23, 8
	s_delay_alu instid0(VALU_DEP_1) | instskip(SKIP_1) | instid1(VALU_DEP_2)
	v_sub_nc_u32_e32 v144, 0x78, v117
	v_cmp_gt_u32_e32 vcc_lo, 0x79, v117
	v_dual_cndmask_b32 v144, 0, v144 :: v_dual_and_b32 v135, 0x7fffff, v134
	s_delay_alu instid0(VALU_DEP_1) | instskip(SKIP_2) | instid1(VALU_DEP_4)
	v_or_b32_e32 v145, 0x800000, v135
	v_cmp_eq_u32_e32 vcc_lo, 0, v117
	v_add_nc_u32_e32 v117, 0xffffff89, v117
	v_cndmask_b32_e64 v144, v144, 0x77, vcc_lo
	s_delay_alu instid0(VALU_DEP_2) | instskip(SKIP_1) | instid1(VALU_DEP_3)
	v_cndmask_b32_e64 v117, v117, 0xffffff8a, vcc_lo
	v_cndmask_b32_e32 v135, v145, v135, vcc_lo
	v_lshl_add_u32 v145, 0x100000, v144, -1
	v_lshlrev_b32_e64 v148, v144, 0x80000
	s_delay_alu instid0(VALU_DEP_3) | instskip(SKIP_1) | instid1(VALU_DEP_4)
	v_lshrrev_b32_e32 v146, v144, v135
	v_add_nc_u32_e32 v144, v144, v117
	v_and_b32_e32 v135, v145, v135
	s_delay_alu instid0(VALU_DEP_3) | instskip(NEXT) | instid1(VALU_DEP_2)
	v_bfe_u32 v147, v146, 20, 1
	v_cmp_eq_u32_e64 s11, v135, v148
	s_delay_alu instid0(VALU_DEP_2) | instskip(NEXT) | instid1(VALU_DEP_1)
	v_add_nc_u32_e32 v145, -1, v147
	v_cndmask_b32_e64 v135, 0, v145, s11
	v_lshrrev_b32_e32 v145, 23, v146
	s_mov_b32 s11, exec_lo
	s_delay_alu instid0(VALU_DEP_2) | instskip(NEXT) | instid1(VALU_DEP_2)
	v_add_nc_u32_e32 v135, v135, v146
	v_xor_b32_e32 v145, 1, v145
	s_delay_alu instid0(VALU_DEP_2) | instskip(NEXT) | instid1(VALU_DEP_1)
	v_and_b32_e32 v117, 0xfffff, v135
	v_add_nc_u32_e32 v135, v117, v146
                                        ; implicit-def: $vgpr117
	s_delay_alu instid0(VALU_DEP_3)
	v_cmpx_ne_u32_e64 v144, v145
	s_xor_b32 s11, exec_lo, s11
; %bb.2402:                             ;   in Loop: Header=BB4_2093 Depth=2
	s_delay_alu instid0(VALU_DEP_2) | instskip(SKIP_2) | instid1(VALU_DEP_2)
	v_cmp_lt_u32_e32 vcc_lo, 0xffffff, v135
	v_sub_nc_u32_e32 v117, v144, v145
	v_cndmask_b32_e64 v144, 0, 1, vcc_lo
	v_add_co_ci_u32_e32 v117, vcc_lo, 0, v117, vcc_lo
	s_delay_alu instid0(VALU_DEP_2)
	v_lshrrev_b32_e32 v135, v144, v135
; %bb.2403:                             ;   in Loop: Header=BB4_2093 Depth=2
	s_and_not1_saveexec_b32 s11, s11
; %bb.2404:                             ;   in Loop: Header=BB4_2093 Depth=2
	s_delay_alu instid0(VALU_DEP_1)
	v_bfe_u32 v117, v135, 23, 1
; %bb.2405:                             ;   in Loop: Header=BB4_2093 Depth=2
	s_or_b32 exec_lo, exec_lo, s11
	v_lshrrev_b32_e32 v135, 20, v135
	s_delay_alu instid0(VALU_DEP_2) | instskip(SKIP_2) | instid1(VALU_DEP_2)
	v_cmp_gt_i32_e32 vcc_lo, 16, v117
	v_lshrrev_b32_e32 v134, 24, v134
	v_min_i32_e32 v144, 15, v117
	v_dual_cndmask_b32 v135, 7, v135 :: v_dual_and_b32 v134, 0x80, v134
	s_delay_alu instid0(VALU_DEP_1) | instskip(SKIP_1) | instid1(VALU_DEP_2)
	v_or_b32_e32 v117, v117, v135
	v_and_b32_e32 v145, 7, v135
	v_cmp_ne_u32_e32 vcc_lo, 0, v117
	v_lshlrev_b32_e32 v144, 3, v144
	s_delay_alu instid0(VALU_DEP_1) | instskip(NEXT) | instid1(VALU_DEP_1)
	v_or3_b32 v134, v144, v134, v145
	v_cndmask_b32_e32 v117, 0, v134, vcc_lo
.LBB4_2406:                             ;   in Loop: Header=BB4_2093 Depth=2
	s_or_b32 exec_lo, exec_lo, s26
.LBB4_2407:                             ;   in Loop: Header=BB4_2093 Depth=2
	s_delay_alu instid0(SALU_CYCLE_1) | instskip(SKIP_3) | instid1(VALU_DEP_1)
	s_or_b32 exec_lo, exec_lo, s25
	v_and_b32_e32 v135, 0xff, v115
	s_mov_b32 s11, 0
	s_mov_b32 s26, exec_lo
                                        ; implicit-def: $sgpr25
	v_cmpx_lt_i16_e64 0x7f, v135
	s_xor_b32 s26, exec_lo, s26
	s_cbranch_execnz .LBB4_2672
; %bb.2408:                             ;   in Loop: Header=BB4_2093 Depth=2
	s_or_saveexec_b32 s26, s26
	v_mov_b32_e32 v134, s25
	s_xor_b32 exec_lo, exec_lo, s26
	s_cbranch_execnz .LBB4_2675
.LBB4_2409:                             ;   in Loop: Header=BB4_2093 Depth=2
	s_or_b32 exec_lo, exec_lo, s26
	s_and_saveexec_b32 s25, s11
	s_cbranch_execz .LBB4_2411
.LBB4_2410:                             ;   in Loop: Header=BB4_2093 Depth=2
	v_and_b32_e32 v134, 7, v115
	v_lshrrev_b16 v145, 3, v115
	s_delay_alu instid0(VALU_DEP_2) | instskip(NEXT) | instid1(VALU_DEP_1)
	v_clz_i32_u32_e32 v135, v134
	v_min_u32_e32 v135, 32, v135
	s_delay_alu instid0(VALU_DEP_1) | instskip(SKIP_1) | instid1(VALU_DEP_2)
	v_subrev_nc_u32_e32 v144, 28, v135
	v_sub_nc_u32_e32 v135, 29, v135
	v_lshlrev_b32_e32 v144, v144, v115
	v_lshlrev_b32_e32 v115, 24, v115
	s_delay_alu instid0(VALU_DEP_2) | instskip(SKIP_1) | instid1(VALU_DEP_3)
	v_and_b32_e32 v144, 7, v144
	v_and_b32_e32 v145, 15, v145
	;; [unrolled: 1-line block ×3, first 2 shown]
	s_delay_alu instid0(VALU_DEP_2) | instskip(NEXT) | instid1(VALU_DEP_4)
	v_cmp_eq_u32_e32 vcc_lo, 0, v145
	v_dual_cndmask_b32 v134, v134, v144 :: v_dual_cndmask_b32 v135, v145, v135
	s_delay_alu instid0(VALU_DEP_1) | instskip(NEXT) | instid1(VALU_DEP_2)
	v_lshlrev_b32_e32 v134, 20, v134
	v_lshl_add_u32 v135, v135, 23, 0x3b800000
	s_delay_alu instid0(VALU_DEP_1)
	v_or3_b32 v134, v115, v135, v134
.LBB4_2411:                             ;   in Loop: Header=BB4_2093 Depth=2
	s_or_b32 exec_lo, exec_lo, s25
	s_waitcnt vmcnt(8) lgkmcnt(8)
	v_and_b32_e32 v135, 0xff, v133
	s_mov_b32 s11, 0
	s_mov_b32 s26, exec_lo
                                        ; implicit-def: $sgpr25
	s_delay_alu instid0(VALU_DEP_1)
	v_cmpx_lt_i16_e64 0x7f, v135
	s_xor_b32 s26, exec_lo, s26
	s_cbranch_execnz .LBB4_2676
; %bb.2412:                             ;   in Loop: Header=BB4_2093 Depth=2
	s_or_saveexec_b32 s26, s26
	v_mov_b32_e32 v115, s25
	s_xor_b32 exec_lo, exec_lo, s26
	s_cbranch_execnz .LBB4_2679
.LBB4_2413:                             ;   in Loop: Header=BB4_2093 Depth=2
	s_or_b32 exec_lo, exec_lo, s26
	s_and_saveexec_b32 s25, s11
	s_cbranch_execz .LBB4_2415
.LBB4_2414:                             ;   in Loop: Header=BB4_2093 Depth=2
	v_and_b32_e32 v115, 7, v133
	v_lshrrev_b16 v145, 3, v133
	s_delay_alu instid0(VALU_DEP_2) | instskip(NEXT) | instid1(VALU_DEP_2)
	v_clz_i32_u32_e32 v135, v115
	v_and_b32_e32 v145, 15, v145
	s_delay_alu instid0(VALU_DEP_2) | instskip(NEXT) | instid1(VALU_DEP_2)
	v_min_u32_e32 v135, 32, v135
	v_cmp_eq_u32_e32 vcc_lo, 0, v145
	s_delay_alu instid0(VALU_DEP_2) | instskip(SKIP_1) | instid1(VALU_DEP_1)
	v_subrev_nc_u32_e32 v144, 28, v135
	v_sub_nc_u32_e32 v135, 29, v135
	v_dual_cndmask_b32 v135, v145, v135 :: v_dual_lshlrev_b32 v144, v144, v133
	v_lshlrev_b32_e32 v133, 24, v133
	s_delay_alu instid0(VALU_DEP_2) | instskip(NEXT) | instid1(VALU_DEP_3)
	v_and_b32_e32 v144, 7, v144
	v_lshl_add_u32 v135, v135, 23, 0x3b800000
	s_delay_alu instid0(VALU_DEP_3) | instskip(NEXT) | instid1(VALU_DEP_3)
	v_and_b32_e32 v133, 0x80000000, v133
	v_cndmask_b32_e32 v115, v115, v144, vcc_lo
	s_delay_alu instid0(VALU_DEP_1) | instskip(NEXT) | instid1(VALU_DEP_1)
	v_lshlrev_b32_e32 v115, 20, v115
	v_or3_b32 v115, v133, v135, v115
.LBB4_2415:                             ;   in Loop: Header=BB4_2093 Depth=2
	s_or_b32 exec_lo, exec_lo, s25
	s_delay_alu instid0(VALU_DEP_1) | instskip(NEXT) | instid1(VALU_DEP_1)
	v_add_f32_e32 v133, v134, v115
	v_and_b32_e32 v115, 0x7f800000, v133
	s_delay_alu instid0(VALU_DEP_1)
	v_cmp_ne_u32_e32 vcc_lo, 0x7f800000, v115
	v_mov_b32_e32 v115, 0x80
	s_and_saveexec_b32 s25, vcc_lo
	s_cbranch_execz .LBB4_2423
; %bb.2416:                             ;   in Loop: Header=BB4_2093 Depth=2
	v_mov_b32_e32 v115, 0
	s_mov_b32 s26, exec_lo
	v_cmpx_ne_u32_e32 0, v133
	s_cbranch_execz .LBB4_2422
; %bb.2417:                             ;   in Loop: Header=BB4_2093 Depth=2
	v_bfe_u32 v115, v133, 23, 8
	s_delay_alu instid0(VALU_DEP_1) | instskip(SKIP_1) | instid1(VALU_DEP_2)
	v_sub_nc_u32_e32 v135, 0x78, v115
	v_cmp_gt_u32_e32 vcc_lo, 0x79, v115
	v_dual_cndmask_b32 v135, 0, v135 :: v_dual_and_b32 v134, 0x7fffff, v133
	s_delay_alu instid0(VALU_DEP_1) | instskip(SKIP_2) | instid1(VALU_DEP_4)
	v_or_b32_e32 v144, 0x800000, v134
	v_cmp_eq_u32_e32 vcc_lo, 0, v115
	v_add_nc_u32_e32 v115, 0xffffff89, v115
	v_cndmask_b32_e64 v135, v135, 0x77, vcc_lo
	s_delay_alu instid0(VALU_DEP_4) | instskip(NEXT) | instid1(VALU_DEP_3)
	v_cndmask_b32_e32 v134, v144, v134, vcc_lo
	v_cndmask_b32_e64 v115, v115, 0xffffff8a, vcc_lo
	s_delay_alu instid0(VALU_DEP_3) | instskip(NEXT) | instid1(VALU_DEP_3)
	v_lshl_add_u32 v144, 0x100000, v135, -1
	v_lshrrev_b32_e32 v145, v135, v134
	v_lshlrev_b32_e64 v147, v135, 0x80000
	s_delay_alu instid0(VALU_DEP_4) | instskip(NEXT) | instid1(VALU_DEP_4)
	v_add_nc_u32_e32 v135, v135, v115
	v_and_b32_e32 v134, v144, v134
	s_delay_alu instid0(VALU_DEP_4) | instskip(NEXT) | instid1(VALU_DEP_2)
	v_bfe_u32 v146, v145, 20, 1
	v_cmp_eq_u32_e64 s11, v134, v147
	s_delay_alu instid0(VALU_DEP_2) | instskip(NEXT) | instid1(VALU_DEP_1)
	v_add_nc_u32_e32 v144, -1, v146
	v_cndmask_b32_e64 v134, 0, v144, s11
	v_lshrrev_b32_e32 v144, 23, v145
	s_mov_b32 s11, exec_lo
	s_delay_alu instid0(VALU_DEP_2) | instskip(NEXT) | instid1(VALU_DEP_2)
	v_add_nc_u32_e32 v134, v134, v145
	v_xor_b32_e32 v144, 1, v144
	s_delay_alu instid0(VALU_DEP_2) | instskip(NEXT) | instid1(VALU_DEP_1)
	v_and_b32_e32 v115, 0xfffff, v134
	v_add_nc_u32_e32 v134, v115, v145
                                        ; implicit-def: $vgpr115
	s_delay_alu instid0(VALU_DEP_3)
	v_cmpx_ne_u32_e64 v135, v144
	s_xor_b32 s11, exec_lo, s11
; %bb.2418:                             ;   in Loop: Header=BB4_2093 Depth=2
	s_delay_alu instid0(VALU_DEP_2) | instskip(SKIP_2) | instid1(VALU_DEP_2)
	v_cmp_lt_u32_e32 vcc_lo, 0xffffff, v134
	v_sub_nc_u32_e32 v115, v135, v144
	v_cndmask_b32_e64 v135, 0, 1, vcc_lo
	v_add_co_ci_u32_e32 v115, vcc_lo, 0, v115, vcc_lo
	s_delay_alu instid0(VALU_DEP_2)
	v_lshrrev_b32_e32 v134, v135, v134
; %bb.2419:                             ;   in Loop: Header=BB4_2093 Depth=2
	s_and_not1_saveexec_b32 s11, s11
; %bb.2420:                             ;   in Loop: Header=BB4_2093 Depth=2
	s_delay_alu instid0(VALU_DEP_1)
	v_bfe_u32 v115, v134, 23, 1
; %bb.2421:                             ;   in Loop: Header=BB4_2093 Depth=2
	s_or_b32 exec_lo, exec_lo, s11
	v_lshrrev_b32_e32 v134, 20, v134
	s_delay_alu instid0(VALU_DEP_2) | instskip(SKIP_2) | instid1(VALU_DEP_2)
	v_cmp_gt_i32_e32 vcc_lo, 16, v115
	v_lshrrev_b32_e32 v133, 24, v133
	v_min_i32_e32 v135, 15, v115
	v_dual_cndmask_b32 v134, 7, v134 :: v_dual_and_b32 v133, 0x80, v133
	s_delay_alu instid0(VALU_DEP_2) | instskip(NEXT) | instid1(VALU_DEP_2)
	v_lshlrev_b32_e32 v135, 3, v135
	v_or_b32_e32 v115, v115, v134
	s_delay_alu instid0(VALU_DEP_1) | instskip(SKIP_1) | instid1(VALU_DEP_1)
	v_cmp_ne_u32_e32 vcc_lo, 0, v115
	v_and_b32_e32 v144, 7, v134
	v_or3_b32 v133, v135, v133, v144
	s_delay_alu instid0(VALU_DEP_1)
	v_cndmask_b32_e32 v115, 0, v133, vcc_lo
.LBB4_2422:                             ;   in Loop: Header=BB4_2093 Depth=2
	s_or_b32 exec_lo, exec_lo, s26
.LBB4_2423:                             ;   in Loop: Header=BB4_2093 Depth=2
	s_delay_alu instid0(SALU_CYCLE_1) | instskip(SKIP_3) | instid1(VALU_DEP_1)
	s_or_b32 exec_lo, exec_lo, s25
	v_and_b32_e32 v134, 0xff, v113
	s_mov_b32 s11, 0
	s_mov_b32 s26, exec_lo
                                        ; implicit-def: $sgpr25
	v_cmpx_lt_i16_e64 0x7f, v134
	s_xor_b32 s26, exec_lo, s26
	s_cbranch_execnz .LBB4_2680
; %bb.2424:                             ;   in Loop: Header=BB4_2093 Depth=2
	s_or_saveexec_b32 s26, s26
	v_mov_b32_e32 v133, s25
	s_xor_b32 exec_lo, exec_lo, s26
	s_cbranch_execnz .LBB4_2683
.LBB4_2425:                             ;   in Loop: Header=BB4_2093 Depth=2
	s_or_b32 exec_lo, exec_lo, s26
	s_and_saveexec_b32 s25, s11
	s_cbranch_execz .LBB4_2427
.LBB4_2426:                             ;   in Loop: Header=BB4_2093 Depth=2
	v_lshrrev_b16 v144, 3, v113
	s_delay_alu instid0(VALU_DEP_1) | instskip(NEXT) | instid1(VALU_DEP_1)
	v_and_b32_e32 v144, 15, v144
	v_cmp_eq_u32_e32 vcc_lo, 0, v144
	v_and_b32_e32 v133, 7, v113
	s_delay_alu instid0(VALU_DEP_1) | instskip(NEXT) | instid1(VALU_DEP_1)
	v_clz_i32_u32_e32 v134, v133
	v_min_u32_e32 v134, 32, v134
	s_delay_alu instid0(VALU_DEP_1) | instskip(SKIP_1) | instid1(VALU_DEP_1)
	v_subrev_nc_u32_e32 v135, 28, v134
	v_sub_nc_u32_e32 v134, 29, v134
	v_dual_cndmask_b32 v134, v144, v134 :: v_dual_lshlrev_b32 v135, v135, v113
	v_lshlrev_b32_e32 v113, 24, v113
	s_delay_alu instid0(VALU_DEP_2) | instskip(NEXT) | instid1(VALU_DEP_3)
	v_and_b32_e32 v135, 7, v135
	v_lshl_add_u32 v134, v134, 23, 0x3b800000
	s_delay_alu instid0(VALU_DEP_3) | instskip(NEXT) | instid1(VALU_DEP_3)
	v_and_b32_e32 v113, 0x80000000, v113
	v_cndmask_b32_e32 v133, v133, v135, vcc_lo
	s_delay_alu instid0(VALU_DEP_1) | instskip(NEXT) | instid1(VALU_DEP_1)
	v_lshlrev_b32_e32 v133, 20, v133
	v_or3_b32 v133, v113, v134, v133
.LBB4_2427:                             ;   in Loop: Header=BB4_2093 Depth=2
	s_or_b32 exec_lo, exec_lo, s25
	s_waitcnt vmcnt(7) lgkmcnt(7)
	v_and_b32_e32 v134, 0xff, v132
	s_mov_b32 s11, 0
	s_mov_b32 s26, exec_lo
                                        ; implicit-def: $sgpr25
	s_delay_alu instid0(VALU_DEP_1)
	v_cmpx_lt_i16_e64 0x7f, v134
	s_xor_b32 s26, exec_lo, s26
	s_cbranch_execnz .LBB4_2684
; %bb.2428:                             ;   in Loop: Header=BB4_2093 Depth=2
	s_or_saveexec_b32 s26, s26
	v_mov_b32_e32 v113, s25
	s_xor_b32 exec_lo, exec_lo, s26
	s_cbranch_execnz .LBB4_2687
.LBB4_2429:                             ;   in Loop: Header=BB4_2093 Depth=2
	s_or_b32 exec_lo, exec_lo, s26
	s_and_saveexec_b32 s25, s11
	s_cbranch_execz .LBB4_2431
.LBB4_2430:                             ;   in Loop: Header=BB4_2093 Depth=2
	v_lshrrev_b16 v144, 3, v132
	s_delay_alu instid0(VALU_DEP_1) | instskip(NEXT) | instid1(VALU_DEP_1)
	v_and_b32_e32 v144, 15, v144
	v_cmp_eq_u32_e32 vcc_lo, 0, v144
	v_and_b32_e32 v113, 7, v132
	s_delay_alu instid0(VALU_DEP_1) | instskip(NEXT) | instid1(VALU_DEP_1)
	v_clz_i32_u32_e32 v134, v113
	v_min_u32_e32 v134, 32, v134
	s_delay_alu instid0(VALU_DEP_1) | instskip(SKIP_1) | instid1(VALU_DEP_1)
	v_subrev_nc_u32_e32 v135, 28, v134
	v_sub_nc_u32_e32 v134, 29, v134
	v_dual_cndmask_b32 v134, v144, v134 :: v_dual_lshlrev_b32 v135, v135, v132
	v_lshlrev_b32_e32 v132, 24, v132
	s_delay_alu instid0(VALU_DEP_2) | instskip(NEXT) | instid1(VALU_DEP_3)
	v_and_b32_e32 v135, 7, v135
	v_lshl_add_u32 v134, v134, 23, 0x3b800000
	s_delay_alu instid0(VALU_DEP_2) | instskip(NEXT) | instid1(VALU_DEP_1)
	v_dual_cndmask_b32 v113, v113, v135 :: v_dual_and_b32 v132, 0x80000000, v132
	v_lshlrev_b32_e32 v113, 20, v113
	s_delay_alu instid0(VALU_DEP_1)
	v_or3_b32 v113, v132, v134, v113
.LBB4_2431:                             ;   in Loop: Header=BB4_2093 Depth=2
	s_or_b32 exec_lo, exec_lo, s25
	s_delay_alu instid0(VALU_DEP_1) | instskip(NEXT) | instid1(VALU_DEP_1)
	v_add_f32_e32 v132, v133, v113
	v_and_b32_e32 v113, 0x7f800000, v132
	s_delay_alu instid0(VALU_DEP_1)
	v_cmp_ne_u32_e32 vcc_lo, 0x7f800000, v113
	v_mov_b32_e32 v113, 0x80
	s_and_saveexec_b32 s25, vcc_lo
	s_cbranch_execz .LBB4_2439
; %bb.2432:                             ;   in Loop: Header=BB4_2093 Depth=2
	v_mov_b32_e32 v113, 0
	s_mov_b32 s26, exec_lo
	v_cmpx_ne_u32_e32 0, v132
	s_cbranch_execz .LBB4_2438
; %bb.2433:                             ;   in Loop: Header=BB4_2093 Depth=2
	v_bfe_u32 v113, v132, 23, 8
	s_delay_alu instid0(VALU_DEP_1) | instskip(SKIP_1) | instid1(VALU_DEP_2)
	v_sub_nc_u32_e32 v134, 0x78, v113
	v_cmp_gt_u32_e32 vcc_lo, 0x79, v113
	v_dual_cndmask_b32 v134, 0, v134 :: v_dual_and_b32 v133, 0x7fffff, v132
	s_delay_alu instid0(VALU_DEP_1) | instskip(SKIP_2) | instid1(VALU_DEP_4)
	v_or_b32_e32 v135, 0x800000, v133
	v_cmp_eq_u32_e32 vcc_lo, 0, v113
	v_add_nc_u32_e32 v113, 0xffffff89, v113
	v_cndmask_b32_e64 v134, v134, 0x77, vcc_lo
	s_delay_alu instid0(VALU_DEP_4) | instskip(NEXT) | instid1(VALU_DEP_3)
	v_cndmask_b32_e32 v133, v135, v133, vcc_lo
	v_cndmask_b32_e64 v113, v113, 0xffffff8a, vcc_lo
	s_delay_alu instid0(VALU_DEP_3) | instskip(NEXT) | instid1(VALU_DEP_3)
	v_lshl_add_u32 v135, 0x100000, v134, -1
	v_lshrrev_b32_e32 v144, v134, v133
	v_lshlrev_b32_e64 v146, v134, 0x80000
	s_delay_alu instid0(VALU_DEP_4) | instskip(NEXT) | instid1(VALU_DEP_4)
	v_add_nc_u32_e32 v134, v134, v113
	v_and_b32_e32 v133, v135, v133
	s_delay_alu instid0(VALU_DEP_4) | instskip(NEXT) | instid1(VALU_DEP_2)
	v_bfe_u32 v145, v144, 20, 1
	v_cmp_eq_u32_e64 s11, v133, v146
	s_delay_alu instid0(VALU_DEP_2) | instskip(NEXT) | instid1(VALU_DEP_1)
	v_add_nc_u32_e32 v135, -1, v145
	v_cndmask_b32_e64 v133, 0, v135, s11
	v_lshrrev_b32_e32 v135, 23, v144
	s_mov_b32 s11, exec_lo
	s_delay_alu instid0(VALU_DEP_2) | instskip(NEXT) | instid1(VALU_DEP_2)
	v_add_nc_u32_e32 v133, v133, v144
	v_xor_b32_e32 v135, 1, v135
	s_delay_alu instid0(VALU_DEP_2) | instskip(NEXT) | instid1(VALU_DEP_1)
	v_and_b32_e32 v113, 0xfffff, v133
	v_add_nc_u32_e32 v133, v113, v144
                                        ; implicit-def: $vgpr113
	s_delay_alu instid0(VALU_DEP_3)
	v_cmpx_ne_u32_e64 v134, v135
	s_xor_b32 s11, exec_lo, s11
; %bb.2434:                             ;   in Loop: Header=BB4_2093 Depth=2
	s_delay_alu instid0(VALU_DEP_2) | instskip(SKIP_2) | instid1(VALU_DEP_2)
	v_cmp_lt_u32_e32 vcc_lo, 0xffffff, v133
	v_sub_nc_u32_e32 v113, v134, v135
	v_cndmask_b32_e64 v134, 0, 1, vcc_lo
	v_add_co_ci_u32_e32 v113, vcc_lo, 0, v113, vcc_lo
	s_delay_alu instid0(VALU_DEP_2)
	v_lshrrev_b32_e32 v133, v134, v133
; %bb.2435:                             ;   in Loop: Header=BB4_2093 Depth=2
	s_and_not1_saveexec_b32 s11, s11
; %bb.2436:                             ;   in Loop: Header=BB4_2093 Depth=2
	s_delay_alu instid0(VALU_DEP_1)
	v_bfe_u32 v113, v133, 23, 1
; %bb.2437:                             ;   in Loop: Header=BB4_2093 Depth=2
	s_or_b32 exec_lo, exec_lo, s11
	v_lshrrev_b32_e32 v133, 20, v133
	s_delay_alu instid0(VALU_DEP_2) | instskip(SKIP_2) | instid1(VALU_DEP_2)
	v_cmp_gt_i32_e32 vcc_lo, 16, v113
	v_lshrrev_b32_e32 v132, 24, v132
	v_min_i32_e32 v134, 15, v113
	v_dual_cndmask_b32 v133, 7, v133 :: v_dual_and_b32 v132, 0x80, v132
	s_delay_alu instid0(VALU_DEP_1) | instskip(SKIP_1) | instid1(VALU_DEP_2)
	v_or_b32_e32 v113, v113, v133
	v_and_b32_e32 v135, 7, v133
	v_cmp_ne_u32_e32 vcc_lo, 0, v113
	v_lshlrev_b32_e32 v134, 3, v134
	s_delay_alu instid0(VALU_DEP_1) | instskip(NEXT) | instid1(VALU_DEP_1)
	v_or3_b32 v132, v134, v132, v135
	v_cndmask_b32_e32 v113, 0, v132, vcc_lo
.LBB4_2438:                             ;   in Loop: Header=BB4_2093 Depth=2
	s_or_b32 exec_lo, exec_lo, s26
.LBB4_2439:                             ;   in Loop: Header=BB4_2093 Depth=2
	s_delay_alu instid0(SALU_CYCLE_1) | instskip(SKIP_3) | instid1(VALU_DEP_1)
	s_or_b32 exec_lo, exec_lo, s25
	v_and_b32_e32 v133, 0xff, v112
	s_mov_b32 s11, 0
	s_mov_b32 s26, exec_lo
                                        ; implicit-def: $sgpr25
	v_cmpx_lt_i16_e64 0x7f, v133
	s_xor_b32 s26, exec_lo, s26
	s_cbranch_execnz .LBB4_2688
; %bb.2440:                             ;   in Loop: Header=BB4_2093 Depth=2
	s_or_saveexec_b32 s26, s26
	v_mov_b32_e32 v132, s25
	s_xor_b32 exec_lo, exec_lo, s26
	s_cbranch_execnz .LBB4_2691
.LBB4_2441:                             ;   in Loop: Header=BB4_2093 Depth=2
	s_or_b32 exec_lo, exec_lo, s26
	s_and_saveexec_b32 s25, s11
	s_cbranch_execz .LBB4_2443
.LBB4_2442:                             ;   in Loop: Header=BB4_2093 Depth=2
	v_lshrrev_b16 v135, 3, v112
	s_delay_alu instid0(VALU_DEP_1) | instskip(NEXT) | instid1(VALU_DEP_1)
	v_and_b32_e32 v135, 15, v135
	v_cmp_eq_u32_e32 vcc_lo, 0, v135
	v_and_b32_e32 v132, 7, v112
	s_delay_alu instid0(VALU_DEP_1) | instskip(NEXT) | instid1(VALU_DEP_1)
	v_clz_i32_u32_e32 v133, v132
	v_min_u32_e32 v133, 32, v133
	s_delay_alu instid0(VALU_DEP_1) | instskip(SKIP_1) | instid1(VALU_DEP_1)
	v_subrev_nc_u32_e32 v134, 28, v133
	v_sub_nc_u32_e32 v133, 29, v133
	v_dual_cndmask_b32 v133, v135, v133 :: v_dual_lshlrev_b32 v134, v134, v112
	v_lshlrev_b32_e32 v112, 24, v112
	s_delay_alu instid0(VALU_DEP_2) | instskip(NEXT) | instid1(VALU_DEP_3)
	v_and_b32_e32 v134, 7, v134
	v_lshl_add_u32 v133, v133, 23, 0x3b800000
	s_delay_alu instid0(VALU_DEP_3) | instskip(NEXT) | instid1(VALU_DEP_3)
	v_and_b32_e32 v112, 0x80000000, v112
	v_cndmask_b32_e32 v132, v132, v134, vcc_lo
	s_delay_alu instid0(VALU_DEP_1) | instskip(NEXT) | instid1(VALU_DEP_1)
	v_lshlrev_b32_e32 v132, 20, v132
	v_or3_b32 v132, v112, v133, v132
.LBB4_2443:                             ;   in Loop: Header=BB4_2093 Depth=2
	s_or_b32 exec_lo, exec_lo, s25
	s_waitcnt vmcnt(6) lgkmcnt(6)
	v_and_b32_e32 v133, 0xff, v131
	s_mov_b32 s11, 0
	s_mov_b32 s26, exec_lo
                                        ; implicit-def: $sgpr25
	s_delay_alu instid0(VALU_DEP_1)
	v_cmpx_lt_i16_e64 0x7f, v133
	s_xor_b32 s26, exec_lo, s26
	s_cbranch_execnz .LBB4_2692
; %bb.2444:                             ;   in Loop: Header=BB4_2093 Depth=2
	s_or_saveexec_b32 s26, s26
	v_mov_b32_e32 v112, s25
	s_xor_b32 exec_lo, exec_lo, s26
	s_cbranch_execnz .LBB4_2695
.LBB4_2445:                             ;   in Loop: Header=BB4_2093 Depth=2
	s_or_b32 exec_lo, exec_lo, s26
	s_and_saveexec_b32 s25, s11
	s_cbranch_execz .LBB4_2447
.LBB4_2446:                             ;   in Loop: Header=BB4_2093 Depth=2
	v_lshrrev_b16 v135, 3, v131
	s_delay_alu instid0(VALU_DEP_1) | instskip(NEXT) | instid1(VALU_DEP_1)
	v_and_b32_e32 v135, 15, v135
	v_cmp_eq_u32_e32 vcc_lo, 0, v135
	v_and_b32_e32 v112, 7, v131
	s_delay_alu instid0(VALU_DEP_1) | instskip(NEXT) | instid1(VALU_DEP_1)
	v_clz_i32_u32_e32 v133, v112
	v_min_u32_e32 v133, 32, v133
	s_delay_alu instid0(VALU_DEP_1) | instskip(SKIP_1) | instid1(VALU_DEP_1)
	v_subrev_nc_u32_e32 v134, 28, v133
	v_sub_nc_u32_e32 v133, 29, v133
	v_dual_cndmask_b32 v133, v135, v133 :: v_dual_lshlrev_b32 v134, v134, v131
	v_lshlrev_b32_e32 v131, 24, v131
	s_delay_alu instid0(VALU_DEP_2) | instskip(NEXT) | instid1(VALU_DEP_3)
	v_and_b32_e32 v134, 7, v134
	v_lshl_add_u32 v133, v133, 23, 0x3b800000
	s_delay_alu instid0(VALU_DEP_2) | instskip(NEXT) | instid1(VALU_DEP_1)
	v_dual_cndmask_b32 v112, v112, v134 :: v_dual_and_b32 v131, 0x80000000, v131
	v_lshlrev_b32_e32 v112, 20, v112
	s_delay_alu instid0(VALU_DEP_1)
	v_or3_b32 v112, v131, v133, v112
.LBB4_2447:                             ;   in Loop: Header=BB4_2093 Depth=2
	s_or_b32 exec_lo, exec_lo, s25
	s_delay_alu instid0(VALU_DEP_1) | instskip(NEXT) | instid1(VALU_DEP_1)
	v_add_f32_e32 v131, v132, v112
	v_and_b32_e32 v112, 0x7f800000, v131
	s_delay_alu instid0(VALU_DEP_1)
	v_cmp_ne_u32_e32 vcc_lo, 0x7f800000, v112
	v_mov_b32_e32 v112, 0x80
	s_and_saveexec_b32 s25, vcc_lo
	s_cbranch_execz .LBB4_2455
; %bb.2448:                             ;   in Loop: Header=BB4_2093 Depth=2
	v_mov_b32_e32 v112, 0
	s_mov_b32 s26, exec_lo
	v_cmpx_ne_u32_e32 0, v131
	s_cbranch_execz .LBB4_2454
; %bb.2449:                             ;   in Loop: Header=BB4_2093 Depth=2
	v_bfe_u32 v112, v131, 23, 8
	s_delay_alu instid0(VALU_DEP_1) | instskip(SKIP_1) | instid1(VALU_DEP_2)
	v_sub_nc_u32_e32 v133, 0x78, v112
	v_cmp_gt_u32_e32 vcc_lo, 0x79, v112
	v_dual_cndmask_b32 v133, 0, v133 :: v_dual_and_b32 v132, 0x7fffff, v131
	s_delay_alu instid0(VALU_DEP_1) | instskip(SKIP_2) | instid1(VALU_DEP_4)
	v_or_b32_e32 v134, 0x800000, v132
	v_cmp_eq_u32_e32 vcc_lo, 0, v112
	v_add_nc_u32_e32 v112, 0xffffff89, v112
	v_cndmask_b32_e64 v133, v133, 0x77, vcc_lo
	s_delay_alu instid0(VALU_DEP_4) | instskip(NEXT) | instid1(VALU_DEP_3)
	v_cndmask_b32_e32 v132, v134, v132, vcc_lo
	v_cndmask_b32_e64 v112, v112, 0xffffff8a, vcc_lo
	s_delay_alu instid0(VALU_DEP_3) | instskip(NEXT) | instid1(VALU_DEP_3)
	v_lshl_add_u32 v134, 0x100000, v133, -1
	v_lshrrev_b32_e32 v135, v133, v132
	v_lshlrev_b32_e64 v145, v133, 0x80000
	s_delay_alu instid0(VALU_DEP_4) | instskip(NEXT) | instid1(VALU_DEP_4)
	v_add_nc_u32_e32 v133, v133, v112
	v_and_b32_e32 v132, v134, v132
	s_delay_alu instid0(VALU_DEP_4) | instskip(NEXT) | instid1(VALU_DEP_2)
	v_bfe_u32 v144, v135, 20, 1
	v_cmp_eq_u32_e64 s11, v132, v145
	s_delay_alu instid0(VALU_DEP_2) | instskip(NEXT) | instid1(VALU_DEP_1)
	v_add_nc_u32_e32 v134, -1, v144
	v_cndmask_b32_e64 v132, 0, v134, s11
	v_lshrrev_b32_e32 v134, 23, v135
	s_mov_b32 s11, exec_lo
	s_delay_alu instid0(VALU_DEP_2) | instskip(NEXT) | instid1(VALU_DEP_2)
	v_add_nc_u32_e32 v132, v132, v135
	v_xor_b32_e32 v134, 1, v134
	s_delay_alu instid0(VALU_DEP_2) | instskip(NEXT) | instid1(VALU_DEP_1)
	v_and_b32_e32 v112, 0xfffff, v132
	v_add_nc_u32_e32 v132, v112, v135
                                        ; implicit-def: $vgpr112
	s_delay_alu instid0(VALU_DEP_3)
	v_cmpx_ne_u32_e64 v133, v134
	s_xor_b32 s11, exec_lo, s11
; %bb.2450:                             ;   in Loop: Header=BB4_2093 Depth=2
	s_delay_alu instid0(VALU_DEP_2) | instskip(SKIP_2) | instid1(VALU_DEP_2)
	v_cmp_lt_u32_e32 vcc_lo, 0xffffff, v132
	v_sub_nc_u32_e32 v112, v133, v134
	v_cndmask_b32_e64 v133, 0, 1, vcc_lo
	v_add_co_ci_u32_e32 v112, vcc_lo, 0, v112, vcc_lo
	s_delay_alu instid0(VALU_DEP_2)
	v_lshrrev_b32_e32 v132, v133, v132
; %bb.2451:                             ;   in Loop: Header=BB4_2093 Depth=2
	s_and_not1_saveexec_b32 s11, s11
; %bb.2452:                             ;   in Loop: Header=BB4_2093 Depth=2
	s_delay_alu instid0(VALU_DEP_1)
	v_bfe_u32 v112, v132, 23, 1
; %bb.2453:                             ;   in Loop: Header=BB4_2093 Depth=2
	s_or_b32 exec_lo, exec_lo, s11
	v_lshrrev_b32_e32 v132, 20, v132
	s_delay_alu instid0(VALU_DEP_2) | instskip(SKIP_2) | instid1(VALU_DEP_2)
	v_cmp_gt_i32_e32 vcc_lo, 16, v112
	v_lshrrev_b32_e32 v131, 24, v131
	v_min_i32_e32 v133, 15, v112
	v_dual_cndmask_b32 v132, 7, v132 :: v_dual_and_b32 v131, 0x80, v131
	s_delay_alu instid0(VALU_DEP_1) | instskip(SKIP_1) | instid1(VALU_DEP_2)
	v_or_b32_e32 v112, v112, v132
	v_and_b32_e32 v134, 7, v132
	v_cmp_ne_u32_e32 vcc_lo, 0, v112
	v_lshlrev_b32_e32 v133, 3, v133
	s_delay_alu instid0(VALU_DEP_1) | instskip(NEXT) | instid1(VALU_DEP_1)
	v_or3_b32 v131, v133, v131, v134
	v_cndmask_b32_e32 v112, 0, v131, vcc_lo
.LBB4_2454:                             ;   in Loop: Header=BB4_2093 Depth=2
	s_or_b32 exec_lo, exec_lo, s26
.LBB4_2455:                             ;   in Loop: Header=BB4_2093 Depth=2
	s_delay_alu instid0(SALU_CYCLE_1) | instskip(SKIP_3) | instid1(VALU_DEP_1)
	s_or_b32 exec_lo, exec_lo, s25
	v_and_b32_e32 v132, 0xff, v102
	s_mov_b32 s11, 0
	s_mov_b32 s26, exec_lo
                                        ; implicit-def: $sgpr25
	v_cmpx_lt_i16_e64 0x7f, v132
	s_xor_b32 s26, exec_lo, s26
	s_cbranch_execnz .LBB4_2696
; %bb.2456:                             ;   in Loop: Header=BB4_2093 Depth=2
	s_or_saveexec_b32 s26, s26
	v_mov_b32_e32 v131, s25
	s_xor_b32 exec_lo, exec_lo, s26
	s_cbranch_execnz .LBB4_2699
.LBB4_2457:                             ;   in Loop: Header=BB4_2093 Depth=2
	s_or_b32 exec_lo, exec_lo, s26
	s_and_saveexec_b32 s25, s11
	s_cbranch_execz .LBB4_2459
.LBB4_2458:                             ;   in Loop: Header=BB4_2093 Depth=2
	v_lshrrev_b16 v134, 3, v102
	s_delay_alu instid0(VALU_DEP_1) | instskip(NEXT) | instid1(VALU_DEP_1)
	v_and_b32_e32 v134, 15, v134
	v_cmp_eq_u32_e32 vcc_lo, 0, v134
	v_and_b32_e32 v131, 7, v102
	s_delay_alu instid0(VALU_DEP_1) | instskip(NEXT) | instid1(VALU_DEP_1)
	v_clz_i32_u32_e32 v132, v131
	v_min_u32_e32 v132, 32, v132
	s_delay_alu instid0(VALU_DEP_1) | instskip(SKIP_1) | instid1(VALU_DEP_1)
	v_subrev_nc_u32_e32 v133, 28, v132
	v_sub_nc_u32_e32 v132, 29, v132
	v_dual_cndmask_b32 v132, v134, v132 :: v_dual_lshlrev_b32 v133, v133, v102
	v_lshlrev_b32_e32 v102, 24, v102
	s_delay_alu instid0(VALU_DEP_2) | instskip(NEXT) | instid1(VALU_DEP_3)
	v_and_b32_e32 v133, 7, v133
	v_lshl_add_u32 v132, v132, 23, 0x3b800000
	s_delay_alu instid0(VALU_DEP_2) | instskip(NEXT) | instid1(VALU_DEP_1)
	v_dual_cndmask_b32 v131, v131, v133 :: v_dual_and_b32 v102, 0x80000000, v102
	v_lshlrev_b32_e32 v131, 20, v131
	s_delay_alu instid0(VALU_DEP_1)
	v_or3_b32 v131, v102, v132, v131
.LBB4_2459:                             ;   in Loop: Header=BB4_2093 Depth=2
	s_or_b32 exec_lo, exec_lo, s25
	s_waitcnt vmcnt(5) lgkmcnt(5)
	v_and_b32_e32 v132, 0xff, v130
	s_mov_b32 s11, 0
	s_mov_b32 s26, exec_lo
                                        ; implicit-def: $sgpr25
	s_delay_alu instid0(VALU_DEP_1)
	v_cmpx_lt_i16_e64 0x7f, v132
	s_xor_b32 s26, exec_lo, s26
	s_cbranch_execnz .LBB4_2700
; %bb.2460:                             ;   in Loop: Header=BB4_2093 Depth=2
	s_or_saveexec_b32 s26, s26
	v_mov_b32_e32 v102, s25
	s_xor_b32 exec_lo, exec_lo, s26
	s_cbranch_execnz .LBB4_2703
.LBB4_2461:                             ;   in Loop: Header=BB4_2093 Depth=2
	s_or_b32 exec_lo, exec_lo, s26
	s_and_saveexec_b32 s25, s11
	s_cbranch_execz .LBB4_2463
.LBB4_2462:                             ;   in Loop: Header=BB4_2093 Depth=2
	v_and_b32_e32 v102, 7, v130
	v_lshrrev_b16 v134, 3, v130
	s_delay_alu instid0(VALU_DEP_2) | instskip(NEXT) | instid1(VALU_DEP_2)
	v_clz_i32_u32_e32 v132, v102
	v_and_b32_e32 v134, 15, v134
	s_delay_alu instid0(VALU_DEP_2) | instskip(NEXT) | instid1(VALU_DEP_2)
	v_min_u32_e32 v132, 32, v132
	v_cmp_eq_u32_e32 vcc_lo, 0, v134
	s_delay_alu instid0(VALU_DEP_2) | instskip(SKIP_1) | instid1(VALU_DEP_1)
	v_subrev_nc_u32_e32 v133, 28, v132
	v_sub_nc_u32_e32 v132, 29, v132
	v_dual_cndmask_b32 v132, v134, v132 :: v_dual_lshlrev_b32 v133, v133, v130
	v_lshlrev_b32_e32 v130, 24, v130
	s_delay_alu instid0(VALU_DEP_2) | instskip(NEXT) | instid1(VALU_DEP_3)
	v_and_b32_e32 v133, 7, v133
	v_lshl_add_u32 v132, v132, 23, 0x3b800000
	s_delay_alu instid0(VALU_DEP_3) | instskip(NEXT) | instid1(VALU_DEP_3)
	v_and_b32_e32 v130, 0x80000000, v130
	v_cndmask_b32_e32 v102, v102, v133, vcc_lo
	s_delay_alu instid0(VALU_DEP_1) | instskip(NEXT) | instid1(VALU_DEP_1)
	v_lshlrev_b32_e32 v102, 20, v102
	v_or3_b32 v102, v130, v132, v102
.LBB4_2463:                             ;   in Loop: Header=BB4_2093 Depth=2
	s_or_b32 exec_lo, exec_lo, s25
	s_delay_alu instid0(VALU_DEP_1) | instskip(NEXT) | instid1(VALU_DEP_1)
	v_add_f32_e32 v130, v131, v102
	v_and_b32_e32 v102, 0x7f800000, v130
	s_delay_alu instid0(VALU_DEP_1)
	v_cmp_ne_u32_e32 vcc_lo, 0x7f800000, v102
	v_mov_b32_e32 v102, 0x80
	s_and_saveexec_b32 s25, vcc_lo
	s_cbranch_execz .LBB4_2471
; %bb.2464:                             ;   in Loop: Header=BB4_2093 Depth=2
	v_mov_b32_e32 v102, 0
	s_mov_b32 s26, exec_lo
	v_cmpx_ne_u32_e32 0, v130
	s_cbranch_execz .LBB4_2470
; %bb.2465:                             ;   in Loop: Header=BB4_2093 Depth=2
	v_bfe_u32 v102, v130, 23, 8
	s_delay_alu instid0(VALU_DEP_1) | instskip(SKIP_1) | instid1(VALU_DEP_2)
	v_sub_nc_u32_e32 v132, 0x78, v102
	v_cmp_gt_u32_e32 vcc_lo, 0x79, v102
	v_dual_cndmask_b32 v132, 0, v132 :: v_dual_and_b32 v131, 0x7fffff, v130
	s_delay_alu instid0(VALU_DEP_1) | instskip(SKIP_2) | instid1(VALU_DEP_4)
	v_or_b32_e32 v133, 0x800000, v131
	v_cmp_eq_u32_e32 vcc_lo, 0, v102
	v_add_nc_u32_e32 v102, 0xffffff89, v102
	v_cndmask_b32_e64 v132, v132, 0x77, vcc_lo
	s_delay_alu instid0(VALU_DEP_4) | instskip(NEXT) | instid1(VALU_DEP_3)
	v_cndmask_b32_e32 v131, v133, v131, vcc_lo
	v_cndmask_b32_e64 v102, v102, 0xffffff8a, vcc_lo
	s_delay_alu instid0(VALU_DEP_3) | instskip(NEXT) | instid1(VALU_DEP_3)
	v_lshl_add_u32 v133, 0x100000, v132, -1
	v_lshrrev_b32_e32 v134, v132, v131
	v_lshlrev_b32_e64 v144, v132, 0x80000
	s_delay_alu instid0(VALU_DEP_4) | instskip(NEXT) | instid1(VALU_DEP_4)
	v_add_nc_u32_e32 v132, v132, v102
	v_and_b32_e32 v131, v133, v131
	s_delay_alu instid0(VALU_DEP_4) | instskip(NEXT) | instid1(VALU_DEP_2)
	v_bfe_u32 v135, v134, 20, 1
	v_cmp_eq_u32_e64 s11, v131, v144
	s_delay_alu instid0(VALU_DEP_2) | instskip(NEXT) | instid1(VALU_DEP_1)
	v_add_nc_u32_e32 v133, -1, v135
	v_cndmask_b32_e64 v131, 0, v133, s11
	v_lshrrev_b32_e32 v133, 23, v134
	s_mov_b32 s11, exec_lo
	s_delay_alu instid0(VALU_DEP_2) | instskip(NEXT) | instid1(VALU_DEP_2)
	v_add_nc_u32_e32 v131, v131, v134
	v_xor_b32_e32 v133, 1, v133
	s_delay_alu instid0(VALU_DEP_2) | instskip(NEXT) | instid1(VALU_DEP_1)
	v_and_b32_e32 v102, 0xfffff, v131
	v_add_nc_u32_e32 v131, v102, v134
                                        ; implicit-def: $vgpr102
	s_delay_alu instid0(VALU_DEP_3)
	v_cmpx_ne_u32_e64 v132, v133
	s_xor_b32 s11, exec_lo, s11
; %bb.2466:                             ;   in Loop: Header=BB4_2093 Depth=2
	s_delay_alu instid0(VALU_DEP_2) | instskip(SKIP_2) | instid1(VALU_DEP_2)
	v_cmp_lt_u32_e32 vcc_lo, 0xffffff, v131
	v_sub_nc_u32_e32 v102, v132, v133
	v_cndmask_b32_e64 v132, 0, 1, vcc_lo
	v_add_co_ci_u32_e32 v102, vcc_lo, 0, v102, vcc_lo
	s_delay_alu instid0(VALU_DEP_2)
	v_lshrrev_b32_e32 v131, v132, v131
; %bb.2467:                             ;   in Loop: Header=BB4_2093 Depth=2
	s_and_not1_saveexec_b32 s11, s11
; %bb.2468:                             ;   in Loop: Header=BB4_2093 Depth=2
	s_delay_alu instid0(VALU_DEP_1)
	v_bfe_u32 v102, v131, 23, 1
; %bb.2469:                             ;   in Loop: Header=BB4_2093 Depth=2
	s_or_b32 exec_lo, exec_lo, s11
	v_lshrrev_b32_e32 v131, 20, v131
	s_delay_alu instid0(VALU_DEP_2) | instskip(SKIP_2) | instid1(VALU_DEP_2)
	v_cmp_gt_i32_e32 vcc_lo, 16, v102
	v_lshrrev_b32_e32 v130, 24, v130
	v_min_i32_e32 v132, 15, v102
	v_dual_cndmask_b32 v131, 7, v131 :: v_dual_and_b32 v130, 0x80, v130
	s_delay_alu instid0(VALU_DEP_2) | instskip(NEXT) | instid1(VALU_DEP_2)
	v_lshlrev_b32_e32 v132, 3, v132
	v_or_b32_e32 v102, v102, v131
	s_delay_alu instid0(VALU_DEP_1) | instskip(SKIP_1) | instid1(VALU_DEP_1)
	v_cmp_ne_u32_e32 vcc_lo, 0, v102
	v_and_b32_e32 v133, 7, v131
	v_or3_b32 v130, v132, v130, v133
	s_delay_alu instid0(VALU_DEP_1)
	v_cndmask_b32_e32 v102, 0, v130, vcc_lo
.LBB4_2470:                             ;   in Loop: Header=BB4_2093 Depth=2
	s_or_b32 exec_lo, exec_lo, s26
.LBB4_2471:                             ;   in Loop: Header=BB4_2093 Depth=2
	s_delay_alu instid0(SALU_CYCLE_1) | instskip(SKIP_3) | instid1(VALU_DEP_1)
	s_or_b32 exec_lo, exec_lo, s25
	v_and_b32_e32 v131, 0xff, v101
	s_mov_b32 s11, 0
	s_mov_b32 s26, exec_lo
                                        ; implicit-def: $sgpr25
	v_cmpx_lt_i16_e64 0x7f, v131
	s_xor_b32 s26, exec_lo, s26
	s_cbranch_execnz .LBB4_2704
; %bb.2472:                             ;   in Loop: Header=BB4_2093 Depth=2
	s_or_saveexec_b32 s26, s26
	v_mov_b32_e32 v130, s25
	s_xor_b32 exec_lo, exec_lo, s26
	s_cbranch_execnz .LBB4_2707
.LBB4_2473:                             ;   in Loop: Header=BB4_2093 Depth=2
	s_or_b32 exec_lo, exec_lo, s26
	s_and_saveexec_b32 s25, s11
	s_cbranch_execz .LBB4_2475
.LBB4_2474:                             ;   in Loop: Header=BB4_2093 Depth=2
	v_lshrrev_b16 v133, 3, v101
	s_delay_alu instid0(VALU_DEP_1) | instskip(NEXT) | instid1(VALU_DEP_1)
	v_and_b32_e32 v133, 15, v133
	v_cmp_eq_u32_e32 vcc_lo, 0, v133
	v_and_b32_e32 v130, 7, v101
	s_delay_alu instid0(VALU_DEP_1) | instskip(NEXT) | instid1(VALU_DEP_1)
	v_clz_i32_u32_e32 v131, v130
	v_min_u32_e32 v131, 32, v131
	s_delay_alu instid0(VALU_DEP_1) | instskip(SKIP_1) | instid1(VALU_DEP_1)
	v_subrev_nc_u32_e32 v132, 28, v131
	v_sub_nc_u32_e32 v131, 29, v131
	v_dual_cndmask_b32 v131, v133, v131 :: v_dual_lshlrev_b32 v132, v132, v101
	v_lshlrev_b32_e32 v101, 24, v101
	s_delay_alu instid0(VALU_DEP_2) | instskip(NEXT) | instid1(VALU_DEP_3)
	v_and_b32_e32 v132, 7, v132
	v_lshl_add_u32 v131, v131, 23, 0x3b800000
	s_delay_alu instid0(VALU_DEP_2) | instskip(NEXT) | instid1(VALU_DEP_1)
	v_dual_cndmask_b32 v130, v130, v132 :: v_dual_and_b32 v101, 0x80000000, v101
	v_lshlrev_b32_e32 v130, 20, v130
	s_delay_alu instid0(VALU_DEP_1)
	v_or3_b32 v130, v101, v131, v130
.LBB4_2475:                             ;   in Loop: Header=BB4_2093 Depth=2
	s_or_b32 exec_lo, exec_lo, s25
	s_waitcnt vmcnt(4) lgkmcnt(4)
	v_and_b32_e32 v131, 0xff, v129
	s_mov_b32 s11, 0
	s_mov_b32 s26, exec_lo
                                        ; implicit-def: $sgpr25
	s_delay_alu instid0(VALU_DEP_1)
	v_cmpx_lt_i16_e64 0x7f, v131
	s_xor_b32 s26, exec_lo, s26
	s_cbranch_execnz .LBB4_2708
; %bb.2476:                             ;   in Loop: Header=BB4_2093 Depth=2
	s_or_saveexec_b32 s26, s26
	v_mov_b32_e32 v101, s25
	s_xor_b32 exec_lo, exec_lo, s26
	s_cbranch_execnz .LBB4_2711
.LBB4_2477:                             ;   in Loop: Header=BB4_2093 Depth=2
	s_or_b32 exec_lo, exec_lo, s26
	s_and_saveexec_b32 s25, s11
	s_cbranch_execz .LBB4_2479
.LBB4_2478:                             ;   in Loop: Header=BB4_2093 Depth=2
	v_and_b32_e32 v101, 7, v129
	v_lshrrev_b16 v133, 3, v129
	s_delay_alu instid0(VALU_DEP_2) | instskip(NEXT) | instid1(VALU_DEP_2)
	v_clz_i32_u32_e32 v131, v101
	v_and_b32_e32 v133, 15, v133
	s_delay_alu instid0(VALU_DEP_2) | instskip(NEXT) | instid1(VALU_DEP_2)
	v_min_u32_e32 v131, 32, v131
	v_cmp_eq_u32_e32 vcc_lo, 0, v133
	s_delay_alu instid0(VALU_DEP_2) | instskip(SKIP_1) | instid1(VALU_DEP_1)
	v_subrev_nc_u32_e32 v132, 28, v131
	v_sub_nc_u32_e32 v131, 29, v131
	v_dual_cndmask_b32 v131, v133, v131 :: v_dual_lshlrev_b32 v132, v132, v129
	v_lshlrev_b32_e32 v129, 24, v129
	s_delay_alu instid0(VALU_DEP_2) | instskip(NEXT) | instid1(VALU_DEP_3)
	v_and_b32_e32 v132, 7, v132
	v_lshl_add_u32 v131, v131, 23, 0x3b800000
	s_delay_alu instid0(VALU_DEP_3) | instskip(NEXT) | instid1(VALU_DEP_3)
	v_and_b32_e32 v129, 0x80000000, v129
	v_cndmask_b32_e32 v101, v101, v132, vcc_lo
	s_delay_alu instid0(VALU_DEP_1) | instskip(NEXT) | instid1(VALU_DEP_1)
	v_lshlrev_b32_e32 v101, 20, v101
	v_or3_b32 v101, v129, v131, v101
.LBB4_2479:                             ;   in Loop: Header=BB4_2093 Depth=2
	s_or_b32 exec_lo, exec_lo, s25
	s_delay_alu instid0(VALU_DEP_1) | instskip(NEXT) | instid1(VALU_DEP_1)
	v_add_f32_e32 v129, v130, v101
	v_and_b32_e32 v101, 0x7f800000, v129
	s_delay_alu instid0(VALU_DEP_1)
	v_cmp_ne_u32_e32 vcc_lo, 0x7f800000, v101
	v_mov_b32_e32 v101, 0x80
	s_and_saveexec_b32 s25, vcc_lo
	s_cbranch_execz .LBB4_2487
; %bb.2480:                             ;   in Loop: Header=BB4_2093 Depth=2
	v_mov_b32_e32 v101, 0
	s_mov_b32 s26, exec_lo
	v_cmpx_ne_u32_e32 0, v129
	s_cbranch_execz .LBB4_2486
; %bb.2481:                             ;   in Loop: Header=BB4_2093 Depth=2
	v_bfe_u32 v101, v129, 23, 8
	s_delay_alu instid0(VALU_DEP_1) | instskip(SKIP_1) | instid1(VALU_DEP_2)
	v_sub_nc_u32_e32 v131, 0x78, v101
	v_cmp_gt_u32_e32 vcc_lo, 0x79, v101
	v_dual_cndmask_b32 v131, 0, v131 :: v_dual_and_b32 v130, 0x7fffff, v129
	s_delay_alu instid0(VALU_DEP_1) | instskip(SKIP_2) | instid1(VALU_DEP_4)
	v_or_b32_e32 v132, 0x800000, v130
	v_cmp_eq_u32_e32 vcc_lo, 0, v101
	v_add_nc_u32_e32 v101, 0xffffff89, v101
	v_cndmask_b32_e64 v131, v131, 0x77, vcc_lo
	s_delay_alu instid0(VALU_DEP_4) | instskip(NEXT) | instid1(VALU_DEP_3)
	v_cndmask_b32_e32 v130, v132, v130, vcc_lo
	v_cndmask_b32_e64 v101, v101, 0xffffff8a, vcc_lo
	s_delay_alu instid0(VALU_DEP_3) | instskip(NEXT) | instid1(VALU_DEP_3)
	v_lshl_add_u32 v132, 0x100000, v131, -1
	v_lshrrev_b32_e32 v133, v131, v130
	v_lshlrev_b32_e64 v135, v131, 0x80000
	s_delay_alu instid0(VALU_DEP_4) | instskip(NEXT) | instid1(VALU_DEP_4)
	v_add_nc_u32_e32 v131, v131, v101
	v_and_b32_e32 v130, v132, v130
	s_delay_alu instid0(VALU_DEP_4) | instskip(NEXT) | instid1(VALU_DEP_2)
	v_bfe_u32 v134, v133, 20, 1
	v_cmp_eq_u32_e64 s11, v130, v135
	s_delay_alu instid0(VALU_DEP_2) | instskip(NEXT) | instid1(VALU_DEP_1)
	v_add_nc_u32_e32 v132, -1, v134
	v_cndmask_b32_e64 v130, 0, v132, s11
	v_lshrrev_b32_e32 v132, 23, v133
	s_mov_b32 s11, exec_lo
	s_delay_alu instid0(VALU_DEP_2) | instskip(NEXT) | instid1(VALU_DEP_2)
	v_add_nc_u32_e32 v130, v130, v133
	v_xor_b32_e32 v132, 1, v132
	s_delay_alu instid0(VALU_DEP_2) | instskip(NEXT) | instid1(VALU_DEP_1)
	v_and_b32_e32 v101, 0xfffff, v130
	v_add_nc_u32_e32 v130, v101, v133
                                        ; implicit-def: $vgpr101
	s_delay_alu instid0(VALU_DEP_3)
	v_cmpx_ne_u32_e64 v131, v132
	s_xor_b32 s11, exec_lo, s11
; %bb.2482:                             ;   in Loop: Header=BB4_2093 Depth=2
	s_delay_alu instid0(VALU_DEP_2) | instskip(SKIP_2) | instid1(VALU_DEP_2)
	v_cmp_lt_u32_e32 vcc_lo, 0xffffff, v130
	v_sub_nc_u32_e32 v101, v131, v132
	v_cndmask_b32_e64 v131, 0, 1, vcc_lo
	v_add_co_ci_u32_e32 v101, vcc_lo, 0, v101, vcc_lo
	s_delay_alu instid0(VALU_DEP_2)
	v_lshrrev_b32_e32 v130, v131, v130
; %bb.2483:                             ;   in Loop: Header=BB4_2093 Depth=2
	s_and_not1_saveexec_b32 s11, s11
; %bb.2484:                             ;   in Loop: Header=BB4_2093 Depth=2
	s_delay_alu instid0(VALU_DEP_1)
	v_bfe_u32 v101, v130, 23, 1
; %bb.2485:                             ;   in Loop: Header=BB4_2093 Depth=2
	s_or_b32 exec_lo, exec_lo, s11
	v_lshrrev_b32_e32 v130, 20, v130
	s_delay_alu instid0(VALU_DEP_2) | instskip(SKIP_2) | instid1(VALU_DEP_2)
	v_cmp_gt_i32_e32 vcc_lo, 16, v101
	v_lshrrev_b32_e32 v129, 24, v129
	v_min_i32_e32 v131, 15, v101
	v_dual_cndmask_b32 v130, 7, v130 :: v_dual_and_b32 v129, 0x80, v129
	s_delay_alu instid0(VALU_DEP_2) | instskip(NEXT) | instid1(VALU_DEP_2)
	v_lshlrev_b32_e32 v131, 3, v131
	v_or_b32_e32 v101, v101, v130
	s_delay_alu instid0(VALU_DEP_1) | instskip(SKIP_1) | instid1(VALU_DEP_1)
	v_cmp_ne_u32_e32 vcc_lo, 0, v101
	v_and_b32_e32 v132, 7, v130
	v_or3_b32 v129, v131, v129, v132
	s_delay_alu instid0(VALU_DEP_1)
	v_cndmask_b32_e32 v101, 0, v129, vcc_lo
.LBB4_2486:                             ;   in Loop: Header=BB4_2093 Depth=2
	s_or_b32 exec_lo, exec_lo, s26
.LBB4_2487:                             ;   in Loop: Header=BB4_2093 Depth=2
	s_delay_alu instid0(SALU_CYCLE_1) | instskip(SKIP_3) | instid1(VALU_DEP_1)
	s_or_b32 exec_lo, exec_lo, s25
	v_and_b32_e32 v130, 0xff, v99
	s_mov_b32 s11, 0
	s_mov_b32 s26, exec_lo
                                        ; implicit-def: $sgpr25
	v_cmpx_lt_i16_e64 0x7f, v130
	s_xor_b32 s26, exec_lo, s26
	s_cbranch_execnz .LBB4_2712
; %bb.2488:                             ;   in Loop: Header=BB4_2093 Depth=2
	s_or_saveexec_b32 s26, s26
	v_mov_b32_e32 v129, s25
	s_xor_b32 exec_lo, exec_lo, s26
	s_cbranch_execnz .LBB4_2715
.LBB4_2489:                             ;   in Loop: Header=BB4_2093 Depth=2
	s_or_b32 exec_lo, exec_lo, s26
	s_and_saveexec_b32 s25, s11
	s_cbranch_execz .LBB4_2491
.LBB4_2490:                             ;   in Loop: Header=BB4_2093 Depth=2
	v_lshrrev_b16 v132, 3, v99
	s_delay_alu instid0(VALU_DEP_1) | instskip(NEXT) | instid1(VALU_DEP_1)
	v_and_b32_e32 v132, 15, v132
	v_cmp_eq_u32_e32 vcc_lo, 0, v132
	v_and_b32_e32 v129, 7, v99
	s_delay_alu instid0(VALU_DEP_1) | instskip(NEXT) | instid1(VALU_DEP_1)
	v_clz_i32_u32_e32 v130, v129
	v_min_u32_e32 v130, 32, v130
	s_delay_alu instid0(VALU_DEP_1) | instskip(SKIP_1) | instid1(VALU_DEP_1)
	v_subrev_nc_u32_e32 v131, 28, v130
	v_sub_nc_u32_e32 v130, 29, v130
	v_dual_cndmask_b32 v130, v132, v130 :: v_dual_lshlrev_b32 v131, v131, v99
	v_lshlrev_b32_e32 v99, 24, v99
	s_delay_alu instid0(VALU_DEP_2) | instskip(NEXT) | instid1(VALU_DEP_3)
	v_and_b32_e32 v131, 7, v131
	v_lshl_add_u32 v130, v130, 23, 0x3b800000
	s_delay_alu instid0(VALU_DEP_3) | instskip(NEXT) | instid1(VALU_DEP_3)
	v_and_b32_e32 v99, 0x80000000, v99
	v_cndmask_b32_e32 v129, v129, v131, vcc_lo
	s_delay_alu instid0(VALU_DEP_1) | instskip(NEXT) | instid1(VALU_DEP_1)
	v_lshlrev_b32_e32 v129, 20, v129
	v_or3_b32 v129, v99, v130, v129
.LBB4_2491:                             ;   in Loop: Header=BB4_2093 Depth=2
	s_or_b32 exec_lo, exec_lo, s25
	s_waitcnt vmcnt(3) lgkmcnt(3)
	v_and_b32_e32 v130, 0xff, v116
	s_mov_b32 s11, 0
	s_mov_b32 s26, exec_lo
                                        ; implicit-def: $sgpr25
	s_delay_alu instid0(VALU_DEP_1)
	v_cmpx_lt_i16_e64 0x7f, v130
	s_xor_b32 s26, exec_lo, s26
	s_cbranch_execnz .LBB4_2716
; %bb.2492:                             ;   in Loop: Header=BB4_2093 Depth=2
	s_or_saveexec_b32 s26, s26
	v_mov_b32_e32 v99, s25
	s_xor_b32 exec_lo, exec_lo, s26
	s_cbranch_execnz .LBB4_2719
.LBB4_2493:                             ;   in Loop: Header=BB4_2093 Depth=2
	s_or_b32 exec_lo, exec_lo, s26
	s_and_saveexec_b32 s25, s11
	s_cbranch_execz .LBB4_2495
.LBB4_2494:                             ;   in Loop: Header=BB4_2093 Depth=2
	v_lshrrev_b16 v132, 3, v116
	s_delay_alu instid0(VALU_DEP_1) | instskip(NEXT) | instid1(VALU_DEP_1)
	v_and_b32_e32 v132, 15, v132
	v_cmp_eq_u32_e32 vcc_lo, 0, v132
	v_and_b32_e32 v99, 7, v116
	s_delay_alu instid0(VALU_DEP_1) | instskip(NEXT) | instid1(VALU_DEP_1)
	v_clz_i32_u32_e32 v130, v99
	v_min_u32_e32 v130, 32, v130
	s_delay_alu instid0(VALU_DEP_1) | instskip(SKIP_1) | instid1(VALU_DEP_1)
	v_subrev_nc_u32_e32 v131, 28, v130
	v_sub_nc_u32_e32 v130, 29, v130
	v_dual_cndmask_b32 v130, v132, v130 :: v_dual_lshlrev_b32 v131, v131, v116
	v_lshlrev_b32_e32 v116, 24, v116
	s_delay_alu instid0(VALU_DEP_2) | instskip(NEXT) | instid1(VALU_DEP_3)
	v_and_b32_e32 v131, 7, v131
	v_lshl_add_u32 v130, v130, 23, 0x3b800000
	s_delay_alu instid0(VALU_DEP_2) | instskip(NEXT) | instid1(VALU_DEP_1)
	v_dual_cndmask_b32 v99, v99, v131 :: v_dual_and_b32 v116, 0x80000000, v116
	v_lshlrev_b32_e32 v99, 20, v99
	s_delay_alu instid0(VALU_DEP_1)
	v_or3_b32 v99, v116, v130, v99
.LBB4_2495:                             ;   in Loop: Header=BB4_2093 Depth=2
	s_or_b32 exec_lo, exec_lo, s25
	s_delay_alu instid0(VALU_DEP_1) | instskip(NEXT) | instid1(VALU_DEP_1)
	v_add_f32_e32 v116, v129, v99
	v_and_b32_e32 v99, 0x7f800000, v116
	s_delay_alu instid0(VALU_DEP_1)
	v_cmp_ne_u32_e32 vcc_lo, 0x7f800000, v99
	v_mov_b32_e32 v99, 0x80
	s_and_saveexec_b32 s25, vcc_lo
	s_cbranch_execz .LBB4_2503
; %bb.2496:                             ;   in Loop: Header=BB4_2093 Depth=2
	v_mov_b32_e32 v99, 0
	s_mov_b32 s26, exec_lo
	v_cmpx_ne_u32_e32 0, v116
	s_cbranch_execz .LBB4_2502
; %bb.2497:                             ;   in Loop: Header=BB4_2093 Depth=2
	v_bfe_u32 v99, v116, 23, 8
	s_delay_alu instid0(VALU_DEP_1) | instskip(SKIP_1) | instid1(VALU_DEP_2)
	v_sub_nc_u32_e32 v130, 0x78, v99
	v_cmp_gt_u32_e32 vcc_lo, 0x79, v99
	v_dual_cndmask_b32 v130, 0, v130 :: v_dual_and_b32 v129, 0x7fffff, v116
	s_delay_alu instid0(VALU_DEP_1) | instskip(SKIP_2) | instid1(VALU_DEP_4)
	v_or_b32_e32 v131, 0x800000, v129
	v_cmp_eq_u32_e32 vcc_lo, 0, v99
	v_add_nc_u32_e32 v99, 0xffffff89, v99
	v_cndmask_b32_e64 v130, v130, 0x77, vcc_lo
	s_delay_alu instid0(VALU_DEP_2) | instskip(SKIP_1) | instid1(VALU_DEP_3)
	v_cndmask_b32_e64 v99, v99, 0xffffff8a, vcc_lo
	v_cndmask_b32_e32 v129, v131, v129, vcc_lo
	v_lshl_add_u32 v131, 0x100000, v130, -1
	v_lshlrev_b32_e64 v134, v130, 0x80000
	s_delay_alu instid0(VALU_DEP_3) | instskip(SKIP_1) | instid1(VALU_DEP_4)
	v_lshrrev_b32_e32 v132, v130, v129
	v_add_nc_u32_e32 v130, v130, v99
	v_and_b32_e32 v129, v131, v129
	s_delay_alu instid0(VALU_DEP_3) | instskip(NEXT) | instid1(VALU_DEP_2)
	v_bfe_u32 v133, v132, 20, 1
	v_cmp_eq_u32_e64 s11, v129, v134
	s_delay_alu instid0(VALU_DEP_2) | instskip(NEXT) | instid1(VALU_DEP_1)
	v_add_nc_u32_e32 v131, -1, v133
	v_cndmask_b32_e64 v129, 0, v131, s11
	v_lshrrev_b32_e32 v131, 23, v132
	s_mov_b32 s11, exec_lo
	s_delay_alu instid0(VALU_DEP_2) | instskip(NEXT) | instid1(VALU_DEP_2)
	v_add_nc_u32_e32 v129, v129, v132
	v_xor_b32_e32 v131, 1, v131
	s_delay_alu instid0(VALU_DEP_2) | instskip(NEXT) | instid1(VALU_DEP_1)
	v_and_b32_e32 v99, 0xfffff, v129
	v_add_nc_u32_e32 v129, v99, v132
                                        ; implicit-def: $vgpr99
	s_delay_alu instid0(VALU_DEP_3)
	v_cmpx_ne_u32_e64 v130, v131
	s_xor_b32 s11, exec_lo, s11
; %bb.2498:                             ;   in Loop: Header=BB4_2093 Depth=2
	s_delay_alu instid0(VALU_DEP_2) | instskip(SKIP_2) | instid1(VALU_DEP_2)
	v_cmp_lt_u32_e32 vcc_lo, 0xffffff, v129
	v_sub_nc_u32_e32 v99, v130, v131
	v_cndmask_b32_e64 v130, 0, 1, vcc_lo
	v_add_co_ci_u32_e32 v99, vcc_lo, 0, v99, vcc_lo
	s_delay_alu instid0(VALU_DEP_2)
	v_lshrrev_b32_e32 v129, v130, v129
; %bb.2499:                             ;   in Loop: Header=BB4_2093 Depth=2
	s_and_not1_saveexec_b32 s11, s11
; %bb.2500:                             ;   in Loop: Header=BB4_2093 Depth=2
	s_delay_alu instid0(VALU_DEP_1)
	v_bfe_u32 v99, v129, 23, 1
; %bb.2501:                             ;   in Loop: Header=BB4_2093 Depth=2
	s_or_b32 exec_lo, exec_lo, s11
	v_lshrrev_b32_e32 v129, 20, v129
	s_delay_alu instid0(VALU_DEP_2) | instskip(SKIP_2) | instid1(VALU_DEP_2)
	v_cmp_gt_i32_e32 vcc_lo, 16, v99
	v_lshrrev_b32_e32 v116, 24, v116
	v_min_i32_e32 v130, 15, v99
	v_dual_cndmask_b32 v129, 7, v129 :: v_dual_and_b32 v116, 0x80, v116
	s_delay_alu instid0(VALU_DEP_1) | instskip(SKIP_1) | instid1(VALU_DEP_2)
	v_or_b32_e32 v99, v99, v129
	v_and_b32_e32 v131, 7, v129
	v_cmp_ne_u32_e32 vcc_lo, 0, v99
	v_lshlrev_b32_e32 v130, 3, v130
	s_delay_alu instid0(VALU_DEP_1) | instskip(NEXT) | instid1(VALU_DEP_1)
	v_or3_b32 v116, v130, v116, v131
	v_cndmask_b32_e32 v99, 0, v116, vcc_lo
.LBB4_2502:                             ;   in Loop: Header=BB4_2093 Depth=2
	s_or_b32 exec_lo, exec_lo, s26
.LBB4_2503:                             ;   in Loop: Header=BB4_2093 Depth=2
	s_delay_alu instid0(SALU_CYCLE_1) | instskip(SKIP_3) | instid1(VALU_DEP_1)
	s_or_b32 exec_lo, exec_lo, s25
	v_and_b32_e32 v129, 0xff, v97
	s_mov_b32 s11, 0
	s_mov_b32 s26, exec_lo
                                        ; implicit-def: $sgpr25
	v_cmpx_lt_i16_e64 0x7f, v129
	s_xor_b32 s26, exec_lo, s26
	s_cbranch_execnz .LBB4_2720
; %bb.2504:                             ;   in Loop: Header=BB4_2093 Depth=2
	s_or_saveexec_b32 s26, s26
	v_mov_b32_e32 v116, s25
	s_xor_b32 exec_lo, exec_lo, s26
	s_cbranch_execnz .LBB4_2723
.LBB4_2505:                             ;   in Loop: Header=BB4_2093 Depth=2
	s_or_b32 exec_lo, exec_lo, s26
	s_and_saveexec_b32 s25, s11
	s_cbranch_execz .LBB4_2507
.LBB4_2506:                             ;   in Loop: Header=BB4_2093 Depth=2
	v_and_b32_e32 v116, 7, v97
	v_lshrrev_b16 v131, 3, v97
	s_delay_alu instid0(VALU_DEP_2) | instskip(NEXT) | instid1(VALU_DEP_1)
	v_clz_i32_u32_e32 v129, v116
	v_min_u32_e32 v129, 32, v129
	s_delay_alu instid0(VALU_DEP_1) | instskip(SKIP_1) | instid1(VALU_DEP_2)
	v_subrev_nc_u32_e32 v130, 28, v129
	v_sub_nc_u32_e32 v129, 29, v129
	v_lshlrev_b32_e32 v130, v130, v97
	v_lshlrev_b32_e32 v97, 24, v97
	s_delay_alu instid0(VALU_DEP_2) | instskip(SKIP_1) | instid1(VALU_DEP_3)
	v_and_b32_e32 v130, 7, v130
	v_and_b32_e32 v131, 15, v131
	v_and_b32_e32 v97, 0x80000000, v97
	s_delay_alu instid0(VALU_DEP_2) | instskip(NEXT) | instid1(VALU_DEP_4)
	v_cmp_eq_u32_e32 vcc_lo, 0, v131
	v_dual_cndmask_b32 v116, v116, v130 :: v_dual_cndmask_b32 v129, v131, v129
	s_delay_alu instid0(VALU_DEP_1) | instskip(NEXT) | instid1(VALU_DEP_2)
	v_lshlrev_b32_e32 v116, 20, v116
	v_lshl_add_u32 v129, v129, 23, 0x3b800000
	s_delay_alu instid0(VALU_DEP_1)
	v_or3_b32 v116, v97, v129, v116
.LBB4_2507:                             ;   in Loop: Header=BB4_2093 Depth=2
	s_or_b32 exec_lo, exec_lo, s25
	s_waitcnt vmcnt(2) lgkmcnt(2)
	v_and_b32_e32 v129, 0xff, v103
	s_mov_b32 s11, 0
	s_mov_b32 s26, exec_lo
                                        ; implicit-def: $sgpr25
	s_delay_alu instid0(VALU_DEP_1)
	v_cmpx_lt_i16_e64 0x7f, v129
	s_xor_b32 s26, exec_lo, s26
	s_cbranch_execnz .LBB4_2724
; %bb.2508:                             ;   in Loop: Header=BB4_2093 Depth=2
	s_or_saveexec_b32 s26, s26
	v_mov_b32_e32 v97, s25
	s_xor_b32 exec_lo, exec_lo, s26
	s_cbranch_execnz .LBB4_2727
.LBB4_2509:                             ;   in Loop: Header=BB4_2093 Depth=2
	s_or_b32 exec_lo, exec_lo, s26
	s_and_saveexec_b32 s25, s11
	s_cbranch_execz .LBB4_2511
.LBB4_2510:                             ;   in Loop: Header=BB4_2093 Depth=2
	v_and_b32_e32 v97, 7, v103
	v_lshrrev_b16 v131, 3, v103
	s_delay_alu instid0(VALU_DEP_2) | instskip(NEXT) | instid1(VALU_DEP_2)
	v_clz_i32_u32_e32 v129, v97
	v_and_b32_e32 v131, 15, v131
	s_delay_alu instid0(VALU_DEP_2) | instskip(NEXT) | instid1(VALU_DEP_2)
	v_min_u32_e32 v129, 32, v129
	v_cmp_eq_u32_e32 vcc_lo, 0, v131
	s_delay_alu instid0(VALU_DEP_2) | instskip(SKIP_1) | instid1(VALU_DEP_1)
	v_subrev_nc_u32_e32 v130, 28, v129
	v_sub_nc_u32_e32 v129, 29, v129
	v_dual_cndmask_b32 v129, v131, v129 :: v_dual_lshlrev_b32 v130, v130, v103
	v_lshlrev_b32_e32 v103, 24, v103
	s_delay_alu instid0(VALU_DEP_2) | instskip(NEXT) | instid1(VALU_DEP_3)
	v_and_b32_e32 v130, 7, v130
	v_lshl_add_u32 v129, v129, 23, 0x3b800000
	s_delay_alu instid0(VALU_DEP_3) | instskip(NEXT) | instid1(VALU_DEP_3)
	v_and_b32_e32 v103, 0x80000000, v103
	v_cndmask_b32_e32 v97, v97, v130, vcc_lo
	s_delay_alu instid0(VALU_DEP_1) | instskip(NEXT) | instid1(VALU_DEP_1)
	v_lshlrev_b32_e32 v97, 20, v97
	v_or3_b32 v97, v103, v129, v97
.LBB4_2511:                             ;   in Loop: Header=BB4_2093 Depth=2
	s_or_b32 exec_lo, exec_lo, s25
	s_delay_alu instid0(VALU_DEP_1) | instskip(NEXT) | instid1(VALU_DEP_1)
	v_add_f32_e32 v103, v116, v97
	v_and_b32_e32 v97, 0x7f800000, v103
	s_delay_alu instid0(VALU_DEP_1)
	v_cmp_ne_u32_e32 vcc_lo, 0x7f800000, v97
	v_mov_b32_e32 v97, 0x80
	s_and_saveexec_b32 s25, vcc_lo
	s_cbranch_execz .LBB4_2519
; %bb.2512:                             ;   in Loop: Header=BB4_2093 Depth=2
	v_mov_b32_e32 v97, 0
	s_mov_b32 s26, exec_lo
	v_cmpx_ne_u32_e32 0, v103
	s_cbranch_execz .LBB4_2518
; %bb.2513:                             ;   in Loop: Header=BB4_2093 Depth=2
	v_bfe_u32 v97, v103, 23, 8
	s_delay_alu instid0(VALU_DEP_1) | instskip(SKIP_1) | instid1(VALU_DEP_2)
	v_sub_nc_u32_e32 v129, 0x78, v97
	v_cmp_gt_u32_e32 vcc_lo, 0x79, v97
	v_dual_cndmask_b32 v129, 0, v129 :: v_dual_and_b32 v116, 0x7fffff, v103
	s_delay_alu instid0(VALU_DEP_1) | instskip(SKIP_2) | instid1(VALU_DEP_4)
	v_or_b32_e32 v130, 0x800000, v116
	v_cmp_eq_u32_e32 vcc_lo, 0, v97
	v_add_nc_u32_e32 v97, 0xffffff89, v97
	v_cndmask_b32_e64 v129, v129, 0x77, vcc_lo
	s_delay_alu instid0(VALU_DEP_4) | instskip(NEXT) | instid1(VALU_DEP_3)
	v_cndmask_b32_e32 v116, v130, v116, vcc_lo
	v_cndmask_b32_e64 v97, v97, 0xffffff8a, vcc_lo
	s_delay_alu instid0(VALU_DEP_3) | instskip(NEXT) | instid1(VALU_DEP_3)
	v_lshl_add_u32 v130, 0x100000, v129, -1
	v_lshrrev_b32_e32 v131, v129, v116
	v_lshlrev_b32_e64 v133, v129, 0x80000
	s_delay_alu instid0(VALU_DEP_4) | instskip(NEXT) | instid1(VALU_DEP_4)
	v_add_nc_u32_e32 v129, v129, v97
	v_and_b32_e32 v116, v130, v116
	s_delay_alu instid0(VALU_DEP_4) | instskip(NEXT) | instid1(VALU_DEP_2)
	v_bfe_u32 v132, v131, 20, 1
	v_cmp_eq_u32_e64 s11, v116, v133
	s_delay_alu instid0(VALU_DEP_2) | instskip(NEXT) | instid1(VALU_DEP_1)
	v_add_nc_u32_e32 v130, -1, v132
	v_cndmask_b32_e64 v116, 0, v130, s11
	v_lshrrev_b32_e32 v130, 23, v131
	s_mov_b32 s11, exec_lo
	s_delay_alu instid0(VALU_DEP_2) | instskip(NEXT) | instid1(VALU_DEP_2)
	v_add_nc_u32_e32 v116, v116, v131
	v_xor_b32_e32 v130, 1, v130
	s_delay_alu instid0(VALU_DEP_2) | instskip(NEXT) | instid1(VALU_DEP_1)
	v_and_b32_e32 v97, 0xfffff, v116
	v_add_nc_u32_e32 v116, v97, v131
                                        ; implicit-def: $vgpr97
	s_delay_alu instid0(VALU_DEP_3)
	v_cmpx_ne_u32_e64 v129, v130
	s_xor_b32 s11, exec_lo, s11
; %bb.2514:                             ;   in Loop: Header=BB4_2093 Depth=2
	s_delay_alu instid0(VALU_DEP_2) | instskip(SKIP_2) | instid1(VALU_DEP_2)
	v_cmp_lt_u32_e32 vcc_lo, 0xffffff, v116
	v_sub_nc_u32_e32 v97, v129, v130
	v_cndmask_b32_e64 v129, 0, 1, vcc_lo
	v_add_co_ci_u32_e32 v97, vcc_lo, 0, v97, vcc_lo
	s_delay_alu instid0(VALU_DEP_2)
	v_lshrrev_b32_e32 v116, v129, v116
; %bb.2515:                             ;   in Loop: Header=BB4_2093 Depth=2
	s_and_not1_saveexec_b32 s11, s11
; %bb.2516:                             ;   in Loop: Header=BB4_2093 Depth=2
	s_delay_alu instid0(VALU_DEP_1)
	v_bfe_u32 v97, v116, 23, 1
; %bb.2517:                             ;   in Loop: Header=BB4_2093 Depth=2
	s_or_b32 exec_lo, exec_lo, s11
	v_lshrrev_b32_e32 v116, 20, v116
	s_delay_alu instid0(VALU_DEP_2) | instskip(SKIP_2) | instid1(VALU_DEP_2)
	v_cmp_gt_i32_e32 vcc_lo, 16, v97
	v_lshrrev_b32_e32 v103, 24, v103
	v_min_i32_e32 v129, 15, v97
	v_dual_cndmask_b32 v116, 7, v116 :: v_dual_and_b32 v103, 0x80, v103
	s_delay_alu instid0(VALU_DEP_2) | instskip(NEXT) | instid1(VALU_DEP_2)
	v_lshlrev_b32_e32 v129, 3, v129
	v_or_b32_e32 v97, v97, v116
	s_delay_alu instid0(VALU_DEP_1) | instskip(SKIP_1) | instid1(VALU_DEP_1)
	v_cmp_ne_u32_e32 vcc_lo, 0, v97
	v_and_b32_e32 v130, 7, v116
	v_or3_b32 v103, v129, v103, v130
	s_delay_alu instid0(VALU_DEP_1)
	v_cndmask_b32_e32 v97, 0, v103, vcc_lo
.LBB4_2518:                             ;   in Loop: Header=BB4_2093 Depth=2
	s_or_b32 exec_lo, exec_lo, s26
.LBB4_2519:                             ;   in Loop: Header=BB4_2093 Depth=2
	s_delay_alu instid0(SALU_CYCLE_1) | instskip(SKIP_3) | instid1(VALU_DEP_1)
	s_or_b32 exec_lo, exec_lo, s25
	v_and_b32_e32 v116, 0xff, v96
	s_mov_b32 s11, 0
	s_mov_b32 s26, exec_lo
                                        ; implicit-def: $sgpr25
	v_cmpx_lt_i16_e32 0x7f, v116
	s_xor_b32 s26, exec_lo, s26
	s_cbranch_execnz .LBB4_2728
; %bb.2520:                             ;   in Loop: Header=BB4_2093 Depth=2
	s_or_saveexec_b32 s26, s26
	v_mov_b32_e32 v103, s25
	s_xor_b32 exec_lo, exec_lo, s26
	s_cbranch_execnz .LBB4_2731
.LBB4_2521:                             ;   in Loop: Header=BB4_2093 Depth=2
	s_or_b32 exec_lo, exec_lo, s26
	s_and_saveexec_b32 s25, s11
	s_cbranch_execz .LBB4_2523
.LBB4_2522:                             ;   in Loop: Header=BB4_2093 Depth=2
	v_and_b32_e32 v103, 7, v96
	v_lshrrev_b16 v130, 3, v96
	s_delay_alu instid0(VALU_DEP_2) | instskip(NEXT) | instid1(VALU_DEP_1)
	v_clz_i32_u32_e32 v116, v103
	v_min_u32_e32 v116, 32, v116
	s_delay_alu instid0(VALU_DEP_1) | instskip(SKIP_1) | instid1(VALU_DEP_2)
	v_subrev_nc_u32_e32 v129, 28, v116
	v_sub_nc_u32_e32 v116, 29, v116
	v_lshlrev_b32_e32 v129, v129, v96
	v_lshlrev_b32_e32 v96, 24, v96
	s_delay_alu instid0(VALU_DEP_2) | instskip(SKIP_1) | instid1(VALU_DEP_3)
	v_and_b32_e32 v129, 7, v129
	v_and_b32_e32 v130, 15, v130
	v_and_b32_e32 v96, 0x80000000, v96
	s_delay_alu instid0(VALU_DEP_2) | instskip(NEXT) | instid1(VALU_DEP_4)
	v_cmp_eq_u32_e32 vcc_lo, 0, v130
	v_dual_cndmask_b32 v103, v103, v129 :: v_dual_cndmask_b32 v116, v130, v116
	s_delay_alu instid0(VALU_DEP_1) | instskip(NEXT) | instid1(VALU_DEP_2)
	v_lshlrev_b32_e32 v103, 20, v103
	v_lshl_add_u32 v116, v116, 23, 0x3b800000
	s_delay_alu instid0(VALU_DEP_1)
	v_or3_b32 v103, v96, v116, v103
.LBB4_2523:                             ;   in Loop: Header=BB4_2093 Depth=2
	s_or_b32 exec_lo, exec_lo, s25
	s_waitcnt vmcnt(1) lgkmcnt(1)
	v_and_b32_e32 v116, 0xff, v98
	s_mov_b32 s11, 0
	s_mov_b32 s26, exec_lo
                                        ; implicit-def: $sgpr25
	s_delay_alu instid0(VALU_DEP_1)
	v_cmpx_lt_i16_e32 0x7f, v116
	s_xor_b32 s26, exec_lo, s26
	s_cbranch_execnz .LBB4_2732
; %bb.2524:                             ;   in Loop: Header=BB4_2093 Depth=2
	s_or_saveexec_b32 s26, s26
	v_mov_b32_e32 v96, s25
	s_xor_b32 exec_lo, exec_lo, s26
	s_cbranch_execnz .LBB4_2735
.LBB4_2525:                             ;   in Loop: Header=BB4_2093 Depth=2
	s_or_b32 exec_lo, exec_lo, s26
	s_and_saveexec_b32 s25, s11
	s_cbranch_execz .LBB4_2527
.LBB4_2526:                             ;   in Loop: Header=BB4_2093 Depth=2
	v_and_b32_e32 v96, 7, v98
	v_lshrrev_b16 v130, 3, v98
	s_delay_alu instid0(VALU_DEP_2) | instskip(NEXT) | instid1(VALU_DEP_2)
	v_clz_i32_u32_e32 v116, v96
	v_and_b32_e32 v130, 15, v130
	s_delay_alu instid0(VALU_DEP_2) | instskip(NEXT) | instid1(VALU_DEP_2)
	v_min_u32_e32 v116, 32, v116
	v_cmp_eq_u32_e32 vcc_lo, 0, v130
	s_delay_alu instid0(VALU_DEP_2) | instskip(SKIP_1) | instid1(VALU_DEP_1)
	v_subrev_nc_u32_e32 v129, 28, v116
	v_sub_nc_u32_e32 v116, 29, v116
	v_dual_cndmask_b32 v116, v130, v116 :: v_dual_lshlrev_b32 v129, v129, v98
	v_lshlrev_b32_e32 v98, 24, v98
	s_delay_alu instid0(VALU_DEP_2) | instskip(NEXT) | instid1(VALU_DEP_3)
	v_and_b32_e32 v129, 7, v129
	v_lshl_add_u32 v116, v116, 23, 0x3b800000
	s_delay_alu instid0(VALU_DEP_3) | instskip(NEXT) | instid1(VALU_DEP_3)
	v_and_b32_e32 v98, 0x80000000, v98
	v_cndmask_b32_e32 v96, v96, v129, vcc_lo
	s_delay_alu instid0(VALU_DEP_1) | instskip(NEXT) | instid1(VALU_DEP_1)
	v_lshlrev_b32_e32 v96, 20, v96
	v_or3_b32 v96, v98, v116, v96
.LBB4_2527:                             ;   in Loop: Header=BB4_2093 Depth=2
	s_or_b32 exec_lo, exec_lo, s25
	s_delay_alu instid0(VALU_DEP_1) | instskip(NEXT) | instid1(VALU_DEP_1)
	v_add_f32_e32 v98, v103, v96
	v_and_b32_e32 v96, 0x7f800000, v98
	s_delay_alu instid0(VALU_DEP_1)
	v_cmp_ne_u32_e32 vcc_lo, 0x7f800000, v96
	v_mov_b32_e32 v96, 0x80
	s_and_saveexec_b32 s25, vcc_lo
	s_cbranch_execz .LBB4_2535
; %bb.2528:                             ;   in Loop: Header=BB4_2093 Depth=2
	v_mov_b32_e32 v96, 0
	s_mov_b32 s26, exec_lo
	v_cmpx_ne_u32_e32 0, v98
	s_cbranch_execz .LBB4_2534
; %bb.2529:                             ;   in Loop: Header=BB4_2093 Depth=2
	v_bfe_u32 v96, v98, 23, 8
	s_delay_alu instid0(VALU_DEP_1) | instskip(SKIP_1) | instid1(VALU_DEP_2)
	v_sub_nc_u32_e32 v116, 0x78, v96
	v_cmp_gt_u32_e32 vcc_lo, 0x79, v96
	v_dual_cndmask_b32 v116, 0, v116 :: v_dual_and_b32 v103, 0x7fffff, v98
	s_delay_alu instid0(VALU_DEP_1) | instskip(SKIP_2) | instid1(VALU_DEP_4)
	v_or_b32_e32 v129, 0x800000, v103
	v_cmp_eq_u32_e32 vcc_lo, 0, v96
	v_add_nc_u32_e32 v96, 0xffffff89, v96
	v_cndmask_b32_e64 v116, v116, 0x77, vcc_lo
	s_delay_alu instid0(VALU_DEP_4) | instskip(NEXT) | instid1(VALU_DEP_3)
	v_cndmask_b32_e32 v103, v129, v103, vcc_lo
	v_cndmask_b32_e64 v96, v96, 0xffffff8a, vcc_lo
	s_delay_alu instid0(VALU_DEP_3) | instskip(NEXT) | instid1(VALU_DEP_3)
	v_lshl_add_u32 v129, 0x100000, v116, -1
	v_lshrrev_b32_e32 v130, v116, v103
	v_lshlrev_b32_e64 v132, v116, 0x80000
	s_delay_alu instid0(VALU_DEP_4) | instskip(NEXT) | instid1(VALU_DEP_4)
	v_add_nc_u32_e32 v116, v116, v96
	v_and_b32_e32 v103, v129, v103
	s_delay_alu instid0(VALU_DEP_4) | instskip(NEXT) | instid1(VALU_DEP_2)
	v_bfe_u32 v131, v130, 20, 1
	v_cmp_eq_u32_e64 s11, v103, v132
	s_delay_alu instid0(VALU_DEP_2) | instskip(NEXT) | instid1(VALU_DEP_1)
	v_add_nc_u32_e32 v129, -1, v131
	v_cndmask_b32_e64 v103, 0, v129, s11
	v_lshrrev_b32_e32 v129, 23, v130
	s_mov_b32 s11, exec_lo
	s_delay_alu instid0(VALU_DEP_2) | instskip(NEXT) | instid1(VALU_DEP_2)
	v_add_nc_u32_e32 v103, v103, v130
	v_xor_b32_e32 v129, 1, v129
	s_delay_alu instid0(VALU_DEP_2) | instskip(NEXT) | instid1(VALU_DEP_1)
	v_and_b32_e32 v96, 0xfffff, v103
	v_add_nc_u32_e32 v103, v96, v130
                                        ; implicit-def: $vgpr96
	s_delay_alu instid0(VALU_DEP_3)
	v_cmpx_ne_u32_e64 v116, v129
	s_xor_b32 s11, exec_lo, s11
; %bb.2530:                             ;   in Loop: Header=BB4_2093 Depth=2
	s_delay_alu instid0(VALU_DEP_2) | instskip(SKIP_2) | instid1(VALU_DEP_2)
	v_cmp_lt_u32_e32 vcc_lo, 0xffffff, v103
	v_sub_nc_u32_e32 v96, v116, v129
	v_cndmask_b32_e64 v116, 0, 1, vcc_lo
	v_add_co_ci_u32_e32 v96, vcc_lo, 0, v96, vcc_lo
	s_delay_alu instid0(VALU_DEP_2)
	v_lshrrev_b32_e32 v103, v116, v103
; %bb.2531:                             ;   in Loop: Header=BB4_2093 Depth=2
	s_and_not1_saveexec_b32 s11, s11
; %bb.2532:                             ;   in Loop: Header=BB4_2093 Depth=2
	s_delay_alu instid0(VALU_DEP_1)
	v_bfe_u32 v96, v103, 23, 1
; %bb.2533:                             ;   in Loop: Header=BB4_2093 Depth=2
	s_or_b32 exec_lo, exec_lo, s11
	v_lshrrev_b32_e32 v103, 20, v103
	s_delay_alu instid0(VALU_DEP_2) | instskip(SKIP_2) | instid1(VALU_DEP_2)
	v_cmp_gt_i32_e32 vcc_lo, 16, v96
	v_lshrrev_b32_e32 v98, 24, v98
	v_min_i32_e32 v116, 15, v96
	v_dual_cndmask_b32 v103, 7, v103 :: v_dual_and_b32 v98, 0x80, v98
	s_delay_alu instid0(VALU_DEP_2) | instskip(NEXT) | instid1(VALU_DEP_2)
	v_lshlrev_b32_e32 v116, 3, v116
	v_or_b32_e32 v96, v96, v103
	s_delay_alu instid0(VALU_DEP_1) | instskip(SKIP_1) | instid1(VALU_DEP_1)
	v_cmp_ne_u32_e32 vcc_lo, 0, v96
	v_and_b32_e32 v129, 7, v103
	v_or3_b32 v98, v116, v98, v129
	s_delay_alu instid0(VALU_DEP_1)
	v_cndmask_b32_e32 v96, 0, v98, vcc_lo
.LBB4_2534:                             ;   in Loop: Header=BB4_2093 Depth=2
	s_or_b32 exec_lo, exec_lo, s26
.LBB4_2535:                             ;   in Loop: Header=BB4_2093 Depth=2
	s_delay_alu instid0(SALU_CYCLE_1) | instskip(SKIP_3) | instid1(VALU_DEP_1)
	s_or_b32 exec_lo, exec_lo, s25
	v_and_b32_e32 v103, 0xff, v17
	s_mov_b32 s11, 0
	s_mov_b32 s26, exec_lo
                                        ; implicit-def: $sgpr25
	v_cmpx_lt_i16_e32 0x7f, v103
	s_xor_b32 s26, exec_lo, s26
	s_cbranch_execnz .LBB4_2736
; %bb.2536:                             ;   in Loop: Header=BB4_2093 Depth=2
	s_or_saveexec_b32 s26, s26
	v_mov_b32_e32 v98, s25
	s_xor_b32 exec_lo, exec_lo, s26
	s_cbranch_execnz .LBB4_2739
.LBB4_2537:                             ;   in Loop: Header=BB4_2093 Depth=2
	s_or_b32 exec_lo, exec_lo, s26
	s_and_saveexec_b32 s25, s11
	s_cbranch_execz .LBB4_2539
.LBB4_2538:                             ;   in Loop: Header=BB4_2093 Depth=2
	v_lshrrev_b16 v129, 3, v17
	s_delay_alu instid0(VALU_DEP_1) | instskip(NEXT) | instid1(VALU_DEP_1)
	v_and_b32_e32 v129, 15, v129
	v_cmp_eq_u32_e32 vcc_lo, 0, v129
	v_and_b32_e32 v98, 7, v17
	s_delay_alu instid0(VALU_DEP_1) | instskip(NEXT) | instid1(VALU_DEP_1)
	v_clz_i32_u32_e32 v103, v98
	v_min_u32_e32 v103, 32, v103
	s_delay_alu instid0(VALU_DEP_1) | instskip(SKIP_1) | instid1(VALU_DEP_1)
	v_subrev_nc_u32_e32 v116, 28, v103
	v_sub_nc_u32_e32 v103, 29, v103
	v_dual_cndmask_b32 v103, v129, v103 :: v_dual_lshlrev_b32 v116, v116, v17
	v_lshlrev_b32_e32 v17, 24, v17
	s_delay_alu instid0(VALU_DEP_2) | instskip(NEXT) | instid1(VALU_DEP_3)
	v_and_b32_e32 v116, 7, v116
	v_lshl_add_u32 v103, v103, 23, 0x3b800000
	s_delay_alu instid0(VALU_DEP_2) | instskip(NEXT) | instid1(VALU_DEP_1)
	v_dual_cndmask_b32 v98, v98, v116 :: v_dual_and_b32 v17, 0x80000000, v17
	v_lshlrev_b32_e32 v98, 20, v98
	s_delay_alu instid0(VALU_DEP_1)
	v_or3_b32 v98, v17, v103, v98
.LBB4_2539:                             ;   in Loop: Header=BB4_2093 Depth=2
	s_or_b32 exec_lo, exec_lo, s25
	s_waitcnt vmcnt(0) lgkmcnt(0)
	v_and_b32_e32 v103, 0xff, v16
	s_mov_b32 s11, 0
	s_mov_b32 s26, exec_lo
                                        ; implicit-def: $sgpr25
	s_delay_alu instid0(VALU_DEP_1)
	v_cmpx_lt_i16_e32 0x7f, v103
	s_xor_b32 s26, exec_lo, s26
	s_cbranch_execnz .LBB4_2740
; %bb.2540:                             ;   in Loop: Header=BB4_2093 Depth=2
	s_or_saveexec_b32 s26, s26
	v_mov_b32_e32 v17, s25
	s_xor_b32 exec_lo, exec_lo, s26
	s_cbranch_execnz .LBB4_2743
.LBB4_2541:                             ;   in Loop: Header=BB4_2093 Depth=2
	s_or_b32 exec_lo, exec_lo, s26
	s_and_saveexec_b32 s25, s11
	s_cbranch_execz .LBB4_2543
.LBB4_2542:                             ;   in Loop: Header=BB4_2093 Depth=2
	v_and_b32_e32 v17, 7, v16
	v_lshrrev_b16 v129, 3, v16
	s_delay_alu instid0(VALU_DEP_2) | instskip(NEXT) | instid1(VALU_DEP_2)
	v_clz_i32_u32_e32 v103, v17
	v_and_b32_e32 v129, 15, v129
	s_delay_alu instid0(VALU_DEP_2) | instskip(NEXT) | instid1(VALU_DEP_2)
	v_min_u32_e32 v103, 32, v103
	v_cmp_eq_u32_e32 vcc_lo, 0, v129
	s_delay_alu instid0(VALU_DEP_2) | instskip(SKIP_1) | instid1(VALU_DEP_1)
	v_subrev_nc_u32_e32 v116, 28, v103
	v_sub_nc_u32_e32 v103, 29, v103
	v_dual_cndmask_b32 v103, v129, v103 :: v_dual_lshlrev_b32 v116, v116, v16
	v_lshlrev_b32_e32 v16, 24, v16
	s_delay_alu instid0(VALU_DEP_2) | instskip(NEXT) | instid1(VALU_DEP_3)
	v_and_b32_e32 v116, 7, v116
	v_lshl_add_u32 v103, v103, 23, 0x3b800000
	s_delay_alu instid0(VALU_DEP_3) | instskip(NEXT) | instid1(VALU_DEP_3)
	v_and_b32_e32 v16, 0x80000000, v16
	v_cndmask_b32_e32 v17, v17, v116, vcc_lo
	s_delay_alu instid0(VALU_DEP_1) | instskip(NEXT) | instid1(VALU_DEP_1)
	v_lshlrev_b32_e32 v17, 20, v17
	v_or3_b32 v17, v16, v103, v17
.LBB4_2543:                             ;   in Loop: Header=BB4_2093 Depth=2
	s_or_b32 exec_lo, exec_lo, s25
	s_delay_alu instid0(VALU_DEP_1) | instskip(NEXT) | instid1(VALU_DEP_1)
	v_add_f32_e32 v17, v98, v17
	v_and_b32_e32 v16, 0x7f800000, v17
	s_delay_alu instid0(VALU_DEP_1)
	v_cmp_ne_u32_e32 vcc_lo, 0x7f800000, v16
	v_mov_b32_e32 v16, 0x80
	s_and_saveexec_b32 s25, vcc_lo
	s_cbranch_execz .LBB4_2551
; %bb.2544:                             ;   in Loop: Header=BB4_2093 Depth=2
	v_mov_b32_e32 v16, 0
	s_mov_b32 s26, exec_lo
	v_cmpx_ne_u32_e32 0, v17
	s_cbranch_execz .LBB4_2550
; %bb.2545:                             ;   in Loop: Header=BB4_2093 Depth=2
	v_bfe_u32 v16, v17, 23, 8
	s_delay_alu instid0(VALU_DEP_1) | instskip(SKIP_1) | instid1(VALU_DEP_2)
	v_sub_nc_u32_e32 v103, 0x78, v16
	v_cmp_gt_u32_e32 vcc_lo, 0x79, v16
	v_dual_cndmask_b32 v103, 0, v103 :: v_dual_and_b32 v98, 0x7fffff, v17
	s_delay_alu instid0(VALU_DEP_1) | instskip(SKIP_2) | instid1(VALU_DEP_4)
	v_or_b32_e32 v116, 0x800000, v98
	v_cmp_eq_u32_e32 vcc_lo, 0, v16
	v_add_nc_u32_e32 v16, 0xffffff89, v16
	v_cndmask_b32_e64 v103, v103, 0x77, vcc_lo
	s_delay_alu instid0(VALU_DEP_2) | instskip(SKIP_1) | instid1(VALU_DEP_3)
	v_cndmask_b32_e64 v16, v16, 0xffffff8a, vcc_lo
	v_cndmask_b32_e32 v98, v116, v98, vcc_lo
	v_lshl_add_u32 v116, 0x100000, v103, -1
	v_lshlrev_b32_e64 v131, v103, 0x80000
	s_delay_alu instid0(VALU_DEP_3) | instskip(SKIP_1) | instid1(VALU_DEP_4)
	v_lshrrev_b32_e32 v129, v103, v98
	v_add_nc_u32_e32 v103, v103, v16
	v_and_b32_e32 v98, v116, v98
	s_delay_alu instid0(VALU_DEP_3) | instskip(NEXT) | instid1(VALU_DEP_2)
	v_bfe_u32 v130, v129, 20, 1
	v_cmp_eq_u32_e64 s11, v98, v131
	s_delay_alu instid0(VALU_DEP_2) | instskip(NEXT) | instid1(VALU_DEP_1)
	v_add_nc_u32_e32 v116, -1, v130
	v_cndmask_b32_e64 v98, 0, v116, s11
	v_lshrrev_b32_e32 v116, 23, v129
	s_mov_b32 s11, exec_lo
	s_delay_alu instid0(VALU_DEP_2) | instskip(NEXT) | instid1(VALU_DEP_2)
	v_add_nc_u32_e32 v98, v98, v129
	v_xor_b32_e32 v116, 1, v116
	s_delay_alu instid0(VALU_DEP_2) | instskip(NEXT) | instid1(VALU_DEP_1)
	v_and_b32_e32 v16, 0xfffff, v98
	v_add_nc_u32_e32 v98, v16, v129
                                        ; implicit-def: $vgpr16
	s_delay_alu instid0(VALU_DEP_3)
	v_cmpx_ne_u32_e64 v103, v116
	s_xor_b32 s11, exec_lo, s11
; %bb.2546:                             ;   in Loop: Header=BB4_2093 Depth=2
	s_delay_alu instid0(VALU_DEP_2) | instskip(SKIP_2) | instid1(VALU_DEP_2)
	v_cmp_lt_u32_e32 vcc_lo, 0xffffff, v98
	v_sub_nc_u32_e32 v16, v103, v116
	v_cndmask_b32_e64 v103, 0, 1, vcc_lo
	v_add_co_ci_u32_e32 v16, vcc_lo, 0, v16, vcc_lo
	s_delay_alu instid0(VALU_DEP_2)
	v_lshrrev_b32_e32 v98, v103, v98
; %bb.2547:                             ;   in Loop: Header=BB4_2093 Depth=2
	s_and_not1_saveexec_b32 s11, s11
; %bb.2548:                             ;   in Loop: Header=BB4_2093 Depth=2
	s_delay_alu instid0(VALU_DEP_1)
	v_bfe_u32 v16, v98, 23, 1
; %bb.2549:                             ;   in Loop: Header=BB4_2093 Depth=2
	s_or_b32 exec_lo, exec_lo, s11
	v_lshrrev_b32_e32 v98, 20, v98
	s_delay_alu instid0(VALU_DEP_2) | instskip(SKIP_2) | instid1(VALU_DEP_2)
	v_cmp_gt_i32_e32 vcc_lo, 16, v16
	v_lshrrev_b32_e32 v17, 24, v17
	v_min_i32_e32 v103, 15, v16
	v_dual_cndmask_b32 v98, 7, v98 :: v_dual_and_b32 v17, 0x80, v17
	s_delay_alu instid0(VALU_DEP_1) | instskip(SKIP_1) | instid1(VALU_DEP_2)
	v_or_b32_e32 v16, v16, v98
	v_and_b32_e32 v116, 7, v98
	v_cmp_ne_u32_e32 vcc_lo, 0, v16
	v_lshlrev_b32_e32 v103, 3, v103
	s_delay_alu instid0(VALU_DEP_1) | instskip(NEXT) | instid1(VALU_DEP_1)
	v_or3_b32 v17, v103, v17, v116
	v_cndmask_b32_e32 v16, 0, v17, vcc_lo
.LBB4_2550:                             ;   in Loop: Header=BB4_2093 Depth=2
	s_or_b32 exec_lo, exec_lo, s26
.LBB4_2551:                             ;   in Loop: Header=BB4_2093 Depth=2
	s_delay_alu instid0(SALU_CYCLE_1)
	s_or_b32 exec_lo, exec_lo, s25
	v_add_co_u32 v129, vcc_lo, 0xfffffe20, v14
	v_add_co_ci_u32_e32 v130, vcc_lo, -1, v15, vcc_lo
	v_add_co_u32 v131, vcc_lo, 0xfffffe40, v14
	v_add_co_ci_u32_e32 v132, vcc_lo, -1, v15, vcc_lo
	;; [unrolled: 2-line block ×5, first 2 shown]
	flat_store_b8 v[129:130], v55 glc slc dlc
	flat_store_b8 v[131:132], v100 glc slc dlc
	;; [unrolled: 1-line block ×5, first 2 shown]
	v_add_co_u32 v128, vcc_lo, 0xfffffec0, v14
	v_add_co_ci_u32_e32 v129, vcc_lo, -1, v15, vcc_lo
	v_add_co_u32 v130, vcc_lo, 0xfffffee0, v14
	v_add_co_ci_u32_e32 v131, vcc_lo, -1, v15, vcc_lo
	;; [unrolled: 2-line block ×5, first 2 shown]
	flat_store_b8 v[128:129], v118 glc slc dlc
	flat_store_b8 v[130:131], v117 glc slc dlc
	;; [unrolled: 1-line block ×5, first 2 shown]
	v_add_co_u32 v112, vcc_lo, 0xffffff60, v14
	v_add_co_ci_u32_e32 v113, vcc_lo, -1, v15, vcc_lo
	v_add_co_u32 v114, vcc_lo, 0xffffff80, v14
	v_add_co_ci_u32_e32 v115, vcc_lo, -1, v15, vcc_lo
	;; [unrolled: 2-line block ×5, first 2 shown]
	v_add_co_u32 v10, vcc_lo, v10, v84
	v_sub_nc_u32_e32 v53, v53, v67
	v_add_co_ci_u32_e32 v11, vcc_lo, v11, v85, vcc_lo
	v_add_co_u32 v12, vcc_lo, v12, v84
	v_add_co_ci_u32_e32 v13, vcc_lo, v13, v85, vcc_lo
	flat_store_b8 v[112:113], v102 glc slc dlc
	flat_store_b8 v[114:115], v101 glc slc dlc
	;; [unrolled: 1-line block ×6, first 2 shown]
	v_cmp_gt_i32_e32 vcc_lo, 1, v53
	v_add_co_u32 v14, s11, v14, v84
	s_delay_alu instid0(VALU_DEP_1) | instskip(SKIP_1) | instid1(SALU_CYCLE_1)
	v_add_co_ci_u32_e64 v15, s11, v15, v85, s11
	s_or_b32 s24, vcc_lo, s24
	s_and_not1_b32 exec_lo, exec_lo, s24
	s_cbranch_execnz .LBB4_2093
	s_branch .LBB4_2744
.LBB4_2552:                             ;   in Loop: Header=BB4_2093 Depth=2
	s_mov_b32 s11, -1
	s_mov_b32 s27, exec_lo
                                        ; implicit-def: $sgpr25
	v_cmpx_eq_u16_e32 0x80, v16
; %bb.2553:                             ;   in Loop: Header=BB4_2093 Depth=2
	s_mov_b32 s25, 0x7f800001
	s_xor_b32 s11, exec_lo, -1
; %bb.2554:                             ;   in Loop: Header=BB4_2093 Depth=2
	s_or_b32 exec_lo, exec_lo, s27
	s_delay_alu instid0(SALU_CYCLE_1)
	s_and_b32 s11, s11, exec_lo
	s_or_saveexec_b32 s26, s26
	v_mov_b32_e32 v55, s25
	s_xor_b32 exec_lo, exec_lo, s26
	s_cbranch_execz .LBB4_2105
.LBB4_2555:                             ;   in Loop: Header=BB4_2093 Depth=2
	v_cmp_ne_u16_e32 vcc_lo, 0, v16
	v_mov_b32_e32 v55, 0
	s_and_not1_b32 s11, s11, exec_lo
	s_and_b32 s25, vcc_lo, exec_lo
	s_delay_alu instid0(SALU_CYCLE_1)
	s_or_b32 s11, s11, s25
	s_or_b32 exec_lo, exec_lo, s26
	s_and_saveexec_b32 s25, s11
	s_cbranch_execnz .LBB4_2106
	s_branch .LBB4_2107
.LBB4_2556:                             ;   in Loop: Header=BB4_2093 Depth=2
	s_mov_b32 s11, -1
	s_mov_b32 s27, exec_lo
                                        ; implicit-def: $sgpr25
	v_cmpx_eq_u16_e32 0x80, v16
; %bb.2557:                             ;   in Loop: Header=BB4_2093 Depth=2
	s_mov_b32 s25, 0x7f800001
	s_xor_b32 s11, exec_lo, -1
; %bb.2558:                             ;   in Loop: Header=BB4_2093 Depth=2
	s_or_b32 exec_lo, exec_lo, s27
	s_delay_alu instid0(SALU_CYCLE_1)
	s_and_b32 s11, s11, exec_lo
	s_or_saveexec_b32 s26, s26
	v_mov_b32_e32 v96, s25
	s_xor_b32 exec_lo, exec_lo, s26
	s_cbranch_execz .LBB4_2117
.LBB4_2559:                             ;   in Loop: Header=BB4_2093 Depth=2
	v_cmp_ne_u16_e32 vcc_lo, 0, v16
	v_mov_b32_e32 v96, 0
	s_and_not1_b32 s11, s11, exec_lo
	s_and_b32 s25, vcc_lo, exec_lo
	s_delay_alu instid0(SALU_CYCLE_1)
	s_or_b32 s11, s11, s25
	s_or_b32 exec_lo, exec_lo, s26
	s_and_saveexec_b32 s25, s11
	s_cbranch_execnz .LBB4_2118
	s_branch .LBB4_2119
.LBB4_2560:                             ;   in Loop: Header=BB4_2093 Depth=2
	s_mov_b32 s11, -1
	s_mov_b32 s27, exec_lo
                                        ; implicit-def: $sgpr25
	v_cmpx_eq_u16_e32 0x80, v16
; %bb.2561:                             ;   in Loop: Header=BB4_2093 Depth=2
	s_mov_b32 s25, 0x7f800001
	s_xor_b32 s11, exec_lo, -1
; %bb.2562:                             ;   in Loop: Header=BB4_2093 Depth=2
	s_or_b32 exec_lo, exec_lo, s27
	s_delay_alu instid0(SALU_CYCLE_1)
	s_and_b32 s11, s11, exec_lo
	s_or_saveexec_b32 s26, s26
	v_mov_b32_e32 v96, s25
	s_xor_b32 exec_lo, exec_lo, s26
	s_cbranch_execz .LBB4_2129
.LBB4_2563:                             ;   in Loop: Header=BB4_2093 Depth=2
	v_cmp_ne_u16_e32 vcc_lo, 0, v16
	v_mov_b32_e32 v96, 0
	s_and_not1_b32 s11, s11, exec_lo
	s_and_b32 s25, vcc_lo, exec_lo
	s_delay_alu instid0(SALU_CYCLE_1)
	s_or_b32 s11, s11, s25
	s_or_b32 exec_lo, exec_lo, s26
	s_and_saveexec_b32 s25, s11
	s_cbranch_execnz .LBB4_2130
	s_branch .LBB4_2131
.LBB4_2564:                             ;   in Loop: Header=BB4_2093 Depth=2
	s_mov_b32 s11, -1
	s_mov_b32 s27, exec_lo
                                        ; implicit-def: $sgpr25
	v_cmpx_eq_u16_e32 0x80, v16
; %bb.2565:                             ;   in Loop: Header=BB4_2093 Depth=2
	s_mov_b32 s25, 0x7f800001
	s_xor_b32 s11, exec_lo, -1
; %bb.2566:                             ;   in Loop: Header=BB4_2093 Depth=2
	s_or_b32 exec_lo, exec_lo, s27
	s_delay_alu instid0(SALU_CYCLE_1)
	s_and_b32 s11, s11, exec_lo
	s_or_saveexec_b32 s26, s26
	v_mov_b32_e32 v96, s25
	s_xor_b32 exec_lo, exec_lo, s26
	s_cbranch_execz .LBB4_2141
.LBB4_2567:                             ;   in Loop: Header=BB4_2093 Depth=2
	v_cmp_ne_u16_e32 vcc_lo, 0, v16
	v_mov_b32_e32 v96, 0
	s_and_not1_b32 s11, s11, exec_lo
	s_and_b32 s25, vcc_lo, exec_lo
	s_delay_alu instid0(SALU_CYCLE_1)
	s_or_b32 s11, s11, s25
	s_or_b32 exec_lo, exec_lo, s26
	s_and_saveexec_b32 s25, s11
	s_cbranch_execnz .LBB4_2142
	s_branch .LBB4_2143
.LBB4_2568:                             ;   in Loop: Header=BB4_2093 Depth=2
	s_mov_b32 s11, -1
	s_mov_b32 s27, exec_lo
                                        ; implicit-def: $sgpr25
	v_cmpx_eq_u16_e32 0x80, v16
; %bb.2569:                             ;   in Loop: Header=BB4_2093 Depth=2
	s_mov_b32 s25, 0x7f800001
	s_xor_b32 s11, exec_lo, -1
; %bb.2570:                             ;   in Loop: Header=BB4_2093 Depth=2
	s_or_b32 exec_lo, exec_lo, s27
	s_delay_alu instid0(SALU_CYCLE_1)
	s_and_b32 s11, s11, exec_lo
	s_or_saveexec_b32 s26, s26
	v_mov_b32_e32 v96, s25
	s_xor_b32 exec_lo, exec_lo, s26
	s_cbranch_execz .LBB4_2153
.LBB4_2571:                             ;   in Loop: Header=BB4_2093 Depth=2
	v_cmp_ne_u16_e32 vcc_lo, 0, v16
	v_mov_b32_e32 v96, 0
	s_and_not1_b32 s11, s11, exec_lo
	s_and_b32 s25, vcc_lo, exec_lo
	s_delay_alu instid0(SALU_CYCLE_1)
	s_or_b32 s11, s11, s25
	s_or_b32 exec_lo, exec_lo, s26
	s_and_saveexec_b32 s25, s11
	s_cbranch_execnz .LBB4_2154
	s_branch .LBB4_2155
.LBB4_2572:                             ;   in Loop: Header=BB4_2093 Depth=2
	s_mov_b32 s11, -1
	s_mov_b32 s27, exec_lo
                                        ; implicit-def: $sgpr25
	v_cmpx_eq_u16_e32 0x80, v16
; %bb.2573:                             ;   in Loop: Header=BB4_2093 Depth=2
	s_mov_b32 s25, 0x7f800001
	s_xor_b32 s11, exec_lo, -1
; %bb.2574:                             ;   in Loop: Header=BB4_2093 Depth=2
	s_or_b32 exec_lo, exec_lo, s27
	s_delay_alu instid0(SALU_CYCLE_1)
	s_and_b32 s11, s11, exec_lo
	s_or_saveexec_b32 s26, s26
	v_mov_b32_e32 v96, s25
	s_xor_b32 exec_lo, exec_lo, s26
	s_cbranch_execz .LBB4_2165
.LBB4_2575:                             ;   in Loop: Header=BB4_2093 Depth=2
	v_cmp_ne_u16_e32 vcc_lo, 0, v16
	v_mov_b32_e32 v96, 0
	s_and_not1_b32 s11, s11, exec_lo
	s_and_b32 s25, vcc_lo, exec_lo
	s_delay_alu instid0(SALU_CYCLE_1)
	s_or_b32 s11, s11, s25
	s_or_b32 exec_lo, exec_lo, s26
	s_and_saveexec_b32 s25, s11
	s_cbranch_execnz .LBB4_2166
	s_branch .LBB4_2167
.LBB4_2576:                             ;   in Loop: Header=BB4_2093 Depth=2
	s_mov_b32 s11, -1
	s_mov_b32 s27, exec_lo
                                        ; implicit-def: $sgpr25
	v_cmpx_eq_u16_e32 0x80, v16
; %bb.2577:                             ;   in Loop: Header=BB4_2093 Depth=2
	s_mov_b32 s25, 0x7f800001
	s_xor_b32 s11, exec_lo, -1
; %bb.2578:                             ;   in Loop: Header=BB4_2093 Depth=2
	s_or_b32 exec_lo, exec_lo, s27
	s_delay_alu instid0(SALU_CYCLE_1)
	s_and_b32 s11, s11, exec_lo
	s_or_saveexec_b32 s26, s26
	v_mov_b32_e32 v96, s25
	s_xor_b32 exec_lo, exec_lo, s26
	s_cbranch_execz .LBB4_2177
.LBB4_2579:                             ;   in Loop: Header=BB4_2093 Depth=2
	v_cmp_ne_u16_e32 vcc_lo, 0, v16
	v_mov_b32_e32 v96, 0
	s_and_not1_b32 s11, s11, exec_lo
	s_and_b32 s25, vcc_lo, exec_lo
	s_delay_alu instid0(SALU_CYCLE_1)
	s_or_b32 s11, s11, s25
	s_or_b32 exec_lo, exec_lo, s26
	s_and_saveexec_b32 s25, s11
	s_cbranch_execnz .LBB4_2178
	s_branch .LBB4_2179
.LBB4_2580:                             ;   in Loop: Header=BB4_2093 Depth=2
	s_mov_b32 s11, -1
	s_mov_b32 s27, exec_lo
                                        ; implicit-def: $sgpr25
	v_cmpx_eq_u16_e32 0x80, v16
; %bb.2581:                             ;   in Loop: Header=BB4_2093 Depth=2
	s_mov_b32 s25, 0x7f800001
	s_xor_b32 s11, exec_lo, -1
; %bb.2582:                             ;   in Loop: Header=BB4_2093 Depth=2
	s_or_b32 exec_lo, exec_lo, s27
	s_delay_alu instid0(SALU_CYCLE_1)
	s_and_b32 s11, s11, exec_lo
	s_or_saveexec_b32 s26, s26
	v_mov_b32_e32 v96, s25
	s_xor_b32 exec_lo, exec_lo, s26
	s_cbranch_execz .LBB4_2189
.LBB4_2583:                             ;   in Loop: Header=BB4_2093 Depth=2
	v_cmp_ne_u16_e32 vcc_lo, 0, v16
	v_mov_b32_e32 v96, 0
	s_and_not1_b32 s11, s11, exec_lo
	s_and_b32 s25, vcc_lo, exec_lo
	s_delay_alu instid0(SALU_CYCLE_1)
	s_or_b32 s11, s11, s25
	s_or_b32 exec_lo, exec_lo, s26
	s_and_saveexec_b32 s25, s11
	s_cbranch_execnz .LBB4_2190
	s_branch .LBB4_2191
.LBB4_2584:                             ;   in Loop: Header=BB4_2093 Depth=2
	s_mov_b32 s11, -1
	s_mov_b32 s27, exec_lo
                                        ; implicit-def: $sgpr25
	v_cmpx_eq_u16_e32 0x80, v16
; %bb.2585:                             ;   in Loop: Header=BB4_2093 Depth=2
	s_mov_b32 s25, 0x7f800001
	s_xor_b32 s11, exec_lo, -1
; %bb.2586:                             ;   in Loop: Header=BB4_2093 Depth=2
	s_or_b32 exec_lo, exec_lo, s27
	s_delay_alu instid0(SALU_CYCLE_1)
	s_and_b32 s11, s11, exec_lo
	s_or_saveexec_b32 s26, s26
	v_mov_b32_e32 v96, s25
	s_xor_b32 exec_lo, exec_lo, s26
	s_cbranch_execz .LBB4_2201
.LBB4_2587:                             ;   in Loop: Header=BB4_2093 Depth=2
	v_cmp_ne_u16_e32 vcc_lo, 0, v16
	v_mov_b32_e32 v96, 0
	s_and_not1_b32 s11, s11, exec_lo
	s_and_b32 s25, vcc_lo, exec_lo
	s_delay_alu instid0(SALU_CYCLE_1)
	s_or_b32 s11, s11, s25
	s_or_b32 exec_lo, exec_lo, s26
	s_and_saveexec_b32 s25, s11
	s_cbranch_execnz .LBB4_2202
	s_branch .LBB4_2203
.LBB4_2588:                             ;   in Loop: Header=BB4_2093 Depth=2
	s_mov_b32 s11, -1
	s_mov_b32 s27, exec_lo
                                        ; implicit-def: $sgpr25
	v_cmpx_eq_u16_e32 0x80, v16
; %bb.2589:                             ;   in Loop: Header=BB4_2093 Depth=2
	s_mov_b32 s25, 0x7f800001
	s_xor_b32 s11, exec_lo, -1
; %bb.2590:                             ;   in Loop: Header=BB4_2093 Depth=2
	s_or_b32 exec_lo, exec_lo, s27
	s_delay_alu instid0(SALU_CYCLE_1)
	s_and_b32 s11, s11, exec_lo
	s_or_saveexec_b32 s26, s26
	v_mov_b32_e32 v96, s25
	s_xor_b32 exec_lo, exec_lo, s26
	s_cbranch_execz .LBB4_2213
.LBB4_2591:                             ;   in Loop: Header=BB4_2093 Depth=2
	v_cmp_ne_u16_e32 vcc_lo, 0, v16
	v_mov_b32_e32 v96, 0
	s_and_not1_b32 s11, s11, exec_lo
	s_and_b32 s25, vcc_lo, exec_lo
	s_delay_alu instid0(SALU_CYCLE_1)
	s_or_b32 s11, s11, s25
	s_or_b32 exec_lo, exec_lo, s26
	s_and_saveexec_b32 s25, s11
	s_cbranch_execnz .LBB4_2214
	s_branch .LBB4_2215
.LBB4_2592:                             ;   in Loop: Header=BB4_2093 Depth=2
	s_mov_b32 s11, -1
	s_mov_b32 s27, exec_lo
                                        ; implicit-def: $sgpr25
	v_cmpx_eq_u16_e32 0x80, v16
; %bb.2593:                             ;   in Loop: Header=BB4_2093 Depth=2
	s_mov_b32 s25, 0x7f800001
	s_xor_b32 s11, exec_lo, -1
; %bb.2594:                             ;   in Loop: Header=BB4_2093 Depth=2
	s_or_b32 exec_lo, exec_lo, s27
	s_delay_alu instid0(SALU_CYCLE_1)
	s_and_b32 s11, s11, exec_lo
	s_or_saveexec_b32 s26, s26
	v_mov_b32_e32 v96, s25
	s_xor_b32 exec_lo, exec_lo, s26
	s_cbranch_execz .LBB4_2225
.LBB4_2595:                             ;   in Loop: Header=BB4_2093 Depth=2
	v_cmp_ne_u16_e32 vcc_lo, 0, v16
	v_mov_b32_e32 v96, 0
	s_and_not1_b32 s11, s11, exec_lo
	s_and_b32 s25, vcc_lo, exec_lo
	s_delay_alu instid0(SALU_CYCLE_1)
	s_or_b32 s11, s11, s25
	s_or_b32 exec_lo, exec_lo, s26
	s_and_saveexec_b32 s25, s11
	s_cbranch_execnz .LBB4_2226
	s_branch .LBB4_2227
.LBB4_2596:                             ;   in Loop: Header=BB4_2093 Depth=2
	s_mov_b32 s11, -1
	s_mov_b32 s27, exec_lo
                                        ; implicit-def: $sgpr25
	v_cmpx_eq_u16_e32 0x80, v16
; %bb.2597:                             ;   in Loop: Header=BB4_2093 Depth=2
	s_mov_b32 s25, 0x7f800001
	s_xor_b32 s11, exec_lo, -1
; %bb.2598:                             ;   in Loop: Header=BB4_2093 Depth=2
	s_or_b32 exec_lo, exec_lo, s27
	s_delay_alu instid0(SALU_CYCLE_1)
	s_and_b32 s11, s11, exec_lo
	s_or_saveexec_b32 s26, s26
	v_mov_b32_e32 v96, s25
	s_xor_b32 exec_lo, exec_lo, s26
	s_cbranch_execz .LBB4_2237
.LBB4_2599:                             ;   in Loop: Header=BB4_2093 Depth=2
	v_cmp_ne_u16_e32 vcc_lo, 0, v16
	v_mov_b32_e32 v96, 0
	s_and_not1_b32 s11, s11, exec_lo
	s_and_b32 s25, vcc_lo, exec_lo
	s_delay_alu instid0(SALU_CYCLE_1)
	s_or_b32 s11, s11, s25
	s_or_b32 exec_lo, exec_lo, s26
	s_and_saveexec_b32 s25, s11
	s_cbranch_execnz .LBB4_2238
	s_branch .LBB4_2239
.LBB4_2600:                             ;   in Loop: Header=BB4_2093 Depth=2
	s_mov_b32 s11, -1
	s_mov_b32 s27, exec_lo
                                        ; implicit-def: $sgpr25
	v_cmpx_eq_u16_e32 0x80, v16
; %bb.2601:                             ;   in Loop: Header=BB4_2093 Depth=2
	s_mov_b32 s25, 0x7f800001
	s_xor_b32 s11, exec_lo, -1
; %bb.2602:                             ;   in Loop: Header=BB4_2093 Depth=2
	s_or_b32 exec_lo, exec_lo, s27
	s_delay_alu instid0(SALU_CYCLE_1)
	s_and_b32 s11, s11, exec_lo
	s_or_saveexec_b32 s26, s26
	v_mov_b32_e32 v96, s25
	s_xor_b32 exec_lo, exec_lo, s26
	s_cbranch_execz .LBB4_2249
.LBB4_2603:                             ;   in Loop: Header=BB4_2093 Depth=2
	v_cmp_ne_u16_e32 vcc_lo, 0, v16
	v_mov_b32_e32 v96, 0
	s_and_not1_b32 s11, s11, exec_lo
	s_and_b32 s25, vcc_lo, exec_lo
	s_delay_alu instid0(SALU_CYCLE_1)
	s_or_b32 s11, s11, s25
	s_or_b32 exec_lo, exec_lo, s26
	s_and_saveexec_b32 s25, s11
	s_cbranch_execnz .LBB4_2250
	s_branch .LBB4_2251
.LBB4_2604:                             ;   in Loop: Header=BB4_2093 Depth=2
	s_mov_b32 s11, -1
	s_mov_b32 s27, exec_lo
                                        ; implicit-def: $sgpr25
	v_cmpx_eq_u16_e32 0x80, v16
; %bb.2605:                             ;   in Loop: Header=BB4_2093 Depth=2
	s_mov_b32 s25, 0x7f800001
	s_xor_b32 s11, exec_lo, -1
; %bb.2606:                             ;   in Loop: Header=BB4_2093 Depth=2
	s_or_b32 exec_lo, exec_lo, s27
	s_delay_alu instid0(SALU_CYCLE_1)
	s_and_b32 s11, s11, exec_lo
	s_or_saveexec_b32 s26, s26
	v_mov_b32_e32 v96, s25
	s_xor_b32 exec_lo, exec_lo, s26
	s_cbranch_execz .LBB4_2261
.LBB4_2607:                             ;   in Loop: Header=BB4_2093 Depth=2
	v_cmp_ne_u16_e32 vcc_lo, 0, v16
	v_mov_b32_e32 v96, 0
	s_and_not1_b32 s11, s11, exec_lo
	s_and_b32 s25, vcc_lo, exec_lo
	s_delay_alu instid0(SALU_CYCLE_1)
	s_or_b32 s11, s11, s25
	s_or_b32 exec_lo, exec_lo, s26
	s_and_saveexec_b32 s25, s11
	s_cbranch_execnz .LBB4_2262
	s_branch .LBB4_2263
.LBB4_2608:                             ;   in Loop: Header=BB4_2093 Depth=2
	s_mov_b32 s11, -1
	s_mov_b32 s27, exec_lo
                                        ; implicit-def: $sgpr25
	v_cmpx_eq_u16_e32 0x80, v16
; %bb.2609:                             ;   in Loop: Header=BB4_2093 Depth=2
	s_mov_b32 s25, 0x7f800001
	s_xor_b32 s11, exec_lo, -1
; %bb.2610:                             ;   in Loop: Header=BB4_2093 Depth=2
	s_or_b32 exec_lo, exec_lo, s27
	s_delay_alu instid0(SALU_CYCLE_1)
	s_and_b32 s11, s11, exec_lo
	s_or_saveexec_b32 s26, s26
	v_mov_b32_e32 v96, s25
	s_xor_b32 exec_lo, exec_lo, s26
	s_cbranch_execz .LBB4_2273
.LBB4_2611:                             ;   in Loop: Header=BB4_2093 Depth=2
	v_cmp_ne_u16_e32 vcc_lo, 0, v16
	v_mov_b32_e32 v96, 0
	s_and_not1_b32 s11, s11, exec_lo
	s_and_b32 s25, vcc_lo, exec_lo
	s_delay_alu instid0(SALU_CYCLE_1)
	s_or_b32 s11, s11, s25
	s_or_b32 exec_lo, exec_lo, s26
	s_and_saveexec_b32 s25, s11
	s_cbranch_execnz .LBB4_2274
	s_branch .LBB4_2275
.LBB4_2612:                             ;   in Loop: Header=BB4_2093 Depth=2
	s_mov_b32 s11, -1
	s_mov_b32 s27, exec_lo
                                        ; implicit-def: $sgpr25
	v_cmpx_eq_u16_e32 0x80, v16
; %bb.2613:                             ;   in Loop: Header=BB4_2093 Depth=2
	s_mov_b32 s25, 0x7f800001
	s_xor_b32 s11, exec_lo, -1
; %bb.2614:                             ;   in Loop: Header=BB4_2093 Depth=2
	s_or_b32 exec_lo, exec_lo, s27
	s_delay_alu instid0(SALU_CYCLE_1)
	s_and_b32 s11, s11, exec_lo
	s_or_saveexec_b32 s26, s26
	v_mov_b32_e32 v98, s25
	s_xor_b32 exec_lo, exec_lo, s26
	s_cbranch_execz .LBB4_2285
.LBB4_2615:                             ;   in Loop: Header=BB4_2093 Depth=2
	v_cmp_ne_u16_e32 vcc_lo, 0, v16
	v_mov_b32_e32 v98, 0
	s_and_not1_b32 s11, s11, exec_lo
	s_and_b32 s25, vcc_lo, exec_lo
	s_delay_alu instid0(SALU_CYCLE_1)
	s_or_b32 s11, s11, s25
	s_or_b32 exec_lo, exec_lo, s26
	s_and_saveexec_b32 s25, s11
	s_cbranch_execnz .LBB4_2286
	s_branch .LBB4_2287
.LBB4_2616:                             ;   in Loop: Header=BB4_2093 Depth=2
	s_mov_b32 s11, -1
	s_mov_b32 s27, exec_lo
                                        ; implicit-def: $sgpr25
	v_cmpx_eq_u16_e64 0x80, v150
; %bb.2617:                             ;   in Loop: Header=BB4_2093 Depth=2
	s_mov_b32 s25, 0x7f800001
	s_xor_b32 s11, exec_lo, -1
; %bb.2618:                             ;   in Loop: Header=BB4_2093 Depth=2
	s_or_b32 exec_lo, exec_lo, s27
	s_delay_alu instid0(SALU_CYCLE_1)
	s_and_b32 s11, s11, exec_lo
                                        ; implicit-def: $vgpr150
	s_or_saveexec_b32 s26, s26
	v_mov_b32_e32 v149, s25
	s_xor_b32 exec_lo, exec_lo, s26
	s_cbranch_execz .LBB4_2297
.LBB4_2619:                             ;   in Loop: Header=BB4_2093 Depth=2
	v_cmp_ne_u16_e64 vcc_lo, 0, v150
	v_mov_b32_e32 v149, 0
	s_and_not1_b32 s11, s11, exec_lo
	s_delay_alu instid0(VALU_DEP_2) | instskip(NEXT) | instid1(SALU_CYCLE_1)
	s_and_b32 s25, vcc_lo, exec_lo
	s_or_b32 s11, s11, s25
	s_or_b32 exec_lo, exec_lo, s26
	s_and_saveexec_b32 s25, s11
	s_cbranch_execnz .LBB4_2298
	s_branch .LBB4_2299
.LBB4_2620:                             ;   in Loop: Header=BB4_2093 Depth=2
	s_mov_b32 s11, -1
	s_mov_b32 s27, exec_lo
                                        ; implicit-def: $sgpr25
	v_cmpx_eq_u16_e64 0x80, v150
; %bb.2621:                             ;   in Loop: Header=BB4_2093 Depth=2
	s_mov_b32 s25, 0x7f800001
	s_xor_b32 s11, exec_lo, -1
; %bb.2622:                             ;   in Loop: Header=BB4_2093 Depth=2
	s_or_b32 exec_lo, exec_lo, s27
	s_delay_alu instid0(SALU_CYCLE_1)
	s_and_b32 s11, s11, exec_lo
                                        ; implicit-def: $vgpr150
	s_or_saveexec_b32 s26, s26
	v_mov_b32_e32 v55, s25
	s_xor_b32 exec_lo, exec_lo, s26
	s_cbranch_execz .LBB4_2301
.LBB4_2623:                             ;   in Loop: Header=BB4_2093 Depth=2
	v_cmp_ne_u16_e64 vcc_lo, 0, v150
	v_mov_b32_e32 v55, 0
	s_and_not1_b32 s11, s11, exec_lo
	s_delay_alu instid0(VALU_DEP_2) | instskip(NEXT) | instid1(SALU_CYCLE_1)
	s_and_b32 s25, vcc_lo, exec_lo
	s_or_b32 s11, s11, s25
	s_or_b32 exec_lo, exec_lo, s26
	s_and_saveexec_b32 s25, s11
	s_cbranch_execnz .LBB4_2302
	s_branch .LBB4_2303
.LBB4_2624:                             ;   in Loop: Header=BB4_2093 Depth=2
	s_mov_b32 s11, -1
	s_mov_b32 s27, exec_lo
                                        ; implicit-def: $sgpr25
	v_cmpx_eq_u16_e64 0x80, v149
; %bb.2625:                             ;   in Loop: Header=BB4_2093 Depth=2
	s_mov_b32 s25, 0x7f800001
	s_xor_b32 s11, exec_lo, -1
; %bb.2626:                             ;   in Loop: Header=BB4_2093 Depth=2
	s_or_b32 exec_lo, exec_lo, s27
	s_delay_alu instid0(SALU_CYCLE_1)
	s_and_b32 s11, s11, exec_lo
                                        ; implicit-def: $vgpr149
	s_or_saveexec_b32 s26, s26
	v_mov_b32_e32 v148, s25
	s_xor_b32 exec_lo, exec_lo, s26
	s_cbranch_execz .LBB4_2313
.LBB4_2627:                             ;   in Loop: Header=BB4_2093 Depth=2
	v_cmp_ne_u16_e64 vcc_lo, 0, v149
	v_mov_b32_e32 v148, 0
	s_and_not1_b32 s11, s11, exec_lo
	s_delay_alu instid0(VALU_DEP_2) | instskip(NEXT) | instid1(SALU_CYCLE_1)
	s_and_b32 s25, vcc_lo, exec_lo
	s_or_b32 s11, s11, s25
	s_or_b32 exec_lo, exec_lo, s26
	s_and_saveexec_b32 s25, s11
	s_cbranch_execnz .LBB4_2314
	s_branch .LBB4_2315
.LBB4_2628:                             ;   in Loop: Header=BB4_2093 Depth=2
	s_mov_b32 s11, -1
	s_mov_b32 s27, exec_lo
                                        ; implicit-def: $sgpr25
	v_cmpx_eq_u16_e64 0x80, v149
; %bb.2629:                             ;   in Loop: Header=BB4_2093 Depth=2
	s_mov_b32 s25, 0x7f800001
	s_xor_b32 s11, exec_lo, -1
; %bb.2630:                             ;   in Loop: Header=BB4_2093 Depth=2
	s_or_b32 exec_lo, exec_lo, s27
	s_delay_alu instid0(SALU_CYCLE_1)
	s_and_b32 s11, s11, exec_lo
                                        ; implicit-def: $vgpr149
	s_or_saveexec_b32 s26, s26
	v_mov_b32_e32 v100, s25
	s_xor_b32 exec_lo, exec_lo, s26
	s_cbranch_execz .LBB4_2317
.LBB4_2631:                             ;   in Loop: Header=BB4_2093 Depth=2
	v_cmp_ne_u16_e64 vcc_lo, 0, v149
	v_mov_b32_e32 v100, 0
	s_and_not1_b32 s11, s11, exec_lo
	s_delay_alu instid0(VALU_DEP_2) | instskip(NEXT) | instid1(SALU_CYCLE_1)
	s_and_b32 s25, vcc_lo, exec_lo
	s_or_b32 s11, s11, s25
	s_or_b32 exec_lo, exec_lo, s26
	s_and_saveexec_b32 s25, s11
	s_cbranch_execnz .LBB4_2318
	s_branch .LBB4_2319
.LBB4_2632:                             ;   in Loop: Header=BB4_2093 Depth=2
	s_mov_b32 s11, -1
	s_mov_b32 s27, exec_lo
                                        ; implicit-def: $sgpr25
	v_cmpx_eq_u16_e64 0x80, v148
; %bb.2633:                             ;   in Loop: Header=BB4_2093 Depth=2
	s_mov_b32 s25, 0x7f800001
	s_xor_b32 s11, exec_lo, -1
; %bb.2634:                             ;   in Loop: Header=BB4_2093 Depth=2
	s_or_b32 exec_lo, exec_lo, s27
	s_delay_alu instid0(SALU_CYCLE_1)
	s_and_b32 s11, s11, exec_lo
                                        ; implicit-def: $vgpr148
	s_or_saveexec_b32 s26, s26
	v_mov_b32_e32 v147, s25
	s_xor_b32 exec_lo, exec_lo, s26
	s_cbranch_execz .LBB4_2329
.LBB4_2635:                             ;   in Loop: Header=BB4_2093 Depth=2
	v_cmp_ne_u16_e64 vcc_lo, 0, v148
	v_mov_b32_e32 v147, 0
	s_and_not1_b32 s11, s11, exec_lo
	s_delay_alu instid0(VALU_DEP_2) | instskip(NEXT) | instid1(SALU_CYCLE_1)
	s_and_b32 s25, vcc_lo, exec_lo
	s_or_b32 s11, s11, s25
	s_or_b32 exec_lo, exec_lo, s26
	s_and_saveexec_b32 s25, s11
	s_cbranch_execnz .LBB4_2330
	s_branch .LBB4_2331
.LBB4_2636:                             ;   in Loop: Header=BB4_2093 Depth=2
	s_mov_b32 s11, -1
	s_mov_b32 s27, exec_lo
                                        ; implicit-def: $sgpr25
	v_cmpx_eq_u16_e64 0x80, v148
; %bb.2637:                             ;   in Loop: Header=BB4_2093 Depth=2
	s_mov_b32 s25, 0x7f800001
	s_xor_b32 s11, exec_lo, -1
; %bb.2638:                             ;   in Loop: Header=BB4_2093 Depth=2
	s_or_b32 exec_lo, exec_lo, s27
	s_delay_alu instid0(SALU_CYCLE_1)
	s_and_b32 s11, s11, exec_lo
                                        ; implicit-def: $vgpr148
	s_or_saveexec_b32 s26, s26
	v_mov_b32_e32 v114, s25
	s_xor_b32 exec_lo, exec_lo, s26
	s_cbranch_execz .LBB4_2333
.LBB4_2639:                             ;   in Loop: Header=BB4_2093 Depth=2
	v_cmp_ne_u16_e64 vcc_lo, 0, v148
	v_mov_b32_e32 v114, 0
	s_and_not1_b32 s11, s11, exec_lo
	s_delay_alu instid0(VALU_DEP_2) | instskip(NEXT) | instid1(SALU_CYCLE_1)
	s_and_b32 s25, vcc_lo, exec_lo
	s_or_b32 s11, s11, s25
	s_or_b32 exec_lo, exec_lo, s26
	s_and_saveexec_b32 s25, s11
	s_cbranch_execnz .LBB4_2334
	s_branch .LBB4_2335
.LBB4_2640:                             ;   in Loop: Header=BB4_2093 Depth=2
	s_mov_b32 s11, -1
	s_mov_b32 s27, exec_lo
                                        ; implicit-def: $sgpr25
	v_cmpx_eq_u16_e64 0x80, v147
; %bb.2641:                             ;   in Loop: Header=BB4_2093 Depth=2
	s_mov_b32 s25, 0x7f800001
	s_xor_b32 s11, exec_lo, -1
; %bb.2642:                             ;   in Loop: Header=BB4_2093 Depth=2
	s_or_b32 exec_lo, exec_lo, s27
	s_delay_alu instid0(SALU_CYCLE_1)
	s_and_b32 s11, s11, exec_lo
                                        ; implicit-def: $vgpr147
	s_or_saveexec_b32 s26, s26
	v_mov_b32_e32 v146, s25
	s_xor_b32 exec_lo, exec_lo, s26
	s_cbranch_execz .LBB4_2345
.LBB4_2643:                             ;   in Loop: Header=BB4_2093 Depth=2
	v_cmp_ne_u16_e64 vcc_lo, 0, v147
	v_mov_b32_e32 v146, 0
	s_and_not1_b32 s11, s11, exec_lo
	s_delay_alu instid0(VALU_DEP_2) | instskip(NEXT) | instid1(SALU_CYCLE_1)
	s_and_b32 s25, vcc_lo, exec_lo
	s_or_b32 s11, s11, s25
	s_or_b32 exec_lo, exec_lo, s26
	s_and_saveexec_b32 s25, s11
	s_cbranch_execnz .LBB4_2346
	s_branch .LBB4_2347
.LBB4_2644:                             ;   in Loop: Header=BB4_2093 Depth=2
	s_mov_b32 s11, -1
	s_mov_b32 s27, exec_lo
                                        ; implicit-def: $sgpr25
	v_cmpx_eq_u16_e64 0x80, v147
; %bb.2645:                             ;   in Loop: Header=BB4_2093 Depth=2
	s_mov_b32 s25, 0x7f800001
	s_xor_b32 s11, exec_lo, -1
; %bb.2646:                             ;   in Loop: Header=BB4_2093 Depth=2
	s_or_b32 exec_lo, exec_lo, s27
	s_delay_alu instid0(SALU_CYCLE_1)
	s_and_b32 s11, s11, exec_lo
                                        ; implicit-def: $vgpr147
	s_or_saveexec_b32 s26, s26
	v_mov_b32_e32 v119, s25
	s_xor_b32 exec_lo, exec_lo, s26
	s_cbranch_execz .LBB4_2349
.LBB4_2647:                             ;   in Loop: Header=BB4_2093 Depth=2
	v_cmp_ne_u16_e64 vcc_lo, 0, v147
	v_mov_b32_e32 v119, 0
	s_and_not1_b32 s11, s11, exec_lo
	s_delay_alu instid0(VALU_DEP_2) | instskip(NEXT) | instid1(SALU_CYCLE_1)
	s_and_b32 s25, vcc_lo, exec_lo
	s_or_b32 s11, s11, s25
	s_or_b32 exec_lo, exec_lo, s26
	s_and_saveexec_b32 s25, s11
	s_cbranch_execnz .LBB4_2350
	s_branch .LBB4_2351
.LBB4_2648:                             ;   in Loop: Header=BB4_2093 Depth=2
	s_mov_b32 s11, -1
	s_mov_b32 s27, exec_lo
                                        ; implicit-def: $sgpr25
	v_cmpx_eq_u16_e64 0x80, v146
; %bb.2649:                             ;   in Loop: Header=BB4_2093 Depth=2
	s_mov_b32 s25, 0x7f800001
	s_xor_b32 s11, exec_lo, -1
; %bb.2650:                             ;   in Loop: Header=BB4_2093 Depth=2
	s_or_b32 exec_lo, exec_lo, s27
	s_delay_alu instid0(SALU_CYCLE_1)
	s_and_b32 s11, s11, exec_lo
                                        ; implicit-def: $vgpr146
	s_or_saveexec_b32 s26, s26
	v_mov_b32_e32 v145, s25
	s_xor_b32 exec_lo, exec_lo, s26
	s_cbranch_execz .LBB4_2361
.LBB4_2651:                             ;   in Loop: Header=BB4_2093 Depth=2
	v_cmp_ne_u16_e64 vcc_lo, 0, v146
	v_mov_b32_e32 v145, 0
	s_and_not1_b32 s11, s11, exec_lo
	s_delay_alu instid0(VALU_DEP_2) | instskip(NEXT) | instid1(SALU_CYCLE_1)
	s_and_b32 s25, vcc_lo, exec_lo
	s_or_b32 s11, s11, s25
	s_or_b32 exec_lo, exec_lo, s26
	s_and_saveexec_b32 s25, s11
	s_cbranch_execnz .LBB4_2362
	s_branch .LBB4_2363
.LBB4_2652:                             ;   in Loop: Header=BB4_2093 Depth=2
	s_mov_b32 s11, -1
	s_mov_b32 s27, exec_lo
                                        ; implicit-def: $sgpr25
	v_cmpx_eq_u16_e64 0x80, v146
; %bb.2653:                             ;   in Loop: Header=BB4_2093 Depth=2
	s_mov_b32 s25, 0x7f800001
	s_xor_b32 s11, exec_lo, -1
; %bb.2654:                             ;   in Loop: Header=BB4_2093 Depth=2
	s_or_b32 exec_lo, exec_lo, s27
	s_delay_alu instid0(SALU_CYCLE_1)
	s_and_b32 s11, s11, exec_lo
                                        ; implicit-def: $vgpr146
	s_or_saveexec_b32 s26, s26
	v_mov_b32_e32 v128, s25
	s_xor_b32 exec_lo, exec_lo, s26
	s_cbranch_execz .LBB4_2365
.LBB4_2655:                             ;   in Loop: Header=BB4_2093 Depth=2
	v_cmp_ne_u16_e64 vcc_lo, 0, v146
	v_mov_b32_e32 v128, 0
	s_and_not1_b32 s11, s11, exec_lo
	s_delay_alu instid0(VALU_DEP_2) | instskip(NEXT) | instid1(SALU_CYCLE_1)
	s_and_b32 s25, vcc_lo, exec_lo
	s_or_b32 s11, s11, s25
	s_or_b32 exec_lo, exec_lo, s26
	s_and_saveexec_b32 s25, s11
	s_cbranch_execnz .LBB4_2366
	s_branch .LBB4_2367
.LBB4_2656:                             ;   in Loop: Header=BB4_2093 Depth=2
	s_mov_b32 s11, -1
	s_mov_b32 s27, exec_lo
                                        ; implicit-def: $sgpr25
	v_cmpx_eq_u16_e64 0x80, v145
; %bb.2657:                             ;   in Loop: Header=BB4_2093 Depth=2
	s_mov_b32 s25, 0x7f800001
	s_xor_b32 s11, exec_lo, -1
; %bb.2658:                             ;   in Loop: Header=BB4_2093 Depth=2
	s_or_b32 exec_lo, exec_lo, s27
	s_delay_alu instid0(SALU_CYCLE_1)
	s_and_b32 s11, s11, exec_lo
                                        ; implicit-def: $vgpr145
	s_or_saveexec_b32 s26, s26
	v_mov_b32_e32 v144, s25
	s_xor_b32 exec_lo, exec_lo, s26
	s_cbranch_execz .LBB4_2377
.LBB4_2659:                             ;   in Loop: Header=BB4_2093 Depth=2
	v_cmp_ne_u16_e64 vcc_lo, 0, v145
	v_mov_b32_e32 v144, 0
	s_and_not1_b32 s11, s11, exec_lo
	s_delay_alu instid0(VALU_DEP_2) | instskip(NEXT) | instid1(SALU_CYCLE_1)
	s_and_b32 s25, vcc_lo, exec_lo
	s_or_b32 s11, s11, s25
	s_or_b32 exec_lo, exec_lo, s26
	s_and_saveexec_b32 s25, s11
	s_cbranch_execnz .LBB4_2378
	s_branch .LBB4_2379
.LBB4_2660:                             ;   in Loop: Header=BB4_2093 Depth=2
	s_mov_b32 s11, -1
	s_mov_b32 s27, exec_lo
                                        ; implicit-def: $sgpr25
	v_cmpx_eq_u16_e64 0x80, v145
; %bb.2661:                             ;   in Loop: Header=BB4_2093 Depth=2
	s_mov_b32 s25, 0x7f800001
	s_xor_b32 s11, exec_lo, -1
; %bb.2662:                             ;   in Loop: Header=BB4_2093 Depth=2
	s_or_b32 exec_lo, exec_lo, s27
	s_delay_alu instid0(SALU_CYCLE_1)
	s_and_b32 s11, s11, exec_lo
                                        ; implicit-def: $vgpr145
	s_or_saveexec_b32 s26, s26
	v_mov_b32_e32 v118, s25
	s_xor_b32 exec_lo, exec_lo, s26
	s_cbranch_execz .LBB4_2381
.LBB4_2663:                             ;   in Loop: Header=BB4_2093 Depth=2
	v_cmp_ne_u16_e64 vcc_lo, 0, v145
	v_mov_b32_e32 v118, 0
	s_and_not1_b32 s11, s11, exec_lo
	s_delay_alu instid0(VALU_DEP_2) | instskip(NEXT) | instid1(SALU_CYCLE_1)
	s_and_b32 s25, vcc_lo, exec_lo
	s_or_b32 s11, s11, s25
	s_or_b32 exec_lo, exec_lo, s26
	s_and_saveexec_b32 s25, s11
	s_cbranch_execnz .LBB4_2382
	s_branch .LBB4_2383
.LBB4_2664:                             ;   in Loop: Header=BB4_2093 Depth=2
	s_mov_b32 s11, -1
	s_mov_b32 s27, exec_lo
                                        ; implicit-def: $sgpr25
	v_cmpx_eq_u16_e64 0x80, v144
; %bb.2665:                             ;   in Loop: Header=BB4_2093 Depth=2
	s_mov_b32 s25, 0x7f800001
	s_xor_b32 s11, exec_lo, -1
; %bb.2666:                             ;   in Loop: Header=BB4_2093 Depth=2
	s_or_b32 exec_lo, exec_lo, s27
	s_delay_alu instid0(SALU_CYCLE_1)
	s_and_b32 s11, s11, exec_lo
                                        ; implicit-def: $vgpr144
	s_or_saveexec_b32 s26, s26
	v_mov_b32_e32 v135, s25
	s_xor_b32 exec_lo, exec_lo, s26
	s_cbranch_execz .LBB4_2393
.LBB4_2667:                             ;   in Loop: Header=BB4_2093 Depth=2
	v_cmp_ne_u16_e64 vcc_lo, 0, v144
	v_mov_b32_e32 v135, 0
	s_and_not1_b32 s11, s11, exec_lo
	s_delay_alu instid0(VALU_DEP_2) | instskip(NEXT) | instid1(SALU_CYCLE_1)
	s_and_b32 s25, vcc_lo, exec_lo
	s_or_b32 s11, s11, s25
	s_or_b32 exec_lo, exec_lo, s26
	s_and_saveexec_b32 s25, s11
	s_cbranch_execnz .LBB4_2394
	s_branch .LBB4_2395
.LBB4_2668:                             ;   in Loop: Header=BB4_2093 Depth=2
	s_mov_b32 s11, -1
	s_mov_b32 s27, exec_lo
                                        ; implicit-def: $sgpr25
	v_cmpx_eq_u16_e64 0x80, v144
; %bb.2669:                             ;   in Loop: Header=BB4_2093 Depth=2
	s_mov_b32 s25, 0x7f800001
	s_xor_b32 s11, exec_lo, -1
; %bb.2670:                             ;   in Loop: Header=BB4_2093 Depth=2
	s_or_b32 exec_lo, exec_lo, s27
	s_delay_alu instid0(SALU_CYCLE_1)
	s_and_b32 s11, s11, exec_lo
                                        ; implicit-def: $vgpr144
	s_or_saveexec_b32 s26, s26
	v_mov_b32_e32 v117, s25
	s_xor_b32 exec_lo, exec_lo, s26
	s_cbranch_execz .LBB4_2397
.LBB4_2671:                             ;   in Loop: Header=BB4_2093 Depth=2
	v_cmp_ne_u16_e64 vcc_lo, 0, v144
	v_mov_b32_e32 v117, 0
	s_and_not1_b32 s11, s11, exec_lo
	s_delay_alu instid0(VALU_DEP_2) | instskip(NEXT) | instid1(SALU_CYCLE_1)
	s_and_b32 s25, vcc_lo, exec_lo
	s_or_b32 s11, s11, s25
	s_or_b32 exec_lo, exec_lo, s26
	s_and_saveexec_b32 s25, s11
	s_cbranch_execnz .LBB4_2398
	s_branch .LBB4_2399
.LBB4_2672:                             ;   in Loop: Header=BB4_2093 Depth=2
	s_mov_b32 s11, -1
	s_mov_b32 s27, exec_lo
                                        ; implicit-def: $sgpr25
	v_cmpx_eq_u16_e64 0x80, v135
; %bb.2673:                             ;   in Loop: Header=BB4_2093 Depth=2
	s_mov_b32 s25, 0x7f800001
	s_xor_b32 s11, exec_lo, -1
; %bb.2674:                             ;   in Loop: Header=BB4_2093 Depth=2
	s_or_b32 exec_lo, exec_lo, s27
	s_delay_alu instid0(SALU_CYCLE_1)
	s_and_b32 s11, s11, exec_lo
                                        ; implicit-def: $vgpr135
	s_or_saveexec_b32 s26, s26
	v_mov_b32_e32 v134, s25
	s_xor_b32 exec_lo, exec_lo, s26
	s_cbranch_execz .LBB4_2409
.LBB4_2675:                             ;   in Loop: Header=BB4_2093 Depth=2
	v_cmp_ne_u16_e64 vcc_lo, 0, v135
	v_mov_b32_e32 v134, 0
	s_and_not1_b32 s11, s11, exec_lo
	s_delay_alu instid0(VALU_DEP_2) | instskip(NEXT) | instid1(SALU_CYCLE_1)
	s_and_b32 s25, vcc_lo, exec_lo
	s_or_b32 s11, s11, s25
	s_or_b32 exec_lo, exec_lo, s26
	s_and_saveexec_b32 s25, s11
	s_cbranch_execnz .LBB4_2410
	s_branch .LBB4_2411
.LBB4_2676:                             ;   in Loop: Header=BB4_2093 Depth=2
	s_mov_b32 s11, -1
	s_mov_b32 s27, exec_lo
                                        ; implicit-def: $sgpr25
	v_cmpx_eq_u16_e64 0x80, v135
; %bb.2677:                             ;   in Loop: Header=BB4_2093 Depth=2
	s_mov_b32 s25, 0x7f800001
	s_xor_b32 s11, exec_lo, -1
; %bb.2678:                             ;   in Loop: Header=BB4_2093 Depth=2
	s_or_b32 exec_lo, exec_lo, s27
	s_delay_alu instid0(SALU_CYCLE_1)
	s_and_b32 s11, s11, exec_lo
                                        ; implicit-def: $vgpr135
	s_or_saveexec_b32 s26, s26
	v_mov_b32_e32 v115, s25
	s_xor_b32 exec_lo, exec_lo, s26
	s_cbranch_execz .LBB4_2413
.LBB4_2679:                             ;   in Loop: Header=BB4_2093 Depth=2
	v_cmp_ne_u16_e64 vcc_lo, 0, v135
	v_mov_b32_e32 v115, 0
	s_and_not1_b32 s11, s11, exec_lo
	s_delay_alu instid0(VALU_DEP_2) | instskip(NEXT) | instid1(SALU_CYCLE_1)
	s_and_b32 s25, vcc_lo, exec_lo
	s_or_b32 s11, s11, s25
	s_or_b32 exec_lo, exec_lo, s26
	s_and_saveexec_b32 s25, s11
	s_cbranch_execnz .LBB4_2414
	s_branch .LBB4_2415
.LBB4_2680:                             ;   in Loop: Header=BB4_2093 Depth=2
	s_mov_b32 s11, -1
	s_mov_b32 s27, exec_lo
                                        ; implicit-def: $sgpr25
	v_cmpx_eq_u16_e64 0x80, v134
; %bb.2681:                             ;   in Loop: Header=BB4_2093 Depth=2
	s_mov_b32 s25, 0x7f800001
	s_xor_b32 s11, exec_lo, -1
; %bb.2682:                             ;   in Loop: Header=BB4_2093 Depth=2
	s_or_b32 exec_lo, exec_lo, s27
	s_delay_alu instid0(SALU_CYCLE_1)
	s_and_b32 s11, s11, exec_lo
                                        ; implicit-def: $vgpr134
	s_or_saveexec_b32 s26, s26
	v_mov_b32_e32 v133, s25
	s_xor_b32 exec_lo, exec_lo, s26
	s_cbranch_execz .LBB4_2425
.LBB4_2683:                             ;   in Loop: Header=BB4_2093 Depth=2
	v_cmp_ne_u16_e64 vcc_lo, 0, v134
	v_mov_b32_e32 v133, 0
	s_and_not1_b32 s11, s11, exec_lo
	s_delay_alu instid0(VALU_DEP_2) | instskip(NEXT) | instid1(SALU_CYCLE_1)
	s_and_b32 s25, vcc_lo, exec_lo
	s_or_b32 s11, s11, s25
	s_or_b32 exec_lo, exec_lo, s26
	s_and_saveexec_b32 s25, s11
	s_cbranch_execnz .LBB4_2426
	s_branch .LBB4_2427
.LBB4_2684:                             ;   in Loop: Header=BB4_2093 Depth=2
	s_mov_b32 s11, -1
	s_mov_b32 s27, exec_lo
                                        ; implicit-def: $sgpr25
	v_cmpx_eq_u16_e64 0x80, v134
; %bb.2685:                             ;   in Loop: Header=BB4_2093 Depth=2
	s_mov_b32 s25, 0x7f800001
	s_xor_b32 s11, exec_lo, -1
; %bb.2686:                             ;   in Loop: Header=BB4_2093 Depth=2
	s_or_b32 exec_lo, exec_lo, s27
	s_delay_alu instid0(SALU_CYCLE_1)
	s_and_b32 s11, s11, exec_lo
                                        ; implicit-def: $vgpr134
	s_or_saveexec_b32 s26, s26
	v_mov_b32_e32 v113, s25
	s_xor_b32 exec_lo, exec_lo, s26
	s_cbranch_execz .LBB4_2429
.LBB4_2687:                             ;   in Loop: Header=BB4_2093 Depth=2
	v_cmp_ne_u16_e64 vcc_lo, 0, v134
	v_mov_b32_e32 v113, 0
	s_and_not1_b32 s11, s11, exec_lo
	s_delay_alu instid0(VALU_DEP_2) | instskip(NEXT) | instid1(SALU_CYCLE_1)
	s_and_b32 s25, vcc_lo, exec_lo
	s_or_b32 s11, s11, s25
	s_or_b32 exec_lo, exec_lo, s26
	s_and_saveexec_b32 s25, s11
	s_cbranch_execnz .LBB4_2430
	s_branch .LBB4_2431
.LBB4_2688:                             ;   in Loop: Header=BB4_2093 Depth=2
	s_mov_b32 s11, -1
	s_mov_b32 s27, exec_lo
                                        ; implicit-def: $sgpr25
	v_cmpx_eq_u16_e64 0x80, v133
; %bb.2689:                             ;   in Loop: Header=BB4_2093 Depth=2
	s_mov_b32 s25, 0x7f800001
	s_xor_b32 s11, exec_lo, -1
; %bb.2690:                             ;   in Loop: Header=BB4_2093 Depth=2
	s_or_b32 exec_lo, exec_lo, s27
	s_delay_alu instid0(SALU_CYCLE_1)
	s_and_b32 s11, s11, exec_lo
                                        ; implicit-def: $vgpr133
	s_or_saveexec_b32 s26, s26
	v_mov_b32_e32 v132, s25
	s_xor_b32 exec_lo, exec_lo, s26
	s_cbranch_execz .LBB4_2441
.LBB4_2691:                             ;   in Loop: Header=BB4_2093 Depth=2
	v_cmp_ne_u16_e64 vcc_lo, 0, v133
	v_mov_b32_e32 v132, 0
	s_and_not1_b32 s11, s11, exec_lo
	s_delay_alu instid0(VALU_DEP_2) | instskip(NEXT) | instid1(SALU_CYCLE_1)
	s_and_b32 s25, vcc_lo, exec_lo
	s_or_b32 s11, s11, s25
	s_or_b32 exec_lo, exec_lo, s26
	s_and_saveexec_b32 s25, s11
	s_cbranch_execnz .LBB4_2442
	s_branch .LBB4_2443
.LBB4_2692:                             ;   in Loop: Header=BB4_2093 Depth=2
	s_mov_b32 s11, -1
	s_mov_b32 s27, exec_lo
                                        ; implicit-def: $sgpr25
	v_cmpx_eq_u16_e64 0x80, v133
; %bb.2693:                             ;   in Loop: Header=BB4_2093 Depth=2
	s_mov_b32 s25, 0x7f800001
	s_xor_b32 s11, exec_lo, -1
; %bb.2694:                             ;   in Loop: Header=BB4_2093 Depth=2
	s_or_b32 exec_lo, exec_lo, s27
	s_delay_alu instid0(SALU_CYCLE_1)
	s_and_b32 s11, s11, exec_lo
                                        ; implicit-def: $vgpr133
	s_or_saveexec_b32 s26, s26
	v_mov_b32_e32 v112, s25
	s_xor_b32 exec_lo, exec_lo, s26
	s_cbranch_execz .LBB4_2445
.LBB4_2695:                             ;   in Loop: Header=BB4_2093 Depth=2
	v_cmp_ne_u16_e64 vcc_lo, 0, v133
	v_mov_b32_e32 v112, 0
	s_and_not1_b32 s11, s11, exec_lo
	s_delay_alu instid0(VALU_DEP_2) | instskip(NEXT) | instid1(SALU_CYCLE_1)
	s_and_b32 s25, vcc_lo, exec_lo
	s_or_b32 s11, s11, s25
	s_or_b32 exec_lo, exec_lo, s26
	s_and_saveexec_b32 s25, s11
	s_cbranch_execnz .LBB4_2446
	s_branch .LBB4_2447
.LBB4_2696:                             ;   in Loop: Header=BB4_2093 Depth=2
	s_mov_b32 s11, -1
	s_mov_b32 s27, exec_lo
                                        ; implicit-def: $sgpr25
	v_cmpx_eq_u16_e64 0x80, v132
; %bb.2697:                             ;   in Loop: Header=BB4_2093 Depth=2
	s_mov_b32 s25, 0x7f800001
	s_xor_b32 s11, exec_lo, -1
; %bb.2698:                             ;   in Loop: Header=BB4_2093 Depth=2
	s_or_b32 exec_lo, exec_lo, s27
	s_delay_alu instid0(SALU_CYCLE_1)
	s_and_b32 s11, s11, exec_lo
                                        ; implicit-def: $vgpr132
	s_or_saveexec_b32 s26, s26
	v_mov_b32_e32 v131, s25
	s_xor_b32 exec_lo, exec_lo, s26
	s_cbranch_execz .LBB4_2457
.LBB4_2699:                             ;   in Loop: Header=BB4_2093 Depth=2
	v_cmp_ne_u16_e64 vcc_lo, 0, v132
	v_mov_b32_e32 v131, 0
	s_and_not1_b32 s11, s11, exec_lo
	s_delay_alu instid0(VALU_DEP_2) | instskip(NEXT) | instid1(SALU_CYCLE_1)
	s_and_b32 s25, vcc_lo, exec_lo
	s_or_b32 s11, s11, s25
	s_or_b32 exec_lo, exec_lo, s26
	s_and_saveexec_b32 s25, s11
	s_cbranch_execnz .LBB4_2458
	s_branch .LBB4_2459
.LBB4_2700:                             ;   in Loop: Header=BB4_2093 Depth=2
	s_mov_b32 s11, -1
	s_mov_b32 s27, exec_lo
                                        ; implicit-def: $sgpr25
	v_cmpx_eq_u16_e64 0x80, v132
; %bb.2701:                             ;   in Loop: Header=BB4_2093 Depth=2
	s_mov_b32 s25, 0x7f800001
	s_xor_b32 s11, exec_lo, -1
; %bb.2702:                             ;   in Loop: Header=BB4_2093 Depth=2
	s_or_b32 exec_lo, exec_lo, s27
	s_delay_alu instid0(SALU_CYCLE_1)
	s_and_b32 s11, s11, exec_lo
                                        ; implicit-def: $vgpr132
	s_or_saveexec_b32 s26, s26
	v_mov_b32_e32 v102, s25
	s_xor_b32 exec_lo, exec_lo, s26
	s_cbranch_execz .LBB4_2461
.LBB4_2703:                             ;   in Loop: Header=BB4_2093 Depth=2
	v_cmp_ne_u16_e64 vcc_lo, 0, v132
	v_mov_b32_e32 v102, 0
	s_and_not1_b32 s11, s11, exec_lo
	s_delay_alu instid0(VALU_DEP_2) | instskip(NEXT) | instid1(SALU_CYCLE_1)
	s_and_b32 s25, vcc_lo, exec_lo
	s_or_b32 s11, s11, s25
	s_or_b32 exec_lo, exec_lo, s26
	s_and_saveexec_b32 s25, s11
	s_cbranch_execnz .LBB4_2462
	s_branch .LBB4_2463
.LBB4_2704:                             ;   in Loop: Header=BB4_2093 Depth=2
	s_mov_b32 s11, -1
	s_mov_b32 s27, exec_lo
                                        ; implicit-def: $sgpr25
	v_cmpx_eq_u16_e64 0x80, v131
; %bb.2705:                             ;   in Loop: Header=BB4_2093 Depth=2
	s_mov_b32 s25, 0x7f800001
	s_xor_b32 s11, exec_lo, -1
; %bb.2706:                             ;   in Loop: Header=BB4_2093 Depth=2
	s_or_b32 exec_lo, exec_lo, s27
	s_delay_alu instid0(SALU_CYCLE_1)
	s_and_b32 s11, s11, exec_lo
                                        ; implicit-def: $vgpr131
	s_or_saveexec_b32 s26, s26
	v_mov_b32_e32 v130, s25
	s_xor_b32 exec_lo, exec_lo, s26
	s_cbranch_execz .LBB4_2473
.LBB4_2707:                             ;   in Loop: Header=BB4_2093 Depth=2
	v_cmp_ne_u16_e64 vcc_lo, 0, v131
	v_mov_b32_e32 v130, 0
	s_and_not1_b32 s11, s11, exec_lo
	s_delay_alu instid0(VALU_DEP_2) | instskip(NEXT) | instid1(SALU_CYCLE_1)
	s_and_b32 s25, vcc_lo, exec_lo
	s_or_b32 s11, s11, s25
	s_or_b32 exec_lo, exec_lo, s26
	s_and_saveexec_b32 s25, s11
	s_cbranch_execnz .LBB4_2474
	s_branch .LBB4_2475
.LBB4_2708:                             ;   in Loop: Header=BB4_2093 Depth=2
	s_mov_b32 s11, -1
	s_mov_b32 s27, exec_lo
                                        ; implicit-def: $sgpr25
	v_cmpx_eq_u16_e64 0x80, v131
; %bb.2709:                             ;   in Loop: Header=BB4_2093 Depth=2
	s_mov_b32 s25, 0x7f800001
	s_xor_b32 s11, exec_lo, -1
; %bb.2710:                             ;   in Loop: Header=BB4_2093 Depth=2
	s_or_b32 exec_lo, exec_lo, s27
	s_delay_alu instid0(SALU_CYCLE_1)
	s_and_b32 s11, s11, exec_lo
                                        ; implicit-def: $vgpr131
	s_or_saveexec_b32 s26, s26
	v_mov_b32_e32 v101, s25
	s_xor_b32 exec_lo, exec_lo, s26
	s_cbranch_execz .LBB4_2477
.LBB4_2711:                             ;   in Loop: Header=BB4_2093 Depth=2
	v_cmp_ne_u16_e64 vcc_lo, 0, v131
	v_mov_b32_e32 v101, 0
	s_and_not1_b32 s11, s11, exec_lo
	s_delay_alu instid0(VALU_DEP_2) | instskip(NEXT) | instid1(SALU_CYCLE_1)
	s_and_b32 s25, vcc_lo, exec_lo
	s_or_b32 s11, s11, s25
	s_or_b32 exec_lo, exec_lo, s26
	s_and_saveexec_b32 s25, s11
	s_cbranch_execnz .LBB4_2478
	s_branch .LBB4_2479
.LBB4_2712:                             ;   in Loop: Header=BB4_2093 Depth=2
	s_mov_b32 s11, -1
	s_mov_b32 s27, exec_lo
                                        ; implicit-def: $sgpr25
	v_cmpx_eq_u16_e64 0x80, v130
; %bb.2713:                             ;   in Loop: Header=BB4_2093 Depth=2
	s_mov_b32 s25, 0x7f800001
	s_xor_b32 s11, exec_lo, -1
; %bb.2714:                             ;   in Loop: Header=BB4_2093 Depth=2
	s_or_b32 exec_lo, exec_lo, s27
	s_delay_alu instid0(SALU_CYCLE_1)
	s_and_b32 s11, s11, exec_lo
                                        ; implicit-def: $vgpr130
	s_or_saveexec_b32 s26, s26
	v_mov_b32_e32 v129, s25
	s_xor_b32 exec_lo, exec_lo, s26
	s_cbranch_execz .LBB4_2489
.LBB4_2715:                             ;   in Loop: Header=BB4_2093 Depth=2
	v_cmp_ne_u16_e64 vcc_lo, 0, v130
	v_mov_b32_e32 v129, 0
	s_and_not1_b32 s11, s11, exec_lo
	s_delay_alu instid0(VALU_DEP_2) | instskip(NEXT) | instid1(SALU_CYCLE_1)
	s_and_b32 s25, vcc_lo, exec_lo
	s_or_b32 s11, s11, s25
	s_or_b32 exec_lo, exec_lo, s26
	s_and_saveexec_b32 s25, s11
	s_cbranch_execnz .LBB4_2490
	s_branch .LBB4_2491
.LBB4_2716:                             ;   in Loop: Header=BB4_2093 Depth=2
	s_mov_b32 s11, -1
	s_mov_b32 s27, exec_lo
                                        ; implicit-def: $sgpr25
	v_cmpx_eq_u16_e64 0x80, v130
; %bb.2717:                             ;   in Loop: Header=BB4_2093 Depth=2
	s_mov_b32 s25, 0x7f800001
	s_xor_b32 s11, exec_lo, -1
; %bb.2718:                             ;   in Loop: Header=BB4_2093 Depth=2
	s_or_b32 exec_lo, exec_lo, s27
	s_delay_alu instid0(SALU_CYCLE_1)
	s_and_b32 s11, s11, exec_lo
                                        ; implicit-def: $vgpr130
	s_or_saveexec_b32 s26, s26
	v_mov_b32_e32 v99, s25
	s_xor_b32 exec_lo, exec_lo, s26
	s_cbranch_execz .LBB4_2493
.LBB4_2719:                             ;   in Loop: Header=BB4_2093 Depth=2
	v_cmp_ne_u16_e64 vcc_lo, 0, v130
	v_mov_b32_e32 v99, 0
	s_and_not1_b32 s11, s11, exec_lo
	s_delay_alu instid0(VALU_DEP_2) | instskip(NEXT) | instid1(SALU_CYCLE_1)
	s_and_b32 s25, vcc_lo, exec_lo
	s_or_b32 s11, s11, s25
	s_or_b32 exec_lo, exec_lo, s26
	s_and_saveexec_b32 s25, s11
	s_cbranch_execnz .LBB4_2494
	s_branch .LBB4_2495
.LBB4_2720:                             ;   in Loop: Header=BB4_2093 Depth=2
	s_mov_b32 s11, -1
	s_mov_b32 s27, exec_lo
                                        ; implicit-def: $sgpr25
	v_cmpx_eq_u16_e64 0x80, v129
; %bb.2721:                             ;   in Loop: Header=BB4_2093 Depth=2
	s_mov_b32 s25, 0x7f800001
	s_xor_b32 s11, exec_lo, -1
; %bb.2722:                             ;   in Loop: Header=BB4_2093 Depth=2
	s_or_b32 exec_lo, exec_lo, s27
	s_delay_alu instid0(SALU_CYCLE_1)
	s_and_b32 s11, s11, exec_lo
                                        ; implicit-def: $vgpr129
	s_or_saveexec_b32 s26, s26
	v_mov_b32_e32 v116, s25
	s_xor_b32 exec_lo, exec_lo, s26
	s_cbranch_execz .LBB4_2505
.LBB4_2723:                             ;   in Loop: Header=BB4_2093 Depth=2
	v_cmp_ne_u16_e64 vcc_lo, 0, v129
	v_mov_b32_e32 v116, 0
	s_and_not1_b32 s11, s11, exec_lo
	s_delay_alu instid0(VALU_DEP_2) | instskip(NEXT) | instid1(SALU_CYCLE_1)
	s_and_b32 s25, vcc_lo, exec_lo
	s_or_b32 s11, s11, s25
	s_or_b32 exec_lo, exec_lo, s26
	s_and_saveexec_b32 s25, s11
	s_cbranch_execnz .LBB4_2506
	s_branch .LBB4_2507
.LBB4_2724:                             ;   in Loop: Header=BB4_2093 Depth=2
	s_mov_b32 s11, -1
	s_mov_b32 s27, exec_lo
                                        ; implicit-def: $sgpr25
	v_cmpx_eq_u16_e64 0x80, v129
; %bb.2725:                             ;   in Loop: Header=BB4_2093 Depth=2
	s_mov_b32 s25, 0x7f800001
	s_xor_b32 s11, exec_lo, -1
; %bb.2726:                             ;   in Loop: Header=BB4_2093 Depth=2
	s_or_b32 exec_lo, exec_lo, s27
	s_delay_alu instid0(SALU_CYCLE_1)
	s_and_b32 s11, s11, exec_lo
                                        ; implicit-def: $vgpr129
	s_or_saveexec_b32 s26, s26
	v_mov_b32_e32 v97, s25
	s_xor_b32 exec_lo, exec_lo, s26
	s_cbranch_execz .LBB4_2509
.LBB4_2727:                             ;   in Loop: Header=BB4_2093 Depth=2
	v_cmp_ne_u16_e64 vcc_lo, 0, v129
	v_mov_b32_e32 v97, 0
	s_and_not1_b32 s11, s11, exec_lo
	s_delay_alu instid0(VALU_DEP_2) | instskip(NEXT) | instid1(SALU_CYCLE_1)
	s_and_b32 s25, vcc_lo, exec_lo
	s_or_b32 s11, s11, s25
	s_or_b32 exec_lo, exec_lo, s26
	s_and_saveexec_b32 s25, s11
	s_cbranch_execnz .LBB4_2510
	s_branch .LBB4_2511
.LBB4_2728:                             ;   in Loop: Header=BB4_2093 Depth=2
	s_mov_b32 s11, -1
	s_mov_b32 s27, exec_lo
                                        ; implicit-def: $sgpr25
	v_cmpx_eq_u16_e32 0x80, v116
; %bb.2729:                             ;   in Loop: Header=BB4_2093 Depth=2
	s_mov_b32 s25, 0x7f800001
	s_xor_b32 s11, exec_lo, -1
; %bb.2730:                             ;   in Loop: Header=BB4_2093 Depth=2
	s_or_b32 exec_lo, exec_lo, s27
	s_delay_alu instid0(SALU_CYCLE_1)
	s_and_b32 s11, s11, exec_lo
                                        ; implicit-def: $vgpr116
	s_or_saveexec_b32 s26, s26
	v_mov_b32_e32 v103, s25
	s_xor_b32 exec_lo, exec_lo, s26
	s_cbranch_execz .LBB4_2521
.LBB4_2731:                             ;   in Loop: Header=BB4_2093 Depth=2
	v_cmp_ne_u16_e32 vcc_lo, 0, v116
	v_mov_b32_e32 v103, 0
	s_and_not1_b32 s11, s11, exec_lo
	s_and_b32 s25, vcc_lo, exec_lo
	s_delay_alu instid0(SALU_CYCLE_1)
	s_or_b32 s11, s11, s25
	s_or_b32 exec_lo, exec_lo, s26
	s_and_saveexec_b32 s25, s11
	s_cbranch_execnz .LBB4_2522
	s_branch .LBB4_2523
.LBB4_2732:                             ;   in Loop: Header=BB4_2093 Depth=2
	s_mov_b32 s11, -1
	s_mov_b32 s27, exec_lo
                                        ; implicit-def: $sgpr25
	v_cmpx_eq_u16_e32 0x80, v116
; %bb.2733:                             ;   in Loop: Header=BB4_2093 Depth=2
	s_mov_b32 s25, 0x7f800001
	s_xor_b32 s11, exec_lo, -1
; %bb.2734:                             ;   in Loop: Header=BB4_2093 Depth=2
	s_or_b32 exec_lo, exec_lo, s27
	s_delay_alu instid0(SALU_CYCLE_1)
	s_and_b32 s11, s11, exec_lo
                                        ; implicit-def: $vgpr116
	s_or_saveexec_b32 s26, s26
	v_mov_b32_e32 v96, s25
	s_xor_b32 exec_lo, exec_lo, s26
	s_cbranch_execz .LBB4_2525
.LBB4_2735:                             ;   in Loop: Header=BB4_2093 Depth=2
	v_cmp_ne_u16_e32 vcc_lo, 0, v116
	v_mov_b32_e32 v96, 0
	s_and_not1_b32 s11, s11, exec_lo
	s_and_b32 s25, vcc_lo, exec_lo
	s_delay_alu instid0(SALU_CYCLE_1)
	s_or_b32 s11, s11, s25
	s_or_b32 exec_lo, exec_lo, s26
	s_and_saveexec_b32 s25, s11
	s_cbranch_execnz .LBB4_2526
	s_branch .LBB4_2527
.LBB4_2736:                             ;   in Loop: Header=BB4_2093 Depth=2
	s_mov_b32 s11, -1
	s_mov_b32 s27, exec_lo
                                        ; implicit-def: $sgpr25
	v_cmpx_eq_u16_e32 0x80, v103
; %bb.2737:                             ;   in Loop: Header=BB4_2093 Depth=2
	s_mov_b32 s25, 0x7f800001
	s_xor_b32 s11, exec_lo, -1
; %bb.2738:                             ;   in Loop: Header=BB4_2093 Depth=2
	s_or_b32 exec_lo, exec_lo, s27
	s_delay_alu instid0(SALU_CYCLE_1)
	s_and_b32 s11, s11, exec_lo
                                        ; implicit-def: $vgpr103
	s_or_saveexec_b32 s26, s26
	v_mov_b32_e32 v98, s25
	s_xor_b32 exec_lo, exec_lo, s26
	s_cbranch_execz .LBB4_2537
.LBB4_2739:                             ;   in Loop: Header=BB4_2093 Depth=2
	v_cmp_ne_u16_e32 vcc_lo, 0, v103
	v_mov_b32_e32 v98, 0
	s_and_not1_b32 s11, s11, exec_lo
	s_and_b32 s25, vcc_lo, exec_lo
	s_delay_alu instid0(SALU_CYCLE_1)
	s_or_b32 s11, s11, s25
	s_or_b32 exec_lo, exec_lo, s26
	s_and_saveexec_b32 s25, s11
	s_cbranch_execnz .LBB4_2538
	s_branch .LBB4_2539
.LBB4_2740:                             ;   in Loop: Header=BB4_2093 Depth=2
	s_mov_b32 s11, -1
	s_mov_b32 s27, exec_lo
                                        ; implicit-def: $sgpr25
	v_cmpx_eq_u16_e32 0x80, v103
; %bb.2741:                             ;   in Loop: Header=BB4_2093 Depth=2
	s_mov_b32 s25, 0x7f800001
	s_xor_b32 s11, exec_lo, -1
; %bb.2742:                             ;   in Loop: Header=BB4_2093 Depth=2
	s_or_b32 exec_lo, exec_lo, s27
	s_delay_alu instid0(SALU_CYCLE_1)
	s_and_b32 s11, s11, exec_lo
                                        ; implicit-def: $vgpr103
	s_or_saveexec_b32 s26, s26
	v_mov_b32_e32 v17, s25
	s_xor_b32 exec_lo, exec_lo, s26
	s_cbranch_execz .LBB4_2541
.LBB4_2743:                             ;   in Loop: Header=BB4_2093 Depth=2
	v_cmp_ne_u16_e32 vcc_lo, 0, v103
	v_mov_b32_e32 v17, 0
	s_and_not1_b32 s11, s11, exec_lo
	s_and_b32 s25, vcc_lo, exec_lo
	s_delay_alu instid0(SALU_CYCLE_1)
	s_or_b32 s11, s11, s25
	s_or_b32 exec_lo, exec_lo, s26
	s_and_saveexec_b32 s25, s11
	s_cbranch_execnz .LBB4_2542
	s_branch .LBB4_2543
.LBB4_2744:                             ;   in Loop: Header=BB4_53 Depth=1
	s_or_b32 exec_lo, exec_lo, s24
.LBB4_2745:                             ;   in Loop: Header=BB4_53 Depth=1
	s_delay_alu instid0(SALU_CYCLE_1) | instskip(SKIP_1) | instid1(VALU_DEP_1)
	s_or_b32 exec_lo, exec_lo, s23
	v_lshlrev_b32_e32 v10, 9, v54
	v_cmp_ne_u32_e32 vcc_lo, v51, v10
	s_and_b32 exec_lo, exec_lo, vcc_lo
	s_cbranch_execz .LBB4_2800
; %bb.2746:                             ;   in Loop: Header=BB4_53 Depth=1
	v_ashrrev_i32_e32 v11, 31, v52
	v_lshlrev_b32_e32 v12, 5, v53
	s_delay_alu instid0(VALU_DEP_2) | instskip(NEXT) | instid1(VALU_DEP_1)
	v_lshrrev_b32_e32 v11, 27, v11
	v_add_nc_u32_e32 v11, v52, v11
	s_delay_alu instid0(VALU_DEP_1) | instskip(NEXT) | instid1(VALU_DEP_1)
	v_and_b32_e32 v11, 0xffffffe0, v11
	v_sub_nc_u32_e32 v11, v52, v11
	s_delay_alu instid0(VALU_DEP_1) | instskip(NEXT) | instid1(VALU_DEP_1)
	v_sub_nc_u32_e32 v11, v11, v12
	v_add_nc_u32_e32 v10, v10, v11
	s_delay_alu instid0(VALU_DEP_1) | instskip(NEXT) | instid1(VALU_DEP_1)
	v_sub_nc_u32_e32 v51, v51, v10
	v_cmp_lt_i32_e32 vcc_lo, 0, v51
	s_and_b32 exec_lo, exec_lo, vcc_lo
	s_cbranch_execz .LBB4_2800
; %bb.2747:                             ;   in Loop: Header=BB4_53 Depth=1
	s_cbranch_execz .LBB4_2748
; %bb.7891:
	s_getpc_b64 s[34:35]
.Lpost_getpc81:
	s_add_u32 s34, s34, (.LBB4_7779-.Lpost_getpc81)&4294967295
	s_addc_u32 s35, s35, (.LBB4_7779-.Lpost_getpc81)>>32
	s_setpc_b64 s[34:35]
.LBB4_2748:                             ;   in Loop: Header=BB4_53 Depth=1
	ds_load_b128 v[11:14], v0
	ds_load_b64 v[15:16], v0
	v_add_nc_u32_e32 v17, v10, v50
	s_mov_b32 s23, 0
	s_delay_alu instid0(VALU_DEP_1) | instskip(SKIP_2) | instid1(VALU_DEP_2)
	v_ashrrev_i32_e32 v50, 31, v17
	s_waitcnt lgkmcnt(1)
	v_add_co_u32 v10, vcc_lo, v11, v17
	v_add_co_ci_u32_e32 v11, vcc_lo, v12, v50, vcc_lo
	v_add_co_u32 v12, vcc_lo, v13, v17
	v_add_co_ci_u32_e32 v13, vcc_lo, v14, v50, vcc_lo
	s_waitcnt lgkmcnt(0)
	v_add_co_u32 v14, vcc_lo, v15, v17
	v_add_co_ci_u32_e32 v15, vcc_lo, v16, v50, vcc_lo
.LBB4_2749:                             ;   Parent Loop BB4_53 Depth=1
                                        ; =>  This Inner Loop Header: Depth=2
	s_cbranch_execz .LBB4_2750
; %bb.7893:
	s_getpc_b64 s[34:35]
.Lpost_getpc82:
	s_add_u32 s34, s34, (.LBB4_7781-.Lpost_getpc82)&4294967295
	s_addc_u32 s35, s35, (.LBB4_7781-.Lpost_getpc82)>>32
	s_setpc_b64 s[34:35]
.LBB4_2750:                             ;   in Loop: Header=BB4_2749 Depth=2
	ds_load_b64 v[16:17], v0
	s_waitcnt lgkmcnt(0)
	v_and_b32_e32 v17, 0xff, v16
	v_readfirstlane_b32 s11, v16
	s_delay_alu instid0(VALU_DEP_2)
	v_cmp_gt_i16_e32 vcc_lo, 0x80, v17
	s_cbranch_vccnz .LBB4_2754
; %bb.2751:                             ;   in Loop: Header=BB4_2749 Depth=2
	v_cmp_eq_u16_e32 vcc_lo, 0x80, v17
	s_mov_b32 s24, -1
                                        ; implicit-def: $sgpr25
	s_cbranch_vccz .LBB4_2753
; %bb.2752:                             ;   in Loop: Header=BB4_2749 Depth=2
	s_mov_b32 s24, 0
	s_mov_b32 s25, 0x7f800001
.LBB4_2753:                             ;   in Loop: Header=BB4_2749 Depth=2
	s_mov_b32 s26, 0
	s_branch .LBB4_2755
.LBB4_2754:                             ;   in Loop: Header=BB4_2749 Depth=2
	s_mov_b32 s26, -1
	s_mov_b32 s24, 0
                                        ; implicit-def: $sgpr25
.LBB4_2755:                             ;   in Loop: Header=BB4_2749 Depth=2
	s_and_b32 vcc_lo, exec_lo, s26
	s_cbranch_vccz .LBB4_2757
; %bb.2756:                             ;   in Loop: Header=BB4_2749 Depth=2
	v_cmp_ne_u16_e64 s24, 0, v17
	s_mov_b32 s25, 0
.LBB4_2757:                             ;   in Loop: Header=BB4_2749 Depth=2
	s_delay_alu instid0(SALU_CYCLE_1) | instskip(NEXT) | instid1(VALU_DEP_2)
	v_mov_b32_e32 v17, s25
	s_and_not1_b32 vcc_lo, exec_lo, s24
	s_cbranch_vccnz .LBB4_2759
; %bb.2758:                             ;   in Loop: Header=BB4_2749 Depth=2
	s_and_b32 s24, s11, 7
	s_bfe_u32 s26, s11, 0x40003
	s_clz_i32_u32 s25, s24
	v_lshlrev_b32_e32 v16, 24, v16
	s_min_u32 s25, s25, 32
	s_delay_alu instid0(SALU_CYCLE_1)
	s_sub_i32 s27, s25, 28
	s_sub_i32 s25, 29, s25
	s_lshl_b32 s11, s11, s27
	v_and_b32_e32 v16, 0x80000000, v16
	s_and_b32 s11, s11, 7
	s_cmp_eq_u32 s26, 0
	s_cselect_b32 s25, s25, s26
	s_cselect_b32 s11, s11, s24
	s_lshl_b32 s24, s25, 23
	s_lshl_b32 s11, s11, 20
	s_add_i32 s24, s24, 0x3b800000
	s_delay_alu instid0(SALU_CYCLE_1) | instskip(NEXT) | instid1(VALU_DEP_1)
	v_or_b32_e32 v16, s24, v16
	v_or_b32_e32 v17, s11, v16
.LBB4_2759:                             ;   in Loop: Header=BB4_2749 Depth=2
	flat_load_u8 v16, v[10:11] slc dlc
	s_mov_b32 s11, 0
	s_mov_b32 s25, exec_lo
                                        ; implicit-def: $sgpr24
	s_waitcnt vmcnt(0) lgkmcnt(0)
	v_cmpx_lt_i16_e32 0x7f, v16
	s_xor_b32 s25, exec_lo, s25
	s_cbranch_execnz .LBB4_2788
; %bb.2760:                             ;   in Loop: Header=BB4_2749 Depth=2
	s_or_saveexec_b32 s25, s25
	v_mov_b32_e32 v50, s24
	s_xor_b32 exec_lo, exec_lo, s25
	s_cbranch_execnz .LBB4_2791
.LBB4_2761:                             ;   in Loop: Header=BB4_2749 Depth=2
	s_or_b32 exec_lo, exec_lo, s25
	s_and_saveexec_b32 s24, s11
	s_cbranch_execz .LBB4_2763
.LBB4_2762:                             ;   in Loop: Header=BB4_2749 Depth=2
	v_and_b32_e32 v50, 0xffff, v16
	v_lshlrev_b32_e32 v16, 24, v16
	s_delay_alu instid0(VALU_DEP_2) | instskip(NEXT) | instid1(VALU_DEP_2)
	v_and_b32_e32 v52, 7, v50
	v_and_b32_e32 v16, 0x80000000, v16
	s_delay_alu instid0(VALU_DEP_2) | instskip(NEXT) | instid1(VALU_DEP_1)
	v_clz_i32_u32_e32 v53, v52
	v_min_u32_e32 v53, 32, v53
	s_delay_alu instid0(VALU_DEP_1) | instskip(SKIP_1) | instid1(VALU_DEP_2)
	v_subrev_nc_u32_e32 v54, 28, v53
	v_sub_nc_u32_e32 v53, 29, v53
	v_lshlrev_b32_e32 v54, v54, v50
	v_bfe_u32 v50, v50, 3, 4
	s_delay_alu instid0(VALU_DEP_2) | instskip(NEXT) | instid1(VALU_DEP_2)
	v_and_b32_e32 v54, 7, v54
	v_cmp_eq_u32_e32 vcc_lo, 0, v50
	v_cndmask_b32_e32 v50, v50, v53, vcc_lo
	s_delay_alu instid0(VALU_DEP_3) | instskip(NEXT) | instid1(VALU_DEP_2)
	v_cndmask_b32_e32 v52, v52, v54, vcc_lo
	v_lshl_add_u32 v50, v50, 23, 0x3b800000
	s_delay_alu instid0(VALU_DEP_2) | instskip(NEXT) | instid1(VALU_DEP_1)
	v_lshlrev_b32_e32 v52, 20, v52
	v_or3_b32 v50, v16, v50, v52
.LBB4_2763:                             ;   in Loop: Header=BB4_2749 Depth=2
	s_or_b32 exec_lo, exec_lo, s24
	s_delay_alu instid0(VALU_DEP_1) | instskip(SKIP_2) | instid1(VALU_DEP_2)
	v_mul_f32_e32 v16, v17, v50
	v_mov_b32_e32 v50, 0x80
	s_mov_b32 s24, exec_lo
	v_and_b32_e32 v17, 0x7f800000, v16
	s_delay_alu instid0(VALU_DEP_1)
	v_cmpx_ne_u32_e32 0x7f800000, v17
	s_cbranch_execz .LBB4_2771
; %bb.2764:                             ;   in Loop: Header=BB4_2749 Depth=2
	v_mov_b32_e32 v50, 0
	s_mov_b32 s25, exec_lo
	v_cmpx_ne_u32_e32 0, v16
	s_cbranch_execz .LBB4_2770
; %bb.2765:                             ;   in Loop: Header=BB4_2749 Depth=2
	v_bfe_u32 v17, v16, 23, 8
	v_and_b32_e32 v50, 0x7fffff, v16
	s_delay_alu instid0(VALU_DEP_2) | instskip(SKIP_1) | instid1(VALU_DEP_3)
	v_sub_nc_u32_e32 v52, 0x78, v17
	v_cmp_gt_u32_e32 vcc_lo, 0x79, v17
	v_or_b32_e32 v53, 0x800000, v50
	s_delay_alu instid0(VALU_DEP_3) | instskip(SKIP_2) | instid1(VALU_DEP_3)
	v_cndmask_b32_e32 v52, 0, v52, vcc_lo
	v_cmp_eq_u32_e32 vcc_lo, 0, v17
	v_add_nc_u32_e32 v17, 0xffffff89, v17
	v_cndmask_b32_e64 v52, v52, 0x77, vcc_lo
	v_cndmask_b32_e32 v50, v53, v50, vcc_lo
	s_delay_alu instid0(VALU_DEP_3) | instskip(NEXT) | instid1(VALU_DEP_3)
	v_cndmask_b32_e64 v17, v17, 0xffffff8a, vcc_lo
	v_lshl_add_u32 v53, 0x100000, v52, -1
	s_delay_alu instid0(VALU_DEP_3) | instskip(SKIP_1) | instid1(VALU_DEP_4)
	v_lshrrev_b32_e32 v54, v52, v50
	v_lshlrev_b32_e64 v96, v52, 0x80000
	v_add_nc_u32_e32 v52, v52, v17
	s_delay_alu instid0(VALU_DEP_4) | instskip(NEXT) | instid1(VALU_DEP_4)
	v_and_b32_e32 v50, v53, v50
	v_bfe_u32 v55, v54, 20, 1
	s_delay_alu instid0(VALU_DEP_2) | instskip(NEXT) | instid1(VALU_DEP_2)
	v_cmp_eq_u32_e64 s11, v50, v96
	v_add_nc_u32_e32 v53, -1, v55
	s_delay_alu instid0(VALU_DEP_1) | instskip(SKIP_2) | instid1(VALU_DEP_2)
	v_cndmask_b32_e64 v50, 0, v53, s11
	v_lshrrev_b32_e32 v53, 23, v54
	s_mov_b32 s11, exec_lo
	v_add_nc_u32_e32 v50, v50, v54
	s_delay_alu instid0(VALU_DEP_2) | instskip(NEXT) | instid1(VALU_DEP_2)
	v_xor_b32_e32 v53, 1, v53
	v_and_b32_e32 v17, 0xfffff, v50
	s_delay_alu instid0(VALU_DEP_1) | instskip(NEXT) | instid1(VALU_DEP_3)
	v_add_nc_u32_e32 v50, v17, v54
                                        ; implicit-def: $vgpr17
	v_cmpx_ne_u32_e64 v52, v53
	s_xor_b32 s11, exec_lo, s11
; %bb.2766:                             ;   in Loop: Header=BB4_2749 Depth=2
	s_delay_alu instid0(VALU_DEP_2) | instskip(SKIP_2) | instid1(VALU_DEP_2)
	v_cmp_lt_u32_e32 vcc_lo, 0xffffff, v50
	v_sub_nc_u32_e32 v17, v52, v53
	v_cndmask_b32_e64 v52, 0, 1, vcc_lo
	v_add_co_ci_u32_e32 v17, vcc_lo, 0, v17, vcc_lo
	s_delay_alu instid0(VALU_DEP_2)
	v_lshrrev_b32_e32 v50, v52, v50
; %bb.2767:                             ;   in Loop: Header=BB4_2749 Depth=2
	s_and_not1_saveexec_b32 s11, s11
; %bb.2768:                             ;   in Loop: Header=BB4_2749 Depth=2
	s_delay_alu instid0(VALU_DEP_1)
	v_bfe_u32 v17, v50, 23, 1
; %bb.2769:                             ;   in Loop: Header=BB4_2749 Depth=2
	s_or_b32 exec_lo, exec_lo, s11
	v_lshrrev_b32_e32 v50, 20, v50
	s_delay_alu instid0(VALU_DEP_2) | instskip(SKIP_2) | instid1(VALU_DEP_4)
	v_cmp_gt_i32_e32 vcc_lo, 16, v17
	v_lshrrev_b32_e32 v16, 24, v16
	v_min_i32_e32 v52, 15, v17
	v_cndmask_b32_e32 v50, 7, v50, vcc_lo
	s_delay_alu instid0(VALU_DEP_3) | instskip(NEXT) | instid1(VALU_DEP_3)
	v_and_b32_e32 v16, 0x80, v16
	v_lshlrev_b32_e32 v52, 3, v52
	s_delay_alu instid0(VALU_DEP_3) | instskip(NEXT) | instid1(VALU_DEP_1)
	v_or_b32_e32 v17, v17, v50
	v_cmp_ne_u32_e32 vcc_lo, 0, v17
	v_and_b32_e32 v53, 7, v50
	s_delay_alu instid0(VALU_DEP_1) | instskip(NEXT) | instid1(VALU_DEP_1)
	v_or3_b32 v16, v52, v16, v53
	v_cndmask_b32_e32 v50, 0, v16, vcc_lo
.LBB4_2770:                             ;   in Loop: Header=BB4_2749 Depth=2
	s_or_b32 exec_lo, exec_lo, s25
.LBB4_2771:                             ;   in Loop: Header=BB4_2749 Depth=2
	s_delay_alu instid0(SALU_CYCLE_1) | instskip(SKIP_4) | instid1(VALU_DEP_1)
	s_or_b32 exec_lo, exec_lo, s24
	flat_load_u8 v16, v[12:13] slc dlc
	v_and_b32_e32 v52, 0xff, v50
	s_mov_b32 s11, 0
	s_mov_b32 s25, exec_lo
                                        ; implicit-def: $sgpr24
	v_cmpx_lt_i16_e32 0x7f, v52
	s_xor_b32 s25, exec_lo, s25
	s_cbranch_execnz .LBB4_2792
; %bb.2772:                             ;   in Loop: Header=BB4_2749 Depth=2
	s_or_saveexec_b32 s25, s25
	v_mov_b32_e32 v17, s24
	s_xor_b32 exec_lo, exec_lo, s25
	s_cbranch_execnz .LBB4_2795
.LBB4_2773:                             ;   in Loop: Header=BB4_2749 Depth=2
	s_or_b32 exec_lo, exec_lo, s25
	s_and_saveexec_b32 s24, s11
	s_cbranch_execz .LBB4_2775
.LBB4_2774:                             ;   in Loop: Header=BB4_2749 Depth=2
	v_lshrrev_b16 v54, 3, v50
	s_delay_alu instid0(VALU_DEP_1) | instskip(NEXT) | instid1(VALU_DEP_1)
	v_and_b32_e32 v54, 15, v54
	v_cmp_eq_u32_e32 vcc_lo, 0, v54
	v_and_b32_e32 v17, 7, v50
	s_delay_alu instid0(VALU_DEP_1) | instskip(NEXT) | instid1(VALU_DEP_1)
	v_clz_i32_u32_e32 v52, v17
	v_min_u32_e32 v52, 32, v52
	s_delay_alu instid0(VALU_DEP_1) | instskip(SKIP_1) | instid1(VALU_DEP_1)
	v_subrev_nc_u32_e32 v53, 28, v52
	v_sub_nc_u32_e32 v52, 29, v52
	v_dual_cndmask_b32 v52, v54, v52 :: v_dual_lshlrev_b32 v53, v53, v50
	v_lshlrev_b32_e32 v50, 24, v50
	s_delay_alu instid0(VALU_DEP_2) | instskip(NEXT) | instid1(VALU_DEP_3)
	v_and_b32_e32 v53, 7, v53
	v_lshl_add_u32 v52, v52, 23, 0x3b800000
	s_delay_alu instid0(VALU_DEP_2) | instskip(NEXT) | instid1(VALU_DEP_1)
	v_dual_cndmask_b32 v17, v17, v53 :: v_dual_and_b32 v50, 0x80000000, v50
	v_lshlrev_b32_e32 v17, 20, v17
	s_delay_alu instid0(VALU_DEP_1)
	v_or3_b32 v17, v50, v52, v17
.LBB4_2775:                             ;   in Loop: Header=BB4_2749 Depth=2
	s_or_b32 exec_lo, exec_lo, s24
	s_waitcnt vmcnt(0) lgkmcnt(0)
	v_and_b32_e32 v52, 0xff, v16
	s_mov_b32 s11, 0
	s_mov_b32 s25, exec_lo
                                        ; implicit-def: $sgpr24
	s_delay_alu instid0(VALU_DEP_1)
	v_cmpx_lt_i16_e32 0x7f, v52
	s_xor_b32 s25, exec_lo, s25
	s_cbranch_execnz .LBB4_2796
; %bb.2776:                             ;   in Loop: Header=BB4_2749 Depth=2
	s_or_saveexec_b32 s25, s25
	v_mov_b32_e32 v50, s24
	s_xor_b32 exec_lo, exec_lo, s25
	s_cbranch_execnz .LBB4_2799
.LBB4_2777:                             ;   in Loop: Header=BB4_2749 Depth=2
	s_or_b32 exec_lo, exec_lo, s25
	s_and_saveexec_b32 s24, s11
	s_cbranch_execz .LBB4_2779
.LBB4_2778:                             ;   in Loop: Header=BB4_2749 Depth=2
	v_and_b32_e32 v50, 7, v16
	v_lshrrev_b16 v54, 3, v16
	s_delay_alu instid0(VALU_DEP_2) | instskip(NEXT) | instid1(VALU_DEP_2)
	v_clz_i32_u32_e32 v52, v50
	v_and_b32_e32 v54, 15, v54
	s_delay_alu instid0(VALU_DEP_2) | instskip(NEXT) | instid1(VALU_DEP_2)
	v_min_u32_e32 v52, 32, v52
	v_cmp_eq_u32_e32 vcc_lo, 0, v54
	s_delay_alu instid0(VALU_DEP_2) | instskip(SKIP_1) | instid1(VALU_DEP_2)
	v_subrev_nc_u32_e32 v53, 28, v52
	v_sub_nc_u32_e32 v52, 29, v52
	v_lshlrev_b32_e32 v53, v53, v16
	v_lshlrev_b32_e32 v16, 24, v16
	s_delay_alu instid0(VALU_DEP_2) | instskip(NEXT) | instid1(VALU_DEP_2)
	v_dual_cndmask_b32 v52, v54, v52 :: v_dual_and_b32 v53, 7, v53
	v_and_b32_e32 v16, 0x80000000, v16
	s_delay_alu instid0(VALU_DEP_2) | instskip(NEXT) | instid1(VALU_DEP_3)
	v_lshl_add_u32 v52, v52, 23, 0x3b800000
	v_cndmask_b32_e32 v50, v50, v53, vcc_lo
	s_delay_alu instid0(VALU_DEP_1) | instskip(NEXT) | instid1(VALU_DEP_1)
	v_lshlrev_b32_e32 v50, 20, v50
	v_or3_b32 v50, v16, v52, v50
.LBB4_2779:                             ;   in Loop: Header=BB4_2749 Depth=2
	s_or_b32 exec_lo, exec_lo, s24
	s_delay_alu instid0(VALU_DEP_1) | instskip(NEXT) | instid1(VALU_DEP_1)
	v_add_f32_e32 v16, v17, v50
	v_and_b32_e32 v17, 0x7f800000, v16
	s_delay_alu instid0(VALU_DEP_1)
	v_cmp_ne_u32_e32 vcc_lo, 0x7f800000, v17
	v_mov_b32_e32 v17, 0x80
	s_and_saveexec_b32 s24, vcc_lo
	s_cbranch_execz .LBB4_2787
; %bb.2780:                             ;   in Loop: Header=BB4_2749 Depth=2
	v_mov_b32_e32 v17, 0
	s_mov_b32 s25, exec_lo
	v_cmpx_ne_u32_e32 0, v16
	s_cbranch_execz .LBB4_2786
; %bb.2781:                             ;   in Loop: Header=BB4_2749 Depth=2
	v_bfe_u32 v17, v16, 23, 8
	v_and_b32_e32 v50, 0x7fffff, v16
	s_delay_alu instid0(VALU_DEP_2) | instskip(SKIP_1) | instid1(VALU_DEP_3)
	v_sub_nc_u32_e32 v52, 0x78, v17
	v_cmp_gt_u32_e32 vcc_lo, 0x79, v17
	v_or_b32_e32 v53, 0x800000, v50
	s_delay_alu instid0(VALU_DEP_3) | instskip(SKIP_2) | instid1(VALU_DEP_3)
	v_cndmask_b32_e32 v52, 0, v52, vcc_lo
	v_cmp_eq_u32_e32 vcc_lo, 0, v17
	v_add_nc_u32_e32 v17, 0xffffff89, v17
	v_cndmask_b32_e64 v52, v52, 0x77, vcc_lo
	v_cndmask_b32_e32 v50, v53, v50, vcc_lo
	s_delay_alu instid0(VALU_DEP_3) | instskip(NEXT) | instid1(VALU_DEP_3)
	v_cndmask_b32_e64 v17, v17, 0xffffff8a, vcc_lo
	v_lshl_add_u32 v53, 0x100000, v52, -1
	s_delay_alu instid0(VALU_DEP_3) | instskip(SKIP_1) | instid1(VALU_DEP_4)
	v_lshrrev_b32_e32 v54, v52, v50
	v_lshlrev_b32_e64 v96, v52, 0x80000
	v_add_nc_u32_e32 v52, v52, v17
	s_delay_alu instid0(VALU_DEP_4) | instskip(NEXT) | instid1(VALU_DEP_4)
	v_and_b32_e32 v50, v53, v50
	v_bfe_u32 v55, v54, 20, 1
	s_delay_alu instid0(VALU_DEP_2) | instskip(NEXT) | instid1(VALU_DEP_2)
	v_cmp_eq_u32_e64 s11, v50, v96
	v_add_nc_u32_e32 v53, -1, v55
	s_delay_alu instid0(VALU_DEP_1) | instskip(SKIP_2) | instid1(VALU_DEP_2)
	v_cndmask_b32_e64 v50, 0, v53, s11
	v_lshrrev_b32_e32 v53, 23, v54
	s_mov_b32 s11, exec_lo
	v_add_nc_u32_e32 v50, v50, v54
	s_delay_alu instid0(VALU_DEP_2) | instskip(NEXT) | instid1(VALU_DEP_2)
	v_xor_b32_e32 v53, 1, v53
	v_and_b32_e32 v17, 0xfffff, v50
	s_delay_alu instid0(VALU_DEP_1) | instskip(NEXT) | instid1(VALU_DEP_3)
	v_add_nc_u32_e32 v50, v17, v54
                                        ; implicit-def: $vgpr17
	v_cmpx_ne_u32_e64 v52, v53
	s_xor_b32 s11, exec_lo, s11
; %bb.2782:                             ;   in Loop: Header=BB4_2749 Depth=2
	s_delay_alu instid0(VALU_DEP_2) | instskip(SKIP_2) | instid1(VALU_DEP_2)
	v_cmp_lt_u32_e32 vcc_lo, 0xffffff, v50
	v_sub_nc_u32_e32 v17, v52, v53
	v_cndmask_b32_e64 v52, 0, 1, vcc_lo
	v_add_co_ci_u32_e32 v17, vcc_lo, 0, v17, vcc_lo
	s_delay_alu instid0(VALU_DEP_2)
	v_lshrrev_b32_e32 v50, v52, v50
; %bb.2783:                             ;   in Loop: Header=BB4_2749 Depth=2
	s_and_not1_saveexec_b32 s11, s11
; %bb.2784:                             ;   in Loop: Header=BB4_2749 Depth=2
	s_delay_alu instid0(VALU_DEP_1)
	v_bfe_u32 v17, v50, 23, 1
; %bb.2785:                             ;   in Loop: Header=BB4_2749 Depth=2
	s_or_b32 exec_lo, exec_lo, s11
	v_lshrrev_b32_e32 v50, 20, v50
	s_delay_alu instid0(VALU_DEP_2) | instskip(SKIP_2) | instid1(VALU_DEP_4)
	v_cmp_gt_i32_e32 vcc_lo, 16, v17
	v_lshrrev_b32_e32 v16, 24, v16
	v_min_i32_e32 v52, 15, v17
	v_cndmask_b32_e32 v50, 7, v50, vcc_lo
	s_delay_alu instid0(VALU_DEP_3) | instskip(NEXT) | instid1(VALU_DEP_3)
	v_and_b32_e32 v16, 0x80, v16
	v_lshlrev_b32_e32 v52, 3, v52
	s_delay_alu instid0(VALU_DEP_3) | instskip(SKIP_1) | instid1(VALU_DEP_2)
	v_and_b32_e32 v53, 7, v50
	v_or_b32_e32 v17, v17, v50
	v_or3_b32 v16, v52, v16, v53
	s_delay_alu instid0(VALU_DEP_2) | instskip(NEXT) | instid1(VALU_DEP_2)
	v_cmp_ne_u32_e32 vcc_lo, 0, v17
	v_cndmask_b32_e32 v17, 0, v16, vcc_lo
.LBB4_2786:                             ;   in Loop: Header=BB4_2749 Depth=2
	s_or_b32 exec_lo, exec_lo, s25
.LBB4_2787:                             ;   in Loop: Header=BB4_2749 Depth=2
	s_delay_alu instid0(SALU_CYCLE_1)
	s_or_b32 exec_lo, exec_lo, s24
	v_add_co_u32 v10, vcc_lo, v10, v83
	v_sub_nc_u32_e32 v51, v51, v83
	v_add_co_ci_u32_e32 v11, vcc_lo, v11, v86, vcc_lo
	v_add_co_u32 v12, vcc_lo, v12, v83
	v_add_co_ci_u32_e32 v13, vcc_lo, v13, v86, vcc_lo
	flat_store_b8 v[14:15], v17 glc slc dlc
	v_cmp_gt_i32_e32 vcc_lo, 1, v51
	v_add_co_u32 v14, s11, v14, v83
	s_delay_alu instid0(VALU_DEP_1) | instskip(SKIP_1) | instid1(SALU_CYCLE_1)
	v_add_co_ci_u32_e64 v15, s11, v15, v86, s11
	s_or_b32 s23, vcc_lo, s23
	s_and_not1_b32 exec_lo, exec_lo, s23
	s_cbranch_execnz .LBB4_2749
	s_branch .LBB4_2800
.LBB4_2788:                             ;   in Loop: Header=BB4_2749 Depth=2
	s_mov_b32 s11, -1
	s_mov_b32 s26, exec_lo
                                        ; implicit-def: $sgpr24
	v_cmpx_eq_u16_e32 0x80, v16
; %bb.2789:                             ;   in Loop: Header=BB4_2749 Depth=2
	s_mov_b32 s24, 0x7f800001
	s_xor_b32 s11, exec_lo, -1
; %bb.2790:                             ;   in Loop: Header=BB4_2749 Depth=2
	s_or_b32 exec_lo, exec_lo, s26
	s_delay_alu instid0(SALU_CYCLE_1)
	s_and_b32 s11, s11, exec_lo
	s_or_saveexec_b32 s25, s25
	v_mov_b32_e32 v50, s24
	s_xor_b32 exec_lo, exec_lo, s25
	s_cbranch_execz .LBB4_2761
.LBB4_2791:                             ;   in Loop: Header=BB4_2749 Depth=2
	v_cmp_ne_u16_e32 vcc_lo, 0, v16
	v_mov_b32_e32 v50, 0
	s_and_not1_b32 s11, s11, exec_lo
	s_and_b32 s24, vcc_lo, exec_lo
	s_delay_alu instid0(SALU_CYCLE_1)
	s_or_b32 s11, s11, s24
	s_or_b32 exec_lo, exec_lo, s25
	s_and_saveexec_b32 s24, s11
	s_cbranch_execnz .LBB4_2762
	s_branch .LBB4_2763
.LBB4_2792:                             ;   in Loop: Header=BB4_2749 Depth=2
	s_mov_b32 s11, -1
	s_mov_b32 s26, exec_lo
                                        ; implicit-def: $sgpr24
	v_cmpx_eq_u16_e32 0x80, v52
; %bb.2793:                             ;   in Loop: Header=BB4_2749 Depth=2
	s_mov_b32 s24, 0x7f800001
	s_xor_b32 s11, exec_lo, -1
; %bb.2794:                             ;   in Loop: Header=BB4_2749 Depth=2
	s_or_b32 exec_lo, exec_lo, s26
	s_delay_alu instid0(SALU_CYCLE_1)
	s_and_b32 s11, s11, exec_lo
                                        ; implicit-def: $vgpr52
	s_or_saveexec_b32 s25, s25
	v_mov_b32_e32 v17, s24
	s_xor_b32 exec_lo, exec_lo, s25
	s_cbranch_execz .LBB4_2773
.LBB4_2795:                             ;   in Loop: Header=BB4_2749 Depth=2
	v_cmp_ne_u16_e32 vcc_lo, 0, v52
	v_mov_b32_e32 v17, 0
	s_and_not1_b32 s11, s11, exec_lo
	s_and_b32 s24, vcc_lo, exec_lo
	s_delay_alu instid0(SALU_CYCLE_1)
	s_or_b32 s11, s11, s24
	s_or_b32 exec_lo, exec_lo, s25
	s_and_saveexec_b32 s24, s11
	s_cbranch_execnz .LBB4_2774
	s_branch .LBB4_2775
.LBB4_2796:                             ;   in Loop: Header=BB4_2749 Depth=2
	s_mov_b32 s11, -1
	s_mov_b32 s26, exec_lo
                                        ; implicit-def: $sgpr24
	v_cmpx_eq_u16_e32 0x80, v52
; %bb.2797:                             ;   in Loop: Header=BB4_2749 Depth=2
	s_mov_b32 s24, 0x7f800001
	s_xor_b32 s11, exec_lo, -1
; %bb.2798:                             ;   in Loop: Header=BB4_2749 Depth=2
	s_or_b32 exec_lo, exec_lo, s26
	s_delay_alu instid0(SALU_CYCLE_1)
	s_and_b32 s11, s11, exec_lo
                                        ; implicit-def: $vgpr52
	s_or_saveexec_b32 s25, s25
	v_mov_b32_e32 v50, s24
	s_xor_b32 exec_lo, exec_lo, s25
	s_cbranch_execz .LBB4_2777
.LBB4_2799:                             ;   in Loop: Header=BB4_2749 Depth=2
	v_cmp_ne_u16_e32 vcc_lo, 0, v52
	v_mov_b32_e32 v50, 0
	s_and_not1_b32 s11, s11, exec_lo
	s_and_b32 s24, vcc_lo, exec_lo
	s_delay_alu instid0(SALU_CYCLE_1)
	s_or_b32 s11, s11, s24
	s_or_b32 exec_lo, exec_lo, s25
	s_and_saveexec_b32 s24, s11
	s_cbranch_execnz .LBB4_2778
	s_branch .LBB4_2779
.LBB4_2800:                             ;   in Loop: Header=BB4_53 Depth=1
	s_or_b32 exec_lo, exec_lo, s12
	v_cmp_ne_u32_e64 s11, 0, v36
.LBB4_2801:                             ;   in Loop: Header=BB4_53 Depth=1
	s_and_saveexec_b32 s12, s3
	s_cbranch_execz .LBB4_2823
; %bb.2802:                             ;   in Loop: Header=BB4_53 Depth=1
	s_and_saveexec_b32 s23, s4
	s_delay_alu instid0(SALU_CYCLE_1)
	s_xor_b32 s23, exec_lo, s23
	s_cbranch_execz .LBB4_2820
; %bb.2803:                             ;   in Loop: Header=BB4_53 Depth=1
	s_and_saveexec_b32 s24, s5
	s_cbranch_execz .LBB4_2819
; %bb.2804:                             ;   in Loop: Header=BB4_53 Depth=1
	s_mov_b32 s26, exec_lo
	s_mov_b32 s25, exec_lo
	v_mbcnt_lo_u32_b32 v10, s26, 0
	s_waitcnt lgkmcnt(0)
	s_waitcnt_vscnt null, 0x0
	buffer_gl1_inv
	buffer_gl0_inv
	v_cmpx_eq_u32_e32 0, v10
	s_cbranch_execz .LBB4_2806
; %bb.2805:                             ;   in Loop: Header=BB4_53 Depth=1
	s_bcnt1_i32_b32 s26, s26
	s_delay_alu instid0(SALU_CYCLE_1)
	v_mov_b32_e32 v36, s26
	ds_add_u64 v0, v[36:37]
	s_cbranch_execz .LBB4_2806
; %bb.7895:
	s_getpc_b64 s[34:35]
.Lpost_getpc83:
	s_add_u32 s34, s34, (.LBB4_7761-.Lpost_getpc83)&4294967295
	s_addc_u32 s35, s35, (.LBB4_7761-.Lpost_getpc83)>>32
	s_setpc_b64 s[34:35]
.LBB4_2806:                             ;   in Loop: Header=BB4_53 Depth=1
	s_or_b32 exec_lo, exec_lo, s25
	s_cbranch_execz .LBB4_2807
; %bb.7897:
	s_getpc_b64 s[34:35]
.Lpost_getpc84:
	s_add_u32 s34, s34, (.LBB4_7745-.Lpost_getpc84)&4294967295
	s_addc_u32 s35, s35, (.LBB4_7745-.Lpost_getpc84)>>32
	s_setpc_b64 s[34:35]
.LBB4_2807:                             ;   in Loop: Header=BB4_53 Depth=1
	ds_load_b64 v[10:11], v0
	v_add_co_u32 v28, vcc_lo, v28, v67
	v_add_co_ci_u32_e32 v29, vcc_lo, 0, v29, vcc_lo
	s_mov_b32 s25, exec_lo
	s_waitcnt lgkmcnt(0)
	s_delay_alu instid0(VALU_DEP_1)
	v_cmpx_lt_u64_e64 v[10:11], v[28:29]
	s_cbranch_execz .LBB4_2818
; %bb.2808:                             ;   in Loop: Header=BB4_53 Depth=1
	s_mov_b32 s26, 0
	s_mov_b32 s29, 0
                                        ; implicit-def: $sgpr27
                                        ; implicit-def: $sgpr28
	s_branch .LBB4_2810
.LBB4_2809:                             ;   in Loop: Header=BB4_2810 Depth=2
	s_or_b32 exec_lo, exec_lo, s30
	s_delay_alu instid0(SALU_CYCLE_1) | instskip(NEXT) | instid1(SALU_CYCLE_1)
	s_and_b32 vcc_lo, exec_lo, vcc_lo
	s_or_b32 s26, vcc_lo, s26
	s_and_not1_b32 s27, s27, exec_lo
	s_and_b32 vcc_lo, s28, exec_lo
	s_delay_alu instid0(SALU_CYCLE_1)
	s_or_b32 s27, s27, vcc_lo
	s_and_not1_b32 exec_lo, exec_lo, s26
	s_cbranch_execz .LBB4_2816
.LBB4_2810:                             ;   Parent Loop BB4_53 Depth=1
                                        ; =>  This Inner Loop Header: Depth=2
	s_add_i32 s29, s29, 1
                                        ; implicit-def: $sgpr30
	s_delay_alu instid0(SALU_CYCLE_1) | instskip(SKIP_1) | instid1(SALU_CYCLE_1)
	s_cmpk_lg_i32 s29, 0x2710
	s_cselect_b32 vcc_hi, -1, 0
	s_and_b32 vcc_lo, exec_lo, vcc_hi
	s_cbranch_vccz .LBB4_2814
.LBB4_2811:                             ;   in Loop: Header=BB4_2810 Depth=2
	s_and_not1_b32 s28, s28, exec_lo
	s_and_b32 s30, s30, exec_lo
	s_mov_b32 vcc_lo, -1
	s_or_b32 s28, s28, s30
	s_and_saveexec_b32 s30, vcc_hi
	s_cbranch_execz .LBB4_2809
; %bb.2812:                             ;   in Loop: Header=BB4_2810 Depth=2
	s_sleep 1
	s_cbranch_execz .LBB4_2813
; %bb.7899:
	s_getpc_b64 s[34:35]
.Lpost_getpc85:
	s_add_u32 s34, s34, (.LBB4_7785-.Lpost_getpc85)&4294967295
	s_addc_u32 s35, s35, (.LBB4_7785-.Lpost_getpc85)>>32
	s_setpc_b64 s[34:35]
.LBB4_2813:                             ;   in Loop: Header=BB4_2810 Depth=2
	ds_load_b64 v[10:11], v0
	s_and_not1_b32 s28, s28, exec_lo
	s_waitcnt lgkmcnt(0)
	v_cmp_ge_u64_e32 vcc_lo, v[10:11], v[28:29]
	s_or_not1_b32 vcc_lo, vcc_lo, exec_lo
	s_branch .LBB4_2809
.LBB4_2814:                             ;   in Loop: Header=BB4_2810 Depth=2
	s_cbranch_execz .LBB4_2815
; %bb.7901:
	s_getpc_b64 s[34:35]
.Lpost_getpc86:
	s_add_u32 s34, s34, (.LBB4_7791-.Lpost_getpc86)&4294967295
	s_addc_u32 s35, s35, (.LBB4_7791-.Lpost_getpc86)>>32
	s_setpc_b64 s[34:35]
.LBB4_2815:                             ;   in Loop: Header=BB4_2810 Depth=2
	ds_load_b64 v[10:11], v0
	s_mov_b32 s29, 0
	s_mov_b32 s30, -1
	s_waitcnt lgkmcnt(0)
	flat_load_b32 v10, v[10:11] glc
	s_waitcnt vmcnt(0) lgkmcnt(0)
	buffer_gl1_inv
	buffer_gl0_inv
	v_cmp_eq_u32_e32 vcc_lo, 0, v10
	s_and_not1_b32 vcc_hi, vcc_hi, exec_lo
	s_and_b32 vcc_lo, vcc_lo, exec_lo
	s_delay_alu instid0(SALU_CYCLE_1)
	s_or_b32 vcc_hi, vcc_hi, vcc_lo
	s_branch .LBB4_2811
.LBB4_2816:                             ;   in Loop: Header=BB4_53 Depth=1
	s_or_b32 exec_lo, exec_lo, s26
	s_and_saveexec_b32 s26, s27
	s_delay_alu instid0(SALU_CYCLE_1)
	s_xor_b32 s26, exec_lo, s26
	s_cbranch_execz .LBB4_2818
; %bb.2817:                             ;   in Loop: Header=BB4_53 Depth=1
	ds_store_b32 v0, v87
	s_cbranch_execz .LBB4_2818
; %bb.7903:
	s_getpc_b64 s[34:35]
.Lpost_getpc87:
	s_add_u32 s34, s34, (.LBB4_7815-.Lpost_getpc87)&4294967295
	s_addc_u32 s35, s35, (.LBB4_7815-.Lpost_getpc87)>>32
	s_setpc_b64 s[34:35]
.LBB4_2818:                             ;   in Loop: Header=BB4_53 Depth=1
	s_or_b32 exec_lo, exec_lo, s25
	;;#ASMSTART
	s_wakeup
	;;#ASMEND
.LBB4_2819:                             ;   in Loop: Header=BB4_53 Depth=1
	s_or_b32 exec_lo, exec_lo, s24
.LBB4_2820:                             ;   in Loop: Header=BB4_53 Depth=1
	s_and_not1_saveexec_b32 s23, s23
	s_cbranch_execz .LBB4_2822
; %bb.2821:                             ;   in Loop: Header=BB4_53 Depth=1
	s_waitcnt lgkmcnt(0)
	s_waitcnt_vscnt null, 0x0
	buffer_gl1_inv
	buffer_gl0_inv
	s_barrier
.LBB4_2822:                             ;   in Loop: Header=BB4_53 Depth=1
	s_or_b32 exec_lo, exec_lo, s23
.LBB4_2823:                             ;   in Loop: Header=BB4_53 Depth=1
	s_delay_alu instid0(SALU_CYCLE_1) | instskip(SKIP_1) | instid1(VALU_DEP_1)
	s_or_b32 exec_lo, exec_lo, s12
	v_and_b32_e32 v10, 16, v64
	v_cmp_ne_u32_e32 vcc_lo, 0, v10
	s_and_b32 s12, vcc_lo, s11
	s_delay_alu instid0(SALU_CYCLE_1)
	s_and_saveexec_b32 s11, s12
	s_cbranch_execz .LBB4_2825
; %bb.2824:                             ;   in Loop: Header=BB4_53 Depth=1
	s_waitcnt lgkmcnt(0)
	s_waitcnt_vscnt null, 0x0
	buffer_gl1_inv
	buffer_gl0_inv
.LBB4_2825:                             ;   in Loop: Header=BB4_53 Depth=1
	s_or_b32 exec_lo, exec_lo, s11
	v_cmp_ne_u32_e32 vcc_lo, 0, v10
	s_xor_b32 s11, s10, -1
	s_delay_alu instid0(SALU_CYCLE_1) | instskip(NEXT) | instid1(SALU_CYCLE_1)
	s_and_b32 s12, vcc_lo, s11
	s_and_saveexec_b32 s11, s12
	s_cbranch_execz .LBB4_2827
; %bb.2826:                             ;   in Loop: Header=BB4_53 Depth=1
	s_waitcnt lgkmcnt(0)
	s_waitcnt_vscnt null, 0x0
	flat_store_b32 v[34:35], v87
.LBB4_2827:                             ;   in Loop: Header=BB4_53 Depth=1
	s_or_b32 exec_lo, exec_lo, s11
	v_and_b32_e32 v10, 48, v64
	s_mov_b32 s11, exec_lo
	s_delay_alu instid0(VALU_DEP_1)
	v_cmpx_ne_u32_e32 0, v10
	s_cbranch_execz .LBB4_2829
; %bb.2828:                             ;   in Loop: Header=BB4_53 Depth=1
	v_add_co_u32 v8, vcc_lo, v8, 1
	v_add_co_ci_u32_e32 v9, vcc_lo, 0, v9, vcc_lo
	s_waitcnt lgkmcnt(0)
	s_waitcnt_vscnt null, 0x0
	flat_store_b64 v[22:23], v[8:9]
.LBB4_2829:                             ;   in Loop: Header=BB4_53 Depth=1
	s_or_b32 exec_lo, exec_lo, s11
	v_mov_b32_e32 v12, v49
.LBB4_2830:                             ;   in Loop: Header=BB4_53 Depth=1
	s_or_b32 exec_lo, exec_lo, s22
	s_and_saveexec_b32 s12, s21
	s_cbranch_execz .LBB4_2890
; %bb.2831:                             ;   in Loop: Header=BB4_53 Depth=1
	v_and_b32_e32 v10, 12, v64
	s_mov_b32 s21, -1
	s_mov_b32 s11, exec_lo
	s_delay_alu instid0(VALU_DEP_1)
	v_cmpx_ne_u32_e32 0, v10
	s_cbranch_execz .LBB4_2845
; %bb.2832:                             ;   in Loop: Header=BB4_53 Depth=1
	v_and_b32_e32 v13, 8, v64
	s_delay_alu instid0(VALU_DEP_1) | instskip(SKIP_3) | instid1(VALU_DEP_1)
	v_add_co_u32 v14, vcc_lo, v26, v13
	v_add_co_ci_u32_e32 v15, vcc_lo, 0, v27, vcc_lo
	v_add_co_u32 v10, vcc_lo, v8, 1
	v_add_co_ci_u32_e32 v11, vcc_lo, 0, v9, vcc_lo
	v_cmp_lt_u64_e32 vcc_lo, v[14:15], v[10:11]
	v_mov_b32_e32 v14, 1
	s_and_saveexec_b32 s21, vcc_lo
	s_cbranch_execz .LBB4_2844
; %bb.2833:                             ;   in Loop: Header=BB4_53 Depth=1
	v_mov_b32_e32 v14, 0
	s_mov_b32 s22, 0
                                        ; implicit-def: $sgpr23
	s_branch .LBB4_2837
.LBB4_2834:                             ;   in Loop: Header=BB4_2837 Depth=2
	s_or_b32 exec_lo, exec_lo, s27
	v_mov_b32_e32 v15, 0
	s_or_not1_b32 s26, s26, exec_lo
.LBB4_2835:                             ;   in Loop: Header=BB4_2837 Depth=2
	s_or_b32 exec_lo, exec_lo, s25
	s_delay_alu instid0(VALU_DEP_1) | instskip(SKIP_2) | instid1(SALU_CYCLE_1)
	v_mov_b32_e32 v14, v15
	s_and_not1_b32 s23, s23, exec_lo
	s_and_b32 s25, s26, exec_lo
	s_or_b32 s23, s23, s25
.LBB4_2836:                             ;   in Loop: Header=BB4_2837 Depth=2
	s_or_b32 exec_lo, exec_lo, s24
	s_waitcnt vmcnt(0) lgkmcnt(0)
	v_add_co_u32 v15, vcc_lo, v26, v13
	v_add_co_ci_u32_e32 v16, vcc_lo, 0, v27, vcc_lo
	s_xor_b32 s24, s23, -1
	s_delay_alu instid0(VALU_DEP_1) | instskip(SKIP_1) | instid1(SALU_CYCLE_1)
	v_cmp_ge_u64_e32 vcc_lo, v[15:16], v[10:11]
	s_or_b32 s24, s24, vcc_lo
	s_and_b32 s24, exec_lo, s24
	s_delay_alu instid0(SALU_CYCLE_1) | instskip(NEXT) | instid1(SALU_CYCLE_1)
	s_or_b32 s22, s24, s22
	s_and_not1_b32 exec_lo, exec_lo, s22
	s_cbranch_execz .LBB4_2843
.LBB4_2837:                             ;   Parent Loop BB4_53 Depth=1
                                        ; =>  This Inner Loop Header: Depth=2
	s_sleep 1
	flat_load_b64 v[26:27], v[22:23] glc
	v_and_b32_e32 v15, 64, v64
	s_and_not1_b32 s23, s23, exec_lo
	s_mov_b32 s24, exec_lo
	s_delay_alu instid0(VALU_DEP_1)
	v_cmpx_eq_u32_e32 0, v15
	s_cbranch_execz .LBB4_2836
; %bb.2838:                             ;   in Loop: Header=BB4_2837 Depth=2
	v_add_nc_u32_e32 v15, 1, v14
	s_mov_b32 s26, -1
	s_mov_b32 s25, exec_lo
	v_cmpx_lt_i32_e32 0x270e, v14
	s_cbranch_execz .LBB4_2835
; %bb.2839:                             ;   in Loop: Header=BB4_2837 Depth=2
	s_cbranch_execz .LBB4_2840
; %bb.7905:
	s_getpc_b64 s[34:35]
.Lpost_getpc88:
	s_add_u32 s34, s34, (.LBB4_7627-.Lpost_getpc88)&4294967295
	s_addc_u32 s35, s35, (.LBB4_7627-.Lpost_getpc88)>>32
	s_setpc_b64 s[34:35]
.LBB4_2840:                             ;   in Loop: Header=BB4_2837 Depth=2
	ds_load_b64 v[14:15], v0
	s_mov_b32 s27, exec_lo
	s_waitcnt vmcnt(0) lgkmcnt(0)
	s_waitcnt_vscnt null, 0x0
	flat_load_b32 v14, v[14:15] glc
	s_waitcnt vmcnt(0) lgkmcnt(0)
	buffer_gl1_inv
	buffer_gl0_inv
	v_cmpx_ne_u32_e32 0, v14
	s_cbranch_execz .LBB4_2834
; %bb.2841:                             ;   in Loop: Header=BB4_2837 Depth=2
	ds_store_b32 v0, v14
	s_cbranch_execz .LBB4_2842
; %bb.7907:
	s_getpc_b64 s[34:35]
.Lpost_getpc89:
	s_add_u32 s34, s34, (.LBB4_7651-.Lpost_getpc89)&4294967295
	s_addc_u32 s35, s35, (.LBB4_7651-.Lpost_getpc89)>>32
	s_setpc_b64 s[34:35]
.LBB4_2842:                             ;   in Loop: Header=BB4_2837 Depth=2
	v_or_b32_e32 v64, 64, v64
	s_xor_b32 s26, exec_lo, -1
	s_branch .LBB4_2834
.LBB4_2843:                             ;   in Loop: Header=BB4_53 Depth=1
	s_or_b32 exec_lo, exec_lo, s22
	v_and_b32_e32 v14, 12, v64
.LBB4_2844:                             ;   in Loop: Header=BB4_53 Depth=1
	s_or_b32 exec_lo, exec_lo, s21
	s_delay_alu instid0(VALU_DEP_1)
	v_cmp_eq_u32_e32 vcc_lo, 0, v14
	;;#ASMSTART
	s_wakeup
	;;#ASMEND
	s_or_not1_b32 s21, vcc_lo, exec_lo
.LBB4_2845:                             ;   in Loop: Header=BB4_53 Depth=1
	s_or_b32 exec_lo, exec_lo, s11
	v_sub_nc_u32_e32 v10, v48, v12
	s_xor_b32 s11, s21, -1
	s_delay_alu instid0(VALU_DEP_1)
	v_min_i32_e32 v10, v49, v10
	s_and_saveexec_b32 s21, s11
	s_cbranch_execz .LBB4_2860
; %bb.2846:                             ;   in Loop: Header=BB4_53 Depth=1
	v_and_b32_e32 v11, 0x108, v64
	s_mov_b32 s11, exec_lo
	s_delay_alu instid0(VALU_DEP_1)
	v_cmpx_ne_u32_e32 0x108, v11
	s_xor_b32 s11, exec_lo, s11
                                        ; implicit-def: $vgpr12_vgpr13
; %bb.2847:                             ;   in Loop: Header=BB4_53 Depth=1
	v_and_b32_e32 v12, 7, v8
; %bb.2848:                             ;   in Loop: Header=BB4_53 Depth=1
	s_and_not1_saveexec_b32 s11, s11
	s_cbranch_execz .LBB4_2850
; %bb.2849:                             ;   in Loop: Header=BB4_53 Depth=1
	v_and_b32_e32 v12, 7, v8
	v_ashrrev_i32_e32 v11, 31, v10
	s_delay_alu instid0(VALU_DEP_2)
	v_mad_u64_u32 v[13:14], null, v12, 24, v[6:7]
	flat_store_b64 v[13:14], v[10:11] offset:8
.LBB4_2850:                             ;   in Loop: Header=BB4_53 Depth=1
	s_or_b32 exec_lo, exec_lo, s11
	v_and_b32_e32 v11, 0x100, v64
	s_mov_b32 s11, -1
	s_mov_b32 s22, exec_lo
                                        ; implicit-def: $vgpr13_vgpr14
	s_delay_alu instid0(VALU_DEP_1)
	v_cmpx_ne_u32_e32 0, v11
	s_cbranch_execnz .LBB4_2853
; %bb.2851:                             ;   in Loop: Header=BB4_53 Depth=1
	s_or_b32 exec_lo, exec_lo, s22
	s_and_saveexec_b32 s22, s11
	s_cbranch_execnz .LBB4_2856
.LBB4_2852:                             ;   in Loop: Header=BB4_53 Depth=1
	s_or_b32 exec_lo, exec_lo, s22
	s_cbranch_execz .LBB4_2857
; %bb.7909:
	s_getpc_b64 s[34:35]
.Lpost_getpc90:
	s_add_u32 s34, s34, (.LBB4_7619-.Lpost_getpc90)&4294967295
	s_addc_u32 s35, s35, (.LBB4_7619-.Lpost_getpc90)>>32
	s_setpc_b64 s[34:35]
.LBB4_2853:                             ;   in Loop: Header=BB4_53 Depth=1
	v_mad_u64_u32 v[15:16], null, v12, 24, v[6:7]
	s_mov_b32 s23, exec_lo
	s_delay_alu instid0(VALU_DEP_1) | instskip(NEXT) | instid1(VALU_DEP_1)
	v_mov_b32_e32 v11, v16
	v_mad_u64_u32 v[13:14], null, v37, 24, v[11:12]
	s_delay_alu instid0(VALU_DEP_1)
	v_mov_b32_e32 v16, v13
                                        ; implicit-def: $vgpr13_vgpr14
	flat_load_b32 v11, v[15:16]
	s_waitcnt vmcnt(0) lgkmcnt(0)
	v_cmp_ne_u32_e32 vcc_lo, 1, v11
	v_cmpx_eq_u32_e32 1, v11
	s_cbranch_execz .LBB4_2855
; %bb.2854:                             ;   in Loop: Header=BB4_53 Depth=1
	flat_load_b32 v13, v[15:16] offset:4 glc
	s_waitcnt vmcnt(0) lgkmcnt(0)
	v_ashrrev_i32_e32 v14, 31, v13
.LBB4_2855:                             ;   in Loop: Header=BB4_53 Depth=1
	s_or_b32 exec_lo, exec_lo, s23
	s_delay_alu instid0(SALU_CYCLE_1)
	s_or_not1_b32 s11, vcc_lo, exec_lo
	s_or_b32 exec_lo, exec_lo, s22
	s_and_saveexec_b32 s22, s11
	s_cbranch_execz .LBB4_2852
.LBB4_2856:                             ;   in Loop: Header=BB4_53 Depth=1
	v_mul_lo_u32 v11, v37, v65
	v_mul_lo_u32 v15, v12, v66
	v_mad_u64_u32 v[13:14], null, v12, v65, 0
	s_delay_alu instid0(VALU_DEP_1)
	v_add3_u32 v14, v14, v15, v11
	s_or_b32 exec_lo, exec_lo, s22
	s_cbranch_execz .LBB4_2857
; %bb.7911:
	s_getpc_b64 s[34:35]
.Lpost_getpc91:
	s_add_u32 s34, s34, (.LBB4_7619-.Lpost_getpc91)&4294967295
	s_addc_u32 s35, s35, (.LBB4_7619-.Lpost_getpc91)>>32
	s_setpc_b64 s[34:35]
.LBB4_2857:                             ;   in Loop: Header=BB4_53 Depth=1
	s_delay_alu instid0(VALU_DEP_2)
	v_add_co_u32 v11, vcc_lo, v24, v13
	v_and_b32_e32 v15, 0x2000, v64
	v_add_co_ci_u32_e32 v12, vcc_lo, v25, v14, vcc_lo
	s_mov_b32 s11, exec_lo
	ds_store_b64 v0, v[11:12]
	v_cmpx_ne_u32_e32 0, v15
	s_cbranch_execz .LBB4_2859
; %bb.2858:                             ;   in Loop: Header=BB4_53 Depth=1
	ds_load_b64 v[11:12], v0 offset:584
	s_waitcnt lgkmcnt(0)
	v_add_co_u32 v11, vcc_lo, v11, 1
	v_add_co_ci_u32_e32 v12, vcc_lo, 0, v12, vcc_lo
	ds_store_b64 v0, v[11:12] offset:584
.LBB4_2859:                             ;   in Loop: Header=BB4_53 Depth=1
	s_or_b32 exec_lo, exec_lo, s11
	v_add_co_u32 v8, vcc_lo, v8, 1
	v_add_co_ci_u32_e32 v9, vcc_lo, 0, v9, vcc_lo
.LBB4_2860:                             ;   in Loop: Header=BB4_53 Depth=1
	s_or_b32 exec_lo, exec_lo, s21
	s_and_saveexec_b32 s11, s3
	s_cbranch_execz .LBB4_2882
; %bb.2861:                             ;   in Loop: Header=BB4_53 Depth=1
	s_and_saveexec_b32 s21, s4
	s_delay_alu instid0(SALU_CYCLE_1)
	s_xor_b32 s21, exec_lo, s21
	s_cbranch_execz .LBB4_2879
; %bb.2862:                             ;   in Loop: Header=BB4_53 Depth=1
	s_and_saveexec_b32 s22, s5
	s_cbranch_execz .LBB4_2878
; %bb.2863:                             ;   in Loop: Header=BB4_53 Depth=1
	s_mov_b32 s24, exec_lo
	s_mov_b32 s23, exec_lo
	v_mbcnt_lo_u32_b32 v11, s24, 0
	s_waitcnt lgkmcnt(0)
	s_waitcnt_vscnt null, 0x0
	buffer_gl1_inv
	buffer_gl0_inv
	v_cmpx_eq_u32_e32 0, v11
	s_cbranch_execz .LBB4_2865
; %bb.2864:                             ;   in Loop: Header=BB4_53 Depth=1
	s_bcnt1_i32_b32 s24, s24
	s_delay_alu instid0(SALU_CYCLE_1)
	v_mov_b32_e32 v36, s24
	ds_add_u64 v0, v[36:37]
	s_cbranch_execz .LBB4_2865
; %bb.7913:
	s_getpc_b64 s[34:35]
.Lpost_getpc92:
	s_add_u32 s34, s34, (.LBB4_7681-.Lpost_getpc92)&4294967295
	s_addc_u32 s35, s35, (.LBB4_7681-.Lpost_getpc92)>>32
	s_setpc_b64 s[34:35]
.LBB4_2865:                             ;   in Loop: Header=BB4_53 Depth=1
	s_or_b32 exec_lo, exec_lo, s23
	s_cbranch_execz .LBB4_2866
; %bb.7915:
	s_getpc_b64 s[34:35]
.Lpost_getpc93:
	s_add_u32 s34, s34, (.LBB4_7665-.Lpost_getpc93)&4294967295
	s_addc_u32 s35, s35, (.LBB4_7665-.Lpost_getpc93)>>32
	s_setpc_b64 s[34:35]
.LBB4_2866:                             ;   in Loop: Header=BB4_53 Depth=1
	ds_load_b64 v[11:12], v0
	v_add_co_u32 v28, vcc_lo, v28, v67
	v_add_co_ci_u32_e32 v29, vcc_lo, 0, v29, vcc_lo
	s_mov_b32 s23, exec_lo
	s_waitcnt lgkmcnt(0)
	s_delay_alu instid0(VALU_DEP_1)
	v_cmpx_lt_u64_e64 v[11:12], v[28:29]
	s_cbranch_execz .LBB4_2877
; %bb.2867:                             ;   in Loop: Header=BB4_53 Depth=1
	s_mov_b32 s24, 0
	s_mov_b32 s27, 0
                                        ; implicit-def: $sgpr25
                                        ; implicit-def: $sgpr26
	s_branch .LBB4_2869
.LBB4_2868:                             ;   in Loop: Header=BB4_2869 Depth=2
	s_or_b32 exec_lo, exec_lo, vcc_hi
	s_delay_alu instid0(SALU_CYCLE_1) | instskip(NEXT) | instid1(SALU_CYCLE_1)
	s_and_b32 s28, exec_lo, s29
	s_or_b32 s24, s28, s24
	s_and_not1_b32 s25, s25, exec_lo
	s_and_b32 s28, s26, exec_lo
	s_delay_alu instid0(SALU_CYCLE_1)
	s_or_b32 s25, s25, s28
	s_and_not1_b32 exec_lo, exec_lo, s24
	s_cbranch_execz .LBB4_2875
.LBB4_2869:                             ;   Parent Loop BB4_53 Depth=1
                                        ; =>  This Inner Loop Header: Depth=2
	s_add_i32 s27, s27, 1
                                        ; implicit-def: $sgpr29
	s_delay_alu instid0(SALU_CYCLE_1) | instskip(SKIP_1) | instid1(SALU_CYCLE_1)
	s_cmpk_lg_i32 s27, 0x2710
	s_cselect_b32 s28, -1, 0
	s_and_b32 vcc_lo, exec_lo, s28
	s_cbranch_vccz .LBB4_2873
.LBB4_2870:                             ;   in Loop: Header=BB4_2869 Depth=2
	s_and_not1_b32 s26, s26, exec_lo
	s_and_b32 vcc_lo, s29, exec_lo
	s_mov_b32 s29, -1
	s_or_b32 s26, s26, vcc_lo
	s_and_saveexec_b32 vcc_hi, s28
	s_cbranch_execz .LBB4_2868
; %bb.2871:                             ;   in Loop: Header=BB4_2869 Depth=2
	s_sleep 1
	s_cbranch_execz .LBB4_2872
; %bb.7917:
	s_getpc_b64 s[34:35]
.Lpost_getpc94:
	s_add_u32 s34, s34, (.LBB4_7729-.Lpost_getpc94)&4294967295
	s_addc_u32 s35, s35, (.LBB4_7729-.Lpost_getpc94)>>32
	s_setpc_b64 s[34:35]
.LBB4_2872:                             ;   in Loop: Header=BB4_2869 Depth=2
	ds_load_b64 v[11:12], v0
	s_and_not1_b32 s26, s26, exec_lo
	s_waitcnt lgkmcnt(0)
	v_cmp_ge_u64_e32 vcc_lo, v[11:12], v[28:29]
	s_or_not1_b32 s29, vcc_lo, exec_lo
	s_branch .LBB4_2868
.LBB4_2873:                             ;   in Loop: Header=BB4_2869 Depth=2
	s_cbranch_execz .LBB4_2874
; %bb.7919:
	s_getpc_b64 s[34:35]
.Lpost_getpc95:
	s_add_u32 s34, s34, (.LBB4_7749-.Lpost_getpc95)&4294967295
	s_addc_u32 s35, s35, (.LBB4_7749-.Lpost_getpc95)>>32
	s_setpc_b64 s[34:35]
.LBB4_2874:                             ;   in Loop: Header=BB4_2869 Depth=2
	ds_load_b64 v[11:12], v0
	s_and_not1_b32 s28, s28, exec_lo
	s_mov_b32 s27, 0
	s_mov_b32 s29, -1
	s_waitcnt lgkmcnt(0)
	flat_load_b32 v11, v[11:12] glc
	s_waitcnt vmcnt(0) lgkmcnt(0)
	buffer_gl1_inv
	buffer_gl0_inv
	v_cmp_eq_u32_e32 vcc_lo, 0, v11
	s_and_b32 vcc_lo, vcc_lo, exec_lo
	s_delay_alu instid0(SALU_CYCLE_1)
	s_or_b32 s28, s28, vcc_lo
	s_branch .LBB4_2870
.LBB4_2875:                             ;   in Loop: Header=BB4_53 Depth=1
	s_or_b32 exec_lo, exec_lo, s24
	s_and_saveexec_b32 s24, s25
	s_delay_alu instid0(SALU_CYCLE_1)
	s_xor_b32 s24, exec_lo, s24
	s_cbranch_execz .LBB4_2877
; %bb.2876:                             ;   in Loop: Header=BB4_53 Depth=1
	ds_store_b32 v0, v87
	s_cbranch_execz .LBB4_2877
; %bb.7921:
	s_getpc_b64 s[34:35]
.Lpost_getpc96:
	s_add_u32 s34, s34, (.LBB4_7805-.Lpost_getpc96)&4294967295
	s_addc_u32 s35, s35, (.LBB4_7805-.Lpost_getpc96)>>32
	s_setpc_b64 s[34:35]
.LBB4_2877:                             ;   in Loop: Header=BB4_53 Depth=1
	s_or_b32 exec_lo, exec_lo, s23
	;;#ASMSTART
	s_wakeup
	;;#ASMEND
.LBB4_2878:                             ;   in Loop: Header=BB4_53 Depth=1
	s_or_b32 exec_lo, exec_lo, s22
.LBB4_2879:                             ;   in Loop: Header=BB4_53 Depth=1
	s_and_not1_saveexec_b32 s21, s21
	s_cbranch_execz .LBB4_2881
; %bb.2880:                             ;   in Loop: Header=BB4_53 Depth=1
	s_waitcnt lgkmcnt(0)
	s_waitcnt_vscnt null, 0x0
	buffer_gl1_inv
	buffer_gl0_inv
	s_barrier
.LBB4_2881:                             ;   in Loop: Header=BB4_53 Depth=1
	s_or_b32 exec_lo, exec_lo, s21
.LBB4_2882:                             ;   in Loop: Header=BB4_53 Depth=1
	s_delay_alu instid0(SALU_CYCLE_1)
	s_or_b32 exec_lo, exec_lo, s11
	s_cbranch_execz .LBB4_2883
; %bb.7923:
	s_getpc_b64 s[34:35]
.Lpost_getpc97:
	s_add_u32 s34, s34, (.LBB4_7608-.Lpost_getpc97)&4294967295
	s_addc_u32 s35, s35, (.LBB4_7608-.Lpost_getpc97)>>32
	s_setpc_b64 s[34:35]
.LBB4_2883:                             ;   in Loop: Header=BB4_53 Depth=1
	ds_load_b32 v11, v0
	v_cmp_lt_i32_e32 vcc_lo, 0, v10
	s_waitcnt lgkmcnt(0)
	v_readfirstlane_b32 s11, v11
	v_and_b32_e32 v11, 16, v64
	s_delay_alu instid0(VALU_DEP_2) | instskip(NEXT) | instid1(VALU_DEP_1)
	s_cmp_eq_u32 s11, 0
	v_cmp_ne_u32_e64 s11, 0, v11
	s_cselect_b32 s21, -1, 0
	s_delay_alu instid0(SALU_CYCLE_1)
	s_and_b32 s21, vcc_lo, s21
	s_delay_alu instid0(VALU_DEP_1) | instid1(SALU_CYCLE_1)
	s_and_b32 s21, s11, s21
	s_delay_alu instid0(SALU_CYCLE_1)
	s_and_saveexec_b32 s11, s21
	s_cbranch_execz .LBB4_2885
; %bb.2884:                             ;   in Loop: Header=BB4_53 Depth=1
	s_waitcnt_vscnt null, 0x0
	buffer_gl1_inv
	buffer_gl0_inv
.LBB4_2885:                             ;   in Loop: Header=BB4_53 Depth=1
	s_or_b32 exec_lo, exec_lo, s11
	v_cmp_ne_u32_e32 vcc_lo, 0, v11
	s_xor_b32 s11, s10, -1
	s_delay_alu instid0(SALU_CYCLE_1) | instskip(NEXT) | instid1(SALU_CYCLE_1)
	s_and_b32 s21, vcc_lo, s11
	s_and_saveexec_b32 s11, s21
	s_cbranch_execz .LBB4_2887
; %bb.2886:                             ;   in Loop: Header=BB4_53 Depth=1
	s_waitcnt_vscnt null, 0x0
	flat_store_b32 v[34:35], v87
.LBB4_2887:                             ;   in Loop: Header=BB4_53 Depth=1
	s_or_b32 exec_lo, exec_lo, s11
	v_and_b32_e32 v10, 48, v64
	s_mov_b32 s11, exec_lo
	s_delay_alu instid0(VALU_DEP_1)
	v_cmpx_ne_u32_e32 0, v10
	s_cbranch_execz .LBB4_2889
; %bb.2888:                             ;   in Loop: Header=BB4_53 Depth=1
	v_add_co_u32 v8, vcc_lo, v8, 1
	v_add_co_ci_u32_e32 v9, vcc_lo, 0, v9, vcc_lo
	s_waitcnt lgkmcnt(0)
	s_waitcnt_vscnt null, 0x0
	flat_store_b64 v[22:23], v[8:9]
.LBB4_2889:                             ;   in Loop: Header=BB4_53 Depth=1
	s_or_b32 exec_lo, exec_lo, s11
.LBB4_2890:                             ;   in Loop: Header=BB4_53 Depth=1
	s_delay_alu instid0(SALU_CYCLE_1) | instskip(SKIP_2) | instid1(VALU_DEP_1)
	s_or_b32 exec_lo, exec_lo, s12
	v_add_co_u32 v38, vcc_lo, v38, v32
	v_add_co_ci_u32_e32 v39, vcc_lo, 0, v39, vcc_lo
	v_cmp_ge_u64_e32 vcc_lo, v[38:39], v[4:5]
	s_or_b32 s18, vcc_lo, s18
	s_delay_alu instid0(SALU_CYCLE_1)
	s_and_not1_b32 exec_lo, exec_lo, s18
	s_cbranch_execnz .LBB4_53
; %bb.2891:
	s_or_b32 exec_lo, exec_lo, s18
.LBB4_2892:
	s_delay_alu instid0(SALU_CYCLE_1)
	s_or_b32 exec_lo, exec_lo, s17
                                        ; implicit-def: $vgpr18_vgpr19
                                        ; implicit-def: $vgpr4_vgpr5
                                        ; implicit-def: $vgpr65
                                        ; implicit-def: $vgpr26_vgpr27
                                        ; implicit-def: $vgpr24_vgpr25
                                        ; implicit-def: $vgpr22_vgpr23
                                        ; implicit-def: $vgpr0
                                        ; implicit-def: $vgpr17
                                        ; implicit-def: $vgpr32_vgpr33
.LBB4_2893:
	s_and_not1_saveexec_b32 s11, s16
	s_cbranch_execz .LBB4_5725
; %bb.2894:
	v_mov_b32_e32 v28, 0
	v_mov_b32_e32 v29, 0
	s_and_saveexec_b32 s12, s1
	s_cbranch_execz .LBB4_5724
; %bb.2895:
	v_cmp_ge_i32_e64 s1, v0, v1
	s_cbranch_execz .LBB4_2896
; %bb.7925:
	s_getpc_b64 s[34:35]
.Lpost_getpc98:
	s_add_u32 s34, s34, (.LBB4_7564-.Lpost_getpc98)&4294967295
	s_addc_u32 s35, s35, (.LBB4_7564-.Lpost_getpc98)>>32
	s_setpc_b64 s[34:35]
.LBB4_2896:
	v_ashrrev_i32_e32 v10, 31, v0
	v_lshrrev_b32_e32 v54, 5, v1
	v_dual_mov_b32 v36, 0 :: v_dual_and_b32 v11, 31, v31
	s_ashr_i32 s4, s14, 31
	s_delay_alu instid0(VALU_DEP_3) | instskip(SKIP_3) | instid1(VALU_DEP_2)
	v_lshrrev_b32_e32 v10, 27, v10
	s_lshr_b32 s4, s4, 24
	v_dual_mov_b32 v84, 1 :: v_dual_and_b32 v55, 0xffffffe0, v1
	s_add_i32 s10, s14, s4
	v_dual_mov_b32 v35, 0 :: v_dual_add_nc_u32 v10, v0, v10
	v_cmp_eq_u32_e64 s4, 0, v11
	v_cmp_eq_u32_e32 vcc_lo, 32, v1
	v_cmp_ne_u32_e64 s2, 32, v1
	s_delay_alu instid0(VALU_DEP_4) | instskip(SKIP_3) | instid1(VALU_DEP_4)
	v_dual_mov_b32 v37, 0 :: v_dual_and_b32 v12, 0xffffffe0, v10
	v_ashrrev_i32_e32 v66, 5, v10
	v_dual_mov_b32 v28, v36 :: v_dual_lshlrev_b32 v67, 9, v54
	v_lshl_add_u32 v10, v54, 10, 0xfffffc00
	v_sub_nc_u32_e32 v68, v0, v12
	s_delay_alu instid0(VALU_DEP_4) | instskip(NEXT) | instid1(VALU_DEP_4)
	v_dual_mov_b32 v29, v37 :: v_dual_lshlrev_b32 v12, 10, v66
	v_add_nc_u32_e32 v13, 0xfffffe00, v67
	s_delay_alu instid0(VALU_DEP_4) | instskip(SKIP_1) | instid1(VALU_DEP_4)
	v_ashrrev_i32_e32 v11, 31, v10
	v_add_co_u32 v70, s5, 0x400, v10
	v_lshl_add_u32 v69, v68, 4, v12
	s_delay_alu instid0(VALU_DEP_4)
	v_ashrrev_i32_e32 v10, 31, v13
	v_add_co_u32 v81, s7, 0x200, v13
	v_add_co_ci_u32_e64 v71, s5, 0, v11, s5
	v_cmp_ne_u32_e64 s3, v30, v1
	v_cmp_le_i32_e64 s5, v68, v17
	v_cmp_gt_i32_e64 s6, 1, v68
	v_ashrrev_i32_e32 v80, 31, v69
	v_add_co_ci_u32_e64 v82, s7, 0, v10, s7
	v_ashrrev_i32_e32 v83, 31, v55
	s_ashr_i32 s17, s10, 8
	s_mov_b32 s16, 0
	s_xor_b32 s18, vcc_lo, -1
.LBB4_2897:                             ; =>This Loop Header: Depth=1
                                        ;     Child Loop BB4_2907 Depth 2
                                        ;     Child Loop BB4_2934 Depth 2
	;; [unrolled: 1-line block ×10, first 2 shown]
	v_sub_co_u32 v10, vcc_lo, v4, v36
	v_sub_co_ci_u32_e32 v11, vcc_lo, v5, v37, vcc_lo
	v_mov_b32_e32 v14, 0
	s_delay_alu instid0(VALU_DEP_2) | instskip(SKIP_2) | instid1(VALU_DEP_2)
	v_cmp_lt_u64_e32 vcc_lo, v[32:33], v[10:11]
	v_cndmask_b32_e32 v38, v10, v32, vcc_lo
	v_cndmask_b32_e64 v39, v11, 0, vcc_lo
	v_add_nc_u32_e32 v10, 15, v38
	s_delay_alu instid0(VALU_DEP_2) | instskip(NEXT) | instid1(VALU_DEP_2)
	v_cmp_eq_u64_e32 vcc_lo, 0, v[38:39]
	v_and_b32_e32 v10, 0x7ffffff0, v10
	s_or_b32 s19, s1, vcc_lo
	s_delay_alu instid0(SALU_CYCLE_1) | instskip(NEXT) | instid1(VALU_DEP_1)
	s_xor_b32 s7, s19, -1
	v_max_i32_e32 v39, s17, v10
	s_and_saveexec_b32 s20, s7
	s_cbranch_execz .LBB4_5669
; %bb.2898:                             ;   in Loop: Header=BB4_2897 Depth=1
	s_and_saveexec_b32 s10, s0
	s_cbranch_execz .LBB4_2901
; %bb.2899:                             ;   in Loop: Header=BB4_2897 Depth=1
	s_cbranch_execz .LBB4_2900
; %bb.7927:
	s_getpc_b64 s[34:35]
.Lpost_getpc99:
	s_add_u32 s34, s34, (.LBB4_7596-.Lpost_getpc99)&4294967295
	s_addc_u32 s35, s35, (.LBB4_7596-.Lpost_getpc99)>>32
	s_setpc_b64 s[34:35]
.LBB4_2900:                             ;   in Loop: Header=BB4_2897 Depth=1
	ds_load_2addr_b64 v[10:13], v0 offset1:1
	ds_load_b64 v[14:15], v0
	v_add_co_u32 v16, vcc_lo, v36, v18
	v_add_co_ci_u32_e32 v17, vcc_lo, v37, v19, vcc_lo
	s_waitcnt lgkmcnt(1)
	s_delay_alu instid0(VALU_DEP_2) | instskip(NEXT) | instid1(VALU_DEP_2)
	v_add_co_u32 v10, vcc_lo, v10, v16
	v_add_co_ci_u32_e32 v11, vcc_lo, v11, v17, vcc_lo
	s_waitcnt lgkmcnt(0)
	v_add_co_u32 v34, vcc_lo, v14, v16
	v_add_co_ci_u32_e32 v48, vcc_lo, v15, v17, vcc_lo
	v_cmp_ne_u64_e32 vcc_lo, 0, v[14:15]
	v_add_co_u32 v12, s7, v12, v16
	s_delay_alu instid0(VALU_DEP_1) | instskip(NEXT) | instid1(VALU_DEP_4)
	v_add_co_ci_u32_e64 v13, s7, v13, v17, s7
	v_dual_cndmask_b32 v15, 0, v48 :: v_dual_cndmask_b32 v14, 0, v34
	ds_store_b64 v0, v[10:11]
	ds_store_b64 v0, v[12:13]
	;; [unrolled: 1-line block ×3, first 2 shown]
.LBB4_2901:                             ;   in Loop: Header=BB4_2897 Depth=1
	s_or_b32 exec_lo, exec_lo, s10
	v_and_b32_e32 v10, 4, v64
	s_mov_b32 s10, -1
	s_mov_b32 s7, exec_lo
	s_delay_alu instid0(VALU_DEP_1)
	v_cmpx_ne_u32_e32 0, v10
	s_cbranch_execz .LBB4_2915
; %bb.2902:                             ;   in Loop: Header=BB4_2897 Depth=1
	v_add_co_u32 v10, vcc_lo, v8, 1
	v_add_co_ci_u32_e32 v11, vcc_lo, 0, v9, vcc_lo
	v_mov_b32_e32 v12, 1
	s_mov_b32 s10, exec_lo
	s_delay_alu instid0(VALU_DEP_2)
	v_cmpx_lt_u64_e64 v[26:27], v[10:11]
	s_cbranch_execz .LBB4_2914
; %bb.2903:                             ;   in Loop: Header=BB4_2897 Depth=1
	v_mov_b32_e32 v12, 0
	s_mov_b32 s21, 0
                                        ; implicit-def: $sgpr22
	s_branch .LBB4_2907
.LBB4_2904:                             ;   in Loop: Header=BB4_2907 Depth=2
	s_or_b32 exec_lo, exec_lo, s26
	v_mov_b32_e32 v13, 0
	s_or_not1_b32 s25, s25, exec_lo
.LBB4_2905:                             ;   in Loop: Header=BB4_2907 Depth=2
	s_or_b32 exec_lo, exec_lo, s24
	s_delay_alu instid0(VALU_DEP_1) | instskip(SKIP_2) | instid1(SALU_CYCLE_1)
	v_mov_b32_e32 v12, v13
	s_and_not1_b32 s22, s22, exec_lo
	s_and_b32 s24, s25, exec_lo
	s_or_b32 s22, s22, s24
.LBB4_2906:                             ;   in Loop: Header=BB4_2907 Depth=2
	s_or_b32 exec_lo, exec_lo, s23
	s_waitcnt vmcnt(0) lgkmcnt(0)
	v_cmp_ge_u64_e32 vcc_lo, v[26:27], v[10:11]
	s_xor_b32 s23, s22, -1
	s_delay_alu instid0(SALU_CYCLE_1) | instskip(NEXT) | instid1(SALU_CYCLE_1)
	s_or_b32 s23, s23, vcc_lo
	s_and_b32 s23, exec_lo, s23
	s_delay_alu instid0(SALU_CYCLE_1) | instskip(NEXT) | instid1(SALU_CYCLE_1)
	s_or_b32 s21, s23, s21
	s_and_not1_b32 exec_lo, exec_lo, s21
	s_cbranch_execz .LBB4_2913
.LBB4_2907:                             ;   Parent Loop BB4_2897 Depth=1
                                        ; =>  This Inner Loop Header: Depth=2
	s_sleep 1
	flat_load_b64 v[26:27], v[22:23] glc
	v_and_b32_e32 v13, 64, v64
	s_and_not1_b32 s22, s22, exec_lo
	s_mov_b32 s23, exec_lo
	s_delay_alu instid0(VALU_DEP_1)
	v_cmpx_eq_u32_e32 0, v13
	s_cbranch_execz .LBB4_2906
; %bb.2908:                             ;   in Loop: Header=BB4_2907 Depth=2
	v_add_nc_u32_e32 v13, 1, v12
	s_mov_b32 s25, -1
	s_mov_b32 s24, exec_lo
	v_cmpx_lt_i32_e32 0x270e, v12
	s_cbranch_execz .LBB4_2905
; %bb.2909:                             ;   in Loop: Header=BB4_2907 Depth=2
	s_cbranch_execz .LBB4_2910
; %bb.7929:
	s_getpc_b64 s[34:35]
.Lpost_getpc100:
	s_add_u32 s34, s34, (.LBB4_7621-.Lpost_getpc100)&4294967295
	s_addc_u32 s35, s35, (.LBB4_7621-.Lpost_getpc100)>>32
	s_setpc_b64 s[34:35]
.LBB4_2910:                             ;   in Loop: Header=BB4_2907 Depth=2
	ds_load_b64 v[12:13], v0
	s_mov_b32 s26, exec_lo
	s_waitcnt vmcnt(0) lgkmcnt(0)
	s_waitcnt_vscnt null, 0x0
	flat_load_b32 v12, v[12:13] glc
	s_waitcnt vmcnt(0) lgkmcnt(0)
	buffer_gl1_inv
	buffer_gl0_inv
	v_cmpx_ne_u32_e32 0, v12
	s_cbranch_execz .LBB4_2904
; %bb.2911:                             ;   in Loop: Header=BB4_2907 Depth=2
	ds_store_b32 v0, v12
	s_cbranch_execz .LBB4_2912
; %bb.7931:
	s_getpc_b64 s[34:35]
.Lpost_getpc101:
	s_add_u32 s34, s34, (.LBB4_7649-.Lpost_getpc101)&4294967295
	s_addc_u32 s35, s35, (.LBB4_7649-.Lpost_getpc101)>>32
	s_setpc_b64 s[34:35]
.LBB4_2912:                             ;   in Loop: Header=BB4_2907 Depth=2
	v_or_b32_e32 v64, 64, v64
	s_xor_b32 s25, exec_lo, -1
	s_branch .LBB4_2904
.LBB4_2913:                             ;   in Loop: Header=BB4_2897 Depth=1
	s_or_b32 exec_lo, exec_lo, s21
	v_and_b32_e32 v12, 4, v64
.LBB4_2914:                             ;   in Loop: Header=BB4_2897 Depth=1
	s_or_b32 exec_lo, exec_lo, s10
	s_delay_alu instid0(VALU_DEP_1)
	v_cmp_eq_u32_e32 vcc_lo, 0, v12
	;;#ASMSTART
	s_wakeup
	;;#ASMEND
	s_or_not1_b32 s10, vcc_lo, exec_lo
.LBB4_2915:                             ;   in Loop: Header=BB4_2897 Depth=1
	s_or_b32 exec_lo, exec_lo, s7
	s_xor_b32 s7, s10, -1
	s_delay_alu instid0(SALU_CYCLE_1)
	s_and_saveexec_b32 s10, s7
	s_cbranch_execz .LBB4_2925
; %bb.2916:                             ;   in Loop: Header=BB4_2897 Depth=1
	v_and_b32_e32 v10, 0x100, v64
	v_and_b32_e32 v14, 7, v8
	s_mov_b32 s7, -1
	s_delay_alu instid0(VALU_DEP_2)
	v_cmp_ne_u32_e32 vcc_lo, 0, v10
                                        ; implicit-def: $vgpr10_vgpr11
	s_and_saveexec_b32 s21, vcc_lo
	s_cbranch_execz .LBB4_2920
; %bb.2917:                             ;   in Loop: Header=BB4_2897 Depth=1
	v_mad_u64_u32 v[12:13], null, v14, 24, v[6:7]
	flat_load_b32 v10, v[12:13]
	s_waitcnt vmcnt(0) lgkmcnt(0)
	v_cmp_ne_u32_e32 vcc_lo, 1, v10
	v_cmp_eq_u32_e64 s7, 1, v10
                                        ; implicit-def: $vgpr10_vgpr11
	s_delay_alu instid0(VALU_DEP_1)
	s_and_saveexec_b32 s22, s7
	s_cbranch_execz .LBB4_2919
; %bb.2918:                             ;   in Loop: Header=BB4_2897 Depth=1
	flat_load_b32 v10, v[12:13] offset:4 glc
	s_waitcnt vmcnt(0) lgkmcnt(0)
	v_ashrrev_i32_e32 v11, 31, v10
.LBB4_2919:                             ;   in Loop: Header=BB4_2897 Depth=1
	s_or_b32 exec_lo, exec_lo, s22
	s_delay_alu instid0(SALU_CYCLE_1)
	s_or_not1_b32 s7, vcc_lo, exec_lo
.LBB4_2920:                             ;   in Loop: Header=BB4_2897 Depth=1
	s_or_b32 exec_lo, exec_lo, s21
	s_and_saveexec_b32 s21, s7
; %bb.2921:                             ;   in Loop: Header=BB4_2897 Depth=1
	v_mad_i64_i32 v[10:11], null, v14, v65, 0
; %bb.2922:                             ;   in Loop: Header=BB4_2897 Depth=1
	s_or_b32 exec_lo, exec_lo, s21
	s_delay_alu instid0(VALU_DEP_1) | instskip(SKIP_1) | instid1(VALU_DEP_3)
	v_add_co_u32 v10, vcc_lo, v24, v10
	v_and_b32_e32 v12, 0x2000, v64
	v_add_co_ci_u32_e32 v11, vcc_lo, v25, v11, vcc_lo
	s_mov_b32 s7, exec_lo
	ds_store_b64 v0, v[10:11] offset:728
	v_cmpx_ne_u32_e32 0, v12
	s_cbranch_execz .LBB4_2924
; %bb.2923:                             ;   in Loop: Header=BB4_2897 Depth=1
	ds_load_b64 v[10:11], v0 offset:584
	s_waitcnt lgkmcnt(0)
	v_add_co_u32 v10, vcc_lo, v10, 1
	v_add_co_ci_u32_e32 v11, vcc_lo, 0, v11, vcc_lo
	ds_store_b64 v0, v[10:11] offset:584
.LBB4_2924:                             ;   in Loop: Header=BB4_2897 Depth=1
	s_or_b32 exec_lo, exec_lo, s7
	v_add_co_u32 v8, vcc_lo, v8, 1
	v_add_co_ci_u32_e32 v9, vcc_lo, 0, v9, vcc_lo
.LBB4_2925:                             ;   in Loop: Header=BB4_2897 Depth=1
	s_or_b32 exec_lo, exec_lo, s10
	s_and_saveexec_b32 s7, s2
	s_cbranch_execz .LBB4_2947
; %bb.2926:                             ;   in Loop: Header=BB4_2897 Depth=1
	s_and_saveexec_b32 s10, s3
	s_delay_alu instid0(SALU_CYCLE_1)
	s_xor_b32 s10, exec_lo, s10
	s_cbranch_execz .LBB4_2944
; %bb.2927:                             ;   in Loop: Header=BB4_2897 Depth=1
	s_and_saveexec_b32 s21, s4
	s_cbranch_execz .LBB4_2943
; %bb.2928:                             ;   in Loop: Header=BB4_2897 Depth=1
	s_mov_b32 s23, exec_lo
	s_mov_b32 s22, exec_lo
	v_mbcnt_lo_u32_b32 v10, s23, 0
	s_waitcnt lgkmcnt(0)
	s_waitcnt_vscnt null, 0x0
	buffer_gl1_inv
	buffer_gl0_inv
	v_cmpx_eq_u32_e32 0, v10
	s_cbranch_execz .LBB4_2930
; %bb.2929:                             ;   in Loop: Header=BB4_2897 Depth=1
	s_bcnt1_i32_b32 s23, s23
	s_delay_alu instid0(SALU_CYCLE_1)
	v_mov_b32_e32 v34, s23
	ds_add_u64 v0, v[34:35]
	s_cbranch_execz .LBB4_2930
; %bb.7933:
	s_getpc_b64 s[34:35]
.Lpost_getpc102:
	s_add_u32 s34, s34, (.LBB4_7667-.Lpost_getpc102)&4294967295
	s_addc_u32 s35, s35, (.LBB4_7667-.Lpost_getpc102)>>32
	s_setpc_b64 s[34:35]
.LBB4_2930:                             ;   in Loop: Header=BB4_2897 Depth=1
	s_or_b32 exec_lo, exec_lo, s22
	s_cbranch_execz .LBB4_2931
; %bb.7935:
	s_getpc_b64 s[34:35]
.Lpost_getpc103:
	s_add_u32 s34, s34, (.LBB4_7655-.Lpost_getpc103)&4294967295
	s_addc_u32 s35, s35, (.LBB4_7655-.Lpost_getpc103)>>32
	s_setpc_b64 s[34:35]
.LBB4_2931:                             ;   in Loop: Header=BB4_2897 Depth=1
	ds_load_b64 v[10:11], v0
	v_add_co_u32 v28, vcc_lo, v28, v54
	v_add_co_ci_u32_e32 v29, vcc_lo, 0, v29, vcc_lo
	s_mov_b32 s22, exec_lo
	s_waitcnt lgkmcnt(0)
	s_delay_alu instid0(VALU_DEP_1)
	v_cmpx_lt_u64_e64 v[10:11], v[28:29]
	s_cbranch_execz .LBB4_2942
; %bb.2932:                             ;   in Loop: Header=BB4_2897 Depth=1
	s_mov_b32 s23, 0
	s_mov_b32 s26, 0
                                        ; implicit-def: $sgpr24
                                        ; implicit-def: $sgpr25
	s_branch .LBB4_2934
.LBB4_2933:                             ;   in Loop: Header=BB4_2934 Depth=2
	s_or_b32 exec_lo, exec_lo, s29
	s_delay_alu instid0(SALU_CYCLE_1) | instskip(NEXT) | instid1(SALU_CYCLE_1)
	s_and_b32 s27, exec_lo, s28
	s_or_b32 s23, s27, s23
	s_and_not1_b32 s24, s24, exec_lo
	s_and_b32 s27, s25, exec_lo
	s_delay_alu instid0(SALU_CYCLE_1)
	s_or_b32 s24, s24, s27
	s_and_not1_b32 exec_lo, exec_lo, s23
	s_cbranch_execz .LBB4_2940
.LBB4_2934:                             ;   Parent Loop BB4_2897 Depth=1
                                        ; =>  This Inner Loop Header: Depth=2
	s_add_i32 s26, s26, 1
                                        ; implicit-def: $sgpr28
	s_delay_alu instid0(SALU_CYCLE_1) | instskip(SKIP_1) | instid1(SALU_CYCLE_1)
	s_cmpk_lg_i32 s26, 0x2710
	s_cselect_b32 s27, -1, 0
	s_and_b32 vcc_lo, exec_lo, s27
	s_cbranch_vccz .LBB4_2938
.LBB4_2935:                             ;   in Loop: Header=BB4_2934 Depth=2
	s_and_not1_b32 s25, s25, exec_lo
	s_and_b32 s29, s28, exec_lo
	s_mov_b32 s28, -1
	s_or_b32 s25, s25, s29
	s_and_saveexec_b32 s29, s27
	s_cbranch_execz .LBB4_2933
; %bb.2936:                             ;   in Loop: Header=BB4_2934 Depth=2
	s_sleep 1
	s_cbranch_execz .LBB4_2937
; %bb.7937:
	s_getpc_b64 s[34:35]
.Lpost_getpc104:
	s_add_u32 s34, s34, (.LBB4_7701-.Lpost_getpc104)&4294967295
	s_addc_u32 s35, s35, (.LBB4_7701-.Lpost_getpc104)>>32
	s_setpc_b64 s[34:35]
.LBB4_2937:                             ;   in Loop: Header=BB4_2934 Depth=2
	ds_load_b64 v[10:11], v0
	s_and_not1_b32 s25, s25, exec_lo
	s_waitcnt lgkmcnt(0)
	v_cmp_ge_u64_e32 vcc_lo, v[10:11], v[28:29]
	s_or_not1_b32 s28, vcc_lo, exec_lo
	s_branch .LBB4_2933
.LBB4_2938:                             ;   in Loop: Header=BB4_2934 Depth=2
	s_cbranch_execz .LBB4_2939
; %bb.7939:
	s_getpc_b64 s[34:35]
.Lpost_getpc105:
	s_add_u32 s34, s34, (.LBB4_7717-.Lpost_getpc105)&4294967295
	s_addc_u32 s35, s35, (.LBB4_7717-.Lpost_getpc105)>>32
	s_setpc_b64 s[34:35]
.LBB4_2939:                             ;   in Loop: Header=BB4_2934 Depth=2
	ds_load_b64 v[10:11], v0
	s_and_not1_b32 s27, s27, exec_lo
	s_mov_b32 s26, 0
	s_mov_b32 s28, -1
	s_waitcnt lgkmcnt(0)
	flat_load_b32 v10, v[10:11] glc
	s_waitcnt vmcnt(0) lgkmcnt(0)
	buffer_gl1_inv
	buffer_gl0_inv
	v_cmp_eq_u32_e32 vcc_lo, 0, v10
	s_and_b32 s29, vcc_lo, exec_lo
	s_delay_alu instid0(SALU_CYCLE_1)
	s_or_b32 s27, s27, s29
	s_branch .LBB4_2935
.LBB4_2940:                             ;   in Loop: Header=BB4_2897 Depth=1
	s_or_b32 exec_lo, exec_lo, s23
	s_and_saveexec_b32 s23, s24
	s_delay_alu instid0(SALU_CYCLE_1)
	s_xor_b32 s23, exec_lo, s23
	s_cbranch_execz .LBB4_2942
; %bb.2941:                             ;   in Loop: Header=BB4_2897 Depth=1
	ds_store_b32 v0, v84
	s_cbranch_execz .LBB4_2942
; %bb.7941:
	s_getpc_b64 s[34:35]
.Lpost_getpc106:
	s_add_u32 s34, s34, (.LBB4_7797-.Lpost_getpc106)&4294967295
	s_addc_u32 s35, s35, (.LBB4_7797-.Lpost_getpc106)>>32
	s_setpc_b64 s[34:35]
.LBB4_2942:                             ;   in Loop: Header=BB4_2897 Depth=1
	s_or_b32 exec_lo, exec_lo, s22
	;;#ASMSTART
	s_wakeup
	;;#ASMEND
.LBB4_2943:                             ;   in Loop: Header=BB4_2897 Depth=1
	s_or_b32 exec_lo, exec_lo, s21
.LBB4_2944:                             ;   in Loop: Header=BB4_2897 Depth=1
	s_and_not1_saveexec_b32 s10, s10
	s_cbranch_execz .LBB4_2946
; %bb.2945:                             ;   in Loop: Header=BB4_2897 Depth=1
	s_waitcnt lgkmcnt(0)
	s_waitcnt_vscnt null, 0x0
	buffer_gl1_inv
	buffer_gl0_inv
	s_barrier
.LBB4_2946:                             ;   in Loop: Header=BB4_2897 Depth=1
	s_or_b32 exec_lo, exec_lo, s10
.LBB4_2947:                             ;   in Loop: Header=BB4_2897 Depth=1
	s_delay_alu instid0(SALU_CYCLE_1)
	s_or_b32 exec_lo, exec_lo, s7
	s_cbranch_execz .LBB4_2948
; %bb.7943:
	s_getpc_b64 s[34:35]
.Lpost_getpc107:
	s_add_u32 s34, s34, (.LBB4_7592-.Lpost_getpc107)&4294967295
	s_addc_u32 s35, s35, (.LBB4_7592-.Lpost_getpc107)>>32
	s_setpc_b64 s[34:35]
.LBB4_2948:                             ;   in Loop: Header=BB4_2897 Depth=1
	ds_load_b32 v10, v0
	v_and_b32_e32 v11, 0x4000, v64
	s_delay_alu instid0(VALU_DEP_1) | instskip(SKIP_1) | instid1(SALU_CYCLE_1)
	v_cmp_ne_u32_e32 vcc_lo, 0, v11
	s_and_b32 s10, s18, vcc_lo
	s_and_saveexec_b32 s7, s10
	s_cbranch_execz .LBB4_2970
; %bb.2949:                             ;   in Loop: Header=BB4_2897 Depth=1
	s_and_saveexec_b32 s10, s3
	s_delay_alu instid0(SALU_CYCLE_1)
	s_xor_b32 s10, exec_lo, s10
	s_cbranch_execz .LBB4_2967
; %bb.2950:                             ;   in Loop: Header=BB4_2897 Depth=1
	s_and_saveexec_b32 s21, s4
	s_cbranch_execz .LBB4_2966
; %bb.2951:                             ;   in Loop: Header=BB4_2897 Depth=1
	s_mov_b32 s23, exec_lo
	s_mov_b32 s22, exec_lo
	v_mbcnt_lo_u32_b32 v11, s23, 0
	s_waitcnt lgkmcnt(0)
	s_waitcnt_vscnt null, 0x0
	buffer_gl1_inv
	buffer_gl0_inv
	v_cmpx_eq_u32_e32 0, v11
	s_cbranch_execz .LBB4_2953
; %bb.2952:                             ;   in Loop: Header=BB4_2897 Depth=1
	s_bcnt1_i32_b32 s23, s23
	s_delay_alu instid0(SALU_CYCLE_1)
	v_mov_b32_e32 v34, s23
	ds_add_u64 v0, v[34:35]
	s_cbranch_execz .LBB4_2953
; %bb.7945:
	s_getpc_b64 s[34:35]
.Lpost_getpc108:
	s_add_u32 s34, s34, (.LBB4_7697-.Lpost_getpc108)&4294967295
	s_addc_u32 s35, s35, (.LBB4_7697-.Lpost_getpc108)>>32
	s_setpc_b64 s[34:35]
.LBB4_2953:                             ;   in Loop: Header=BB4_2897 Depth=1
	s_or_b32 exec_lo, exec_lo, s22
	s_cbranch_execz .LBB4_2954
; %bb.7947:
	s_getpc_b64 s[34:35]
.Lpost_getpc109:
	s_add_u32 s34, s34, (.LBB4_7683-.Lpost_getpc109)&4294967295
	s_addc_u32 s35, s35, (.LBB4_7683-.Lpost_getpc109)>>32
	s_setpc_b64 s[34:35]
.LBB4_2954:                             ;   in Loop: Header=BB4_2897 Depth=1
	ds_load_b64 v[11:12], v0
	v_add_co_u32 v28, vcc_lo, v28, v54
	v_add_co_ci_u32_e32 v29, vcc_lo, 0, v29, vcc_lo
	s_mov_b32 s22, exec_lo
	s_waitcnt lgkmcnt(0)
	s_delay_alu instid0(VALU_DEP_1)
	v_cmpx_lt_u64_e64 v[11:12], v[28:29]
	s_cbranch_execz .LBB4_2965
; %bb.2955:                             ;   in Loop: Header=BB4_2897 Depth=1
	s_mov_b32 s23, 0
	s_mov_b32 s26, 0
                                        ; implicit-def: $sgpr24
                                        ; implicit-def: $sgpr25
	s_branch .LBB4_2957
.LBB4_2956:                             ;   in Loop: Header=BB4_2957 Depth=2
	s_or_b32 exec_lo, exec_lo, s29
	s_delay_alu instid0(SALU_CYCLE_1) | instskip(NEXT) | instid1(SALU_CYCLE_1)
	s_and_b32 s27, exec_lo, s28
	s_or_b32 s23, s27, s23
	s_and_not1_b32 s24, s24, exec_lo
	s_and_b32 s27, s25, exec_lo
	s_delay_alu instid0(SALU_CYCLE_1)
	s_or_b32 s24, s24, s27
	s_and_not1_b32 exec_lo, exec_lo, s23
	s_cbranch_execz .LBB4_2963
.LBB4_2957:                             ;   Parent Loop BB4_2897 Depth=1
                                        ; =>  This Inner Loop Header: Depth=2
	s_add_i32 s26, s26, 1
                                        ; implicit-def: $sgpr28
	s_delay_alu instid0(SALU_CYCLE_1) | instskip(SKIP_1) | instid1(SALU_CYCLE_1)
	s_cmpk_lg_i32 s26, 0x2710
	s_cselect_b32 s27, -1, 0
	s_and_b32 vcc_lo, exec_lo, s27
	s_cbranch_vccz .LBB4_2961
.LBB4_2958:                             ;   in Loop: Header=BB4_2957 Depth=2
	s_and_not1_b32 s25, s25, exec_lo
	s_and_b32 s29, s28, exec_lo
	s_mov_b32 s28, -1
	s_or_b32 s25, s25, s29
	s_and_saveexec_b32 s29, s27
	s_cbranch_execz .LBB4_2956
; %bb.2959:                             ;   in Loop: Header=BB4_2957 Depth=2
	s_sleep 1
	s_cbranch_execz .LBB4_2960
; %bb.7949:
	s_getpc_b64 s[34:35]
.Lpost_getpc110:
	s_add_u32 s34, s34, (.LBB4_7755-.Lpost_getpc110)&4294967295
	s_addc_u32 s35, s35, (.LBB4_7755-.Lpost_getpc110)>>32
	s_setpc_b64 s[34:35]
.LBB4_2960:                             ;   in Loop: Header=BB4_2957 Depth=2
	ds_load_b64 v[11:12], v0
	s_and_not1_b32 s25, s25, exec_lo
	s_waitcnt lgkmcnt(0)
	v_cmp_ge_u64_e32 vcc_lo, v[11:12], v[28:29]
	s_or_not1_b32 s28, vcc_lo, exec_lo
	s_branch .LBB4_2956
.LBB4_2961:                             ;   in Loop: Header=BB4_2957 Depth=2
	s_cbranch_execz .LBB4_2962
; %bb.7951:
	s_getpc_b64 s[34:35]
.Lpost_getpc111:
	s_add_u32 s34, s34, (.LBB4_7763-.Lpost_getpc111)&4294967295
	s_addc_u32 s35, s35, (.LBB4_7763-.Lpost_getpc111)>>32
	s_setpc_b64 s[34:35]
.LBB4_2962:                             ;   in Loop: Header=BB4_2957 Depth=2
	ds_load_b64 v[11:12], v0
	s_and_not1_b32 s27, s27, exec_lo
	s_mov_b32 s26, 0
	s_mov_b32 s28, -1
	s_waitcnt lgkmcnt(0)
	flat_load_b32 v11, v[11:12] glc
	s_waitcnt vmcnt(0) lgkmcnt(0)
	buffer_gl1_inv
	buffer_gl0_inv
	v_cmp_eq_u32_e32 vcc_lo, 0, v11
	s_and_b32 s29, vcc_lo, exec_lo
	s_delay_alu instid0(SALU_CYCLE_1)
	s_or_b32 s27, s27, s29
	s_branch .LBB4_2958
.LBB4_2963:                             ;   in Loop: Header=BB4_2897 Depth=1
	s_or_b32 exec_lo, exec_lo, s23
	s_and_saveexec_b32 s23, s24
	s_delay_alu instid0(SALU_CYCLE_1)
	s_xor_b32 s23, exec_lo, s23
	s_cbranch_execz .LBB4_2965
; %bb.2964:                             ;   in Loop: Header=BB4_2897 Depth=1
	ds_store_b32 v0, v84
	s_cbranch_execz .LBB4_2965
; %bb.7953:
	s_getpc_b64 s[34:35]
.Lpost_getpc112:
	s_add_u32 s34, s34, (.LBB4_7807-.Lpost_getpc112)&4294967295
	s_addc_u32 s35, s35, (.LBB4_7807-.Lpost_getpc112)>>32
	s_setpc_b64 s[34:35]
.LBB4_2965:                             ;   in Loop: Header=BB4_2897 Depth=1
	s_or_b32 exec_lo, exec_lo, s22
	;;#ASMSTART
	s_wakeup
	;;#ASMEND
.LBB4_2966:                             ;   in Loop: Header=BB4_2897 Depth=1
	s_or_b32 exec_lo, exec_lo, s21
.LBB4_2967:                             ;   in Loop: Header=BB4_2897 Depth=1
	s_and_not1_saveexec_b32 s10, s10
	s_cbranch_execz .LBB4_2969
; %bb.2968:                             ;   in Loop: Header=BB4_2897 Depth=1
	s_waitcnt lgkmcnt(0)
	s_waitcnt_vscnt null, 0x0
	buffer_gl1_inv
	buffer_gl0_inv
	s_barrier
.LBB4_2969:                             ;   in Loop: Header=BB4_2897 Depth=1
	s_or_b32 exec_lo, exec_lo, s10
.LBB4_2970:                             ;   in Loop: Header=BB4_2897 Depth=1
	s_delay_alu instid0(SALU_CYCLE_1)
	s_or_b32 exec_lo, exec_lo, s7
	s_cbranch_execz .LBB4_2971
; %bb.7955:
	s_getpc_b64 s[34:35]
.Lpost_getpc113:
	s_add_u32 s34, s34, (.LBB4_7625-.Lpost_getpc113)&4294967295
	s_addc_u32 s35, s35, (.LBB4_7625-.Lpost_getpc113)>>32
	s_setpc_b64 s[34:35]
.LBB4_2971:                             ;   in Loop: Header=BB4_2897 Depth=1
	ds_load_b64 v[11:12], v0
	v_min_u32_e32 v39, v39, v38
	s_waitcnt lgkmcnt(0)
	v_cmp_eq_u64_e32 vcc_lo, 0, v[11:12]
	s_or_b32 s7, vcc_lo, vcc_lo
	s_delay_alu instid0(SALU_CYCLE_1)
	s_and_b32 vcc_lo, exec_lo, s7
	s_mov_b32 s7, 0
	s_cbranch_vccnz .LBB4_5642
; %bb.2972:                             ;   in Loop: Header=BB4_2897 Depth=1
	s_mov_b32 s7, -1
	s_and_saveexec_b32 s10, s5
	s_cbranch_execz .LBB4_2974
; %bb.2973:                             ;   in Loop: Header=BB4_2897 Depth=1
	ds_load_b32 v11, v0 offset:720
	s_waitcnt lgkmcnt(0)
	v_and_b32_e32 v11, 15, v11
	s_delay_alu instid0(VALU_DEP_1)
	v_cmp_eq_u32_e32 vcc_lo, 0, v11
	s_or_not1_b32 s7, vcc_lo, exec_lo
.LBB4_2974:                             ;   in Loop: Header=BB4_2897 Depth=1
	s_or_b32 exec_lo, exec_lo, s10
	s_and_saveexec_b32 s10, s6
	s_cbranch_execz .LBB4_2976
; %bb.2975:                             ;   in Loop: Header=BB4_2897 Depth=1
	ds_load_b32 v11, v0 offset:784
	s_waitcnt lgkmcnt(0)
	v_and_b32_e32 v11, 15, v11
	s_delay_alu instid0(VALU_DEP_1) | instskip(SKIP_3) | instid1(SALU_CYCLE_1)
	v_cmp_eq_u32_e32 vcc_lo, 0, v11
	s_and_b32 s21, s7, vcc_lo
	s_and_not1_b32 s7, s7, exec_lo
	s_and_b32 s21, s21, exec_lo
	s_or_b32 s7, s7, s21
.LBB4_2976:                             ;   in Loop: Header=BB4_2897 Depth=1
	s_or_b32 exec_lo, exec_lo, s10
	v_cmp_eq_u32_e32 vcc_lo, 0, v10
	s_xor_b32 s7, s7, -1
	v_mov_b32_e32 v50, v0
	v_cndmask_b32_e64 v11, 0, 1, s7
	;;#ASMSTART
	;;#ASMEND
	v_cndmask_b32_e32 v34, 0, v39, vcc_lo
	s_delay_alu instid0(VALU_DEP_2)
	v_cmp_ne_u32_e32 vcc_lo, 0, v11
	v_mov_b32_e32 v48, 0
	v_mov_b32_e32 v10, v66
	s_mov_b32 s7, -1
	v_mov_b32_e32 v49, v34
	s_cbranch_vccnz .LBB4_4930
; %bb.2977:                             ;   in Loop: Header=BB4_2897 Depth=1
	v_lshrrev_b32_e32 v10, 10, v34
	s_mov_b32 s10, exec_lo
	s_delay_alu instid0(VALU_DEP_1) | instskip(NEXT) | instid1(VALU_DEP_1)
	v_sub_nc_u32_e32 v85, v10, v66
	v_cmpx_lt_i32_e32 0, v85
	s_cbranch_execz .LBB4_4271
; %bb.2978:                             ;   in Loop: Header=BB4_2897 Depth=1
	s_cbranch_execz .LBB4_2979
; %bb.7957:
	s_getpc_b64 s[34:35]
.Lpost_getpc114:
	s_add_u32 s34, s34, (.LBB4_7719-.Lpost_getpc114)&4294967295
	s_addc_u32 s35, s35, (.LBB4_7719-.Lpost_getpc114)>>32
	s_setpc_b64 s[34:35]
.LBB4_2979:                             ;   in Loop: Header=BB4_2897 Depth=1
	ds_load_b64 v[14:15], v0
	ds_load_b128 v[10:13], v0
	s_waitcnt lgkmcnt(1)
	v_readfirstlane_b32 s7, v14
	s_waitcnt lgkmcnt(0)
	v_add_co_u32 v48, vcc_lo, v10, v69
	v_add_co_ci_u32_e32 v49, vcc_lo, v11, v80, vcc_lo
	s_delay_alu instid0(VALU_DEP_3)
	s_and_b32 s21, s7, 7
	s_bfe_u32 s24, s7, 0x40003
	s_clz_i32_u32 s22, s21
	v_add_co_u32 v50, vcc_lo, v12, v69
	s_min_u32 s22, s22, 32
	v_add_co_ci_u32_e32 v51, vcc_lo, v13, v80, vcc_lo
	s_sub_i32 s23, s22, 28
	s_sub_i32 s22, 29, s22
	s_lshl_b32 s23, s7, s23
	v_add_co_u32 v52, vcc_lo, v14, v69
	s_and_b32 s23, s23, 7
	s_cmp_eq_u32 s24, 0
	v_add_co_ci_u32_e32 v53, vcc_lo, v15, v80, vcc_lo
	s_cselect_b32 s22, s22, s24
	s_cselect_b32 s21, s23, s21
	s_lshl_b32 s7, s7, 24
	s_lshl_b32 s23, s21, 20
	;; [unrolled: 1-line block ×3, first 2 shown]
	s_and_b32 s7, s7, 0x80000000
	s_add_i32 s21, s21, 0x3b800000
	v_and_b32_e32 v86, 0xff, v14
	s_or_b32 s7, s7, s21
	s_mov_b32 s21, 0
	s_or_b32 s22, s7, s23
	s_branch .LBB4_2983
.LBB4_2980:                             ;   in Loop: Header=BB4_2983 Depth=2
	s_or_b32 exec_lo, exec_lo, s7
	s_delay_alu instid0(VALU_DEP_1) | instskip(NEXT) | instid1(VALU_DEP_2)
	v_lshrrev_b32_e32 v103, 20, v103
	v_min_i32_e32 v117, 15, v100
	v_cmp_gt_i32_e32 vcc_lo, 16, v100
	v_lshrrev_b32_e32 v13, 24, v13
	s_delay_alu instid0(VALU_DEP_3) | instskip(SKIP_1) | instid1(VALU_DEP_3)
	v_lshlrev_b32_e32 v117, 3, v117
	v_cndmask_b32_e32 v103, 7, v103, vcc_lo
	v_and_b32_e32 v13, 0x80, v13
	s_delay_alu instid0(VALU_DEP_3) | instskip(NEXT) | instid1(VALU_DEP_3)
	v_and_b32_e32 v117, 0xf8, v117
	v_and_b32_e32 v129, 7, v103
	v_or_b32_e32 v100, v100, v103
	s_delay_alu instid0(VALU_DEP_2) | instskip(NEXT) | instid1(VALU_DEP_2)
	v_or3_b32 v13, v13, v117, v129
	v_cmp_ne_u32_e32 vcc_lo, 0, v100
	s_delay_alu instid0(VALU_DEP_2) | instskip(NEXT) | instid1(VALU_DEP_1)
	v_lshlrev_b32_e32 v13, 8, v13
	v_cndmask_b32_e32 v100, 0, v13, vcc_lo
.LBB4_2981:                             ;   in Loop: Header=BB4_2983 Depth=2
	s_or_b32 exec_lo, exec_lo, s24
.LBB4_2982:                             ;   in Loop: Header=BB4_2983 Depth=2
	s_delay_alu instid0(SALU_CYCLE_1)
	s_or_b32 exec_lo, exec_lo, s23
	v_or_b32_e32 v13, v15, v144
	v_and_b32_e32 v103, 0xff, v113
	v_lshlrev_b32_e32 v113, 24, v14
	v_lshlrev_b32_e32 v14, 8, v99
	v_and_b32_e32 v99, 0xff, v145
	v_lshlrev_b32_e32 v117, 8, v146
	v_and_b32_e32 v15, 0xff, v128
	v_lshlrev_b32_e32 v13, 16, v13
	v_lshlrev_b32_e32 v103, 16, v103
	v_perm_b32 v87, v14, v87, 0xc0c0500
	v_lshlrev_b32_e32 v16, 24, v16
	v_lshlrev_b32_e32 v99, 16, v99
	v_perm_b32 v117, v117, v148, 0xc0c0500
	v_or_b32_e32 v17, v17, v132
	v_or3_b32 v14, v131, v15, v13
	v_or3_b32 v13, v113, v103, v87
	v_or_b32_e32 v11, v11, v114
	v_and_b32_e32 v87, 0xff, v118
	v_lshlrev_b32_e32 v103, 8, v119
	v_and_b32_e32 v101, 0xff, v101
	v_lshlrev_b32_e32 v102, 8, v102
	v_or_b32_e32 v96, v100, v96
	v_or3_b32 v15, v16, v99, v117
	v_and_b32_e32 v16, 0xff, v133
	v_lshlrev_b32_e32 v17, 16, v17
	v_and_b32_e32 v99, 0xff, v115
	v_lshlrev_b32_e32 v11, 16, v11
	v_lshlrev_b32_e32 v10, 24, v10
	;; [unrolled: 1-line block ×3, first 2 shown]
	v_perm_b32 v103, v103, v130, 0xc0c0500
	v_lshlrev_b32_e32 v12, 24, v12
	v_lshlrev_b32_e32 v101, 16, v101
	v_perm_b32 v102, v102, v112, 0xc0c0500
	v_and_b32_e32 v97, 0xff, v97
	v_lshlrev_b32_e32 v96, 16, v96
	v_add_co_u32 v48, vcc_lo, v48, v70
	v_or3_b32 v16, v134, v16, v17
	v_sub_nc_u32_e32 v85, v85, v54
	v_or3_b32 v100, v116, v99, v11
	v_or3_b32 v99, v10, v87, v103
	v_or3_b32 v101, v12, v101, v102
	v_or3_b32 v102, v98, v97, v96
	v_add_co_ci_u32_e32 v49, vcc_lo, v49, v71, vcc_lo
	v_add_co_u32 v50, vcc_lo, v50, v70
	v_add_co_ci_u32_e32 v51, vcc_lo, v51, v71, vcc_lo
	s_clause 0x1
	global_store_b128 v[52:53], v[13:16], off glc slc dlc
	global_store_b128 v[52:53], v[99:102], off offset:512 glc slc dlc
	v_cmp_gt_i32_e32 vcc_lo, 1, v85
	v_add_co_u32 v52, s7, v52, v70
	s_delay_alu instid0(VALU_DEP_1) | instskip(SKIP_1) | instid1(SALU_CYCLE_1)
	v_add_co_ci_u32_e64 v53, s7, v53, v71, s7
	s_or_b32 s21, vcc_lo, s21
	s_and_not1_b32 exec_lo, exec_lo, s21
	s_cbranch_execz .LBB4_4270
.LBB4_2983:                             ;   Parent Loop BB4_2897 Depth=1
                                        ; =>  This Inner Loop Header: Depth=2
	v_cmp_gt_i16_e32 vcc_lo, 0x80, v86
	s_cbranch_vccnz .LBB4_2987
; %bb.2984:                             ;   in Loop: Header=BB4_2983 Depth=2
	v_cmp_eq_u16_e32 vcc_lo, 0x80, v86
	s_mov_b32 s7, -1
                                        ; implicit-def: $sgpr23
	s_cbranch_vccz .LBB4_2986
; %bb.2985:                             ;   in Loop: Header=BB4_2983 Depth=2
	s_mov_b32 s7, 0
	s_mov_b32 s23, 0x7f800001
.LBB4_2986:                             ;   in Loop: Header=BB4_2983 Depth=2
	s_mov_b32 s24, 0
	s_branch .LBB4_2988
.LBB4_2987:                             ;   in Loop: Header=BB4_2983 Depth=2
	s_mov_b32 s24, -1
	s_mov_b32 s7, 0
                                        ; implicit-def: $sgpr23
.LBB4_2988:                             ;   in Loop: Header=BB4_2983 Depth=2
	s_and_b32 vcc_lo, exec_lo, s24
	s_cbranch_vccz .LBB4_2990
; %bb.2989:                             ;   in Loop: Header=BB4_2983 Depth=2
	v_cmp_ne_u16_e64 s7, 0, v86
	s_mov_b32 s23, 0
.LBB4_2990:                             ;   in Loop: Header=BB4_2983 Depth=2
	s_delay_alu instid0(VALU_DEP_1)
	s_and_not1_b32 vcc_lo, exec_lo, s7
	s_cbranch_vccnz .LBB4_2992
; %bb.2991:                             ;   in Loop: Header=BB4_2983 Depth=2
	s_mov_b32 s23, s22
.LBB4_2992:                             ;   in Loop: Header=BB4_2983 Depth=2
	global_load_b128 v[10:13], v[48:49], off slc dlc
	s_mov_b32 s7, 0
	s_mov_b32 s25, exec_lo
                                        ; implicit-def: $sgpr24
	s_waitcnt vmcnt(0)
	v_and_b32_e32 v15, 0xff, v10
	s_delay_alu instid0(VALU_DEP_1)
	v_cmpx_lt_i16_e32 0x7f, v15
	s_xor_b32 s25, exec_lo, s25
	s_cbranch_execnz .LBB4_3886
; %bb.2993:                             ;   in Loop: Header=BB4_2983 Depth=2
	s_or_saveexec_b32 s25, s25
	v_mov_b32_e32 v14, s24
	s_xor_b32 exec_lo, exec_lo, s25
	s_cbranch_execnz .LBB4_3889
.LBB4_2994:                             ;   in Loop: Header=BB4_2983 Depth=2
	s_or_b32 exec_lo, exec_lo, s25
	s_and_saveexec_b32 s24, s7
	s_cbranch_execz .LBB4_2996
.LBB4_2995:                             ;   in Loop: Header=BB4_2983 Depth=2
	v_bfe_u32 v17, v10, 3, 4
	s_delay_alu instid0(VALU_DEP_1) | instskip(SKIP_1) | instid1(VALU_DEP_1)
	v_cmp_eq_u32_e32 vcc_lo, 0, v17
	v_and_b32_e32 v14, 7, v10
	v_clz_i32_u32_e32 v15, v14
	s_delay_alu instid0(VALU_DEP_1) | instskip(NEXT) | instid1(VALU_DEP_1)
	v_min_u32_e32 v15, 32, v15
	v_subrev_nc_u32_e32 v16, 28, v15
	v_sub_nc_u32_e32 v15, 29, v15
	s_delay_alu instid0(VALU_DEP_1) | instskip(NEXT) | instid1(VALU_DEP_1)
	v_dual_cndmask_b32 v15, v17, v15 :: v_dual_lshlrev_b32 v16, v16, v10
	v_and_b32_e32 v16, 7, v16
	v_lshlrev_b32_e32 v87, 24, v10
	s_delay_alu instid0(VALU_DEP_3) | instskip(NEXT) | instid1(VALU_DEP_3)
	v_lshl_add_u32 v15, v15, 23, 0x3b800000
	v_cndmask_b32_e32 v14, v14, v16, vcc_lo
	s_delay_alu instid0(VALU_DEP_3) | instskip(NEXT) | instid1(VALU_DEP_2)
	v_and_b32_e32 v16, 0x80000000, v87
	v_lshlrev_b32_e32 v14, 20, v14
	s_delay_alu instid0(VALU_DEP_1)
	v_or3_b32 v14, v16, v15, v14
.LBB4_2996:                             ;   in Loop: Header=BB4_2983 Depth=2
	s_or_b32 exec_lo, exec_lo, s24
	s_delay_alu instid0(VALU_DEP_1) | instskip(SKIP_1) | instid1(VALU_DEP_1)
	v_dual_mul_f32 v14, s23, v14 :: v_dual_mov_b32 v87, 0x80
	s_mov_b32 s24, exec_lo
	v_and_b32_e32 v15, 0x7f800000, v14
	s_delay_alu instid0(VALU_DEP_1)
	v_cmpx_ne_u32_e32 0x7f800000, v15
	s_cbranch_execz .LBB4_3004
; %bb.2997:                             ;   in Loop: Header=BB4_2983 Depth=2
	v_mov_b32_e32 v87, 0
	s_mov_b32 s25, exec_lo
	v_cmpx_ne_u32_e32 0, v14
	s_cbranch_execz .LBB4_3003
; %bb.2998:                             ;   in Loop: Header=BB4_2983 Depth=2
	v_bfe_u32 v15, v14, 23, 8
	s_delay_alu instid0(VALU_DEP_1) | instskip(SKIP_1) | instid1(VALU_DEP_2)
	v_sub_nc_u32_e32 v17, 0x78, v15
	v_cmp_gt_u32_e32 vcc_lo, 0x79, v15
	v_dual_cndmask_b32 v17, 0, v17 :: v_dual_and_b32 v16, 0x7fffff, v14
	s_delay_alu instid0(VALU_DEP_1) | instskip(SKIP_2) | instid1(VALU_DEP_4)
	v_or_b32_e32 v87, 0x800000, v16
	v_cmp_eq_u32_e32 vcc_lo, 0, v15
	v_add_nc_u32_e32 v15, 0xffffff89, v15
	v_cndmask_b32_e64 v17, v17, 0x77, vcc_lo
	s_delay_alu instid0(VALU_DEP_4) | instskip(NEXT) | instid1(VALU_DEP_3)
	v_cndmask_b32_e32 v16, v87, v16, vcc_lo
	v_cndmask_b32_e64 v15, v15, 0xffffff8a, vcc_lo
	s_delay_alu instid0(VALU_DEP_3) | instskip(NEXT) | instid1(VALU_DEP_3)
	v_lshl_add_u32 v87, 0x100000, v17, -1
	v_lshrrev_b32_e32 v96, v17, v16
	v_lshlrev_b32_e64 v98, v17, 0x80000
	s_delay_alu instid0(VALU_DEP_4) | instskip(NEXT) | instid1(VALU_DEP_4)
	v_add_nc_u32_e32 v17, v17, v15
	v_and_b32_e32 v16, v87, v16
	s_delay_alu instid0(VALU_DEP_4) | instskip(NEXT) | instid1(VALU_DEP_2)
	v_bfe_u32 v97, v96, 20, 1
	v_cmp_eq_u32_e64 s7, v16, v98
	s_delay_alu instid0(VALU_DEP_2) | instskip(NEXT) | instid1(VALU_DEP_1)
	v_add_nc_u32_e32 v87, -1, v97
	v_cndmask_b32_e64 v16, 0, v87, s7
	v_lshrrev_b32_e32 v87, 23, v96
	s_mov_b32 s7, exec_lo
	s_delay_alu instid0(VALU_DEP_2) | instskip(NEXT) | instid1(VALU_DEP_2)
	v_add_nc_u32_e32 v16, v16, v96
	v_xor_b32_e32 v87, 1, v87
	s_delay_alu instid0(VALU_DEP_2) | instskip(NEXT) | instid1(VALU_DEP_1)
	v_and_b32_e32 v15, 0xfffff, v16
	v_add_nc_u32_e32 v16, v15, v96
                                        ; implicit-def: $vgpr15
	s_delay_alu instid0(VALU_DEP_3)
	v_cmpx_ne_u32_e64 v17, v87
	s_xor_b32 s7, exec_lo, s7
; %bb.2999:                             ;   in Loop: Header=BB4_2983 Depth=2
	s_delay_alu instid0(VALU_DEP_2) | instskip(SKIP_2) | instid1(VALU_DEP_2)
	v_cmp_lt_u32_e32 vcc_lo, 0xffffff, v16
	v_sub_nc_u32_e32 v15, v17, v87
	v_cndmask_b32_e64 v17, 0, 1, vcc_lo
	v_add_co_ci_u32_e32 v15, vcc_lo, 0, v15, vcc_lo
	s_delay_alu instid0(VALU_DEP_2)
	v_lshrrev_b32_e32 v16, v17, v16
; %bb.3000:                             ;   in Loop: Header=BB4_2983 Depth=2
	s_and_not1_saveexec_b32 s7, s7
; %bb.3001:                             ;   in Loop: Header=BB4_2983 Depth=2
	s_delay_alu instid0(VALU_DEP_1)
	v_bfe_u32 v15, v16, 23, 1
; %bb.3002:                             ;   in Loop: Header=BB4_2983 Depth=2
	s_or_b32 exec_lo, exec_lo, s7
	v_lshrrev_b32_e32 v16, 20, v16
	s_delay_alu instid0(VALU_DEP_2) | instskip(SKIP_2) | instid1(VALU_DEP_4)
	v_cmp_gt_i32_e32 vcc_lo, 16, v15
	v_lshrrev_b32_e32 v14, 24, v14
	v_min_i32_e32 v17, 15, v15
	v_cndmask_b32_e32 v16, 7, v16, vcc_lo
	s_delay_alu instid0(VALU_DEP_3) | instskip(NEXT) | instid1(VALU_DEP_3)
	v_and_b32_e32 v14, 0x80, v14
	v_lshlrev_b32_e32 v17, 3, v17
	s_delay_alu instid0(VALU_DEP_3) | instskip(SKIP_1) | instid1(VALU_DEP_2)
	v_and_b32_e32 v87, 7, v16
	v_or_b32_e32 v15, v15, v16
	v_or3_b32 v14, v17, v14, v87
	s_delay_alu instid0(VALU_DEP_2) | instskip(NEXT) | instid1(VALU_DEP_2)
	v_cmp_ne_u32_e32 vcc_lo, 0, v15
	v_cndmask_b32_e32 v87, 0, v14, vcc_lo
.LBB4_3003:                             ;   in Loop: Header=BB4_2983 Depth=2
	s_or_b32 exec_lo, exec_lo, s25
.LBB4_3004:                             ;   in Loop: Header=BB4_2983 Depth=2
	s_delay_alu instid0(SALU_CYCLE_1) | instskip(SKIP_3) | instid1(VALU_DEP_1)
	s_or_b32 exec_lo, exec_lo, s24
	v_lshrrev_b16 v14, 8, v10
	s_mov_b32 s7, 0
	s_mov_b32 s25, exec_lo
                                        ; implicit-def: $sgpr24
	v_cmpx_lt_i16_e32 0x7f, v14
	s_xor_b32 s25, exec_lo, s25
	s_cbranch_execnz .LBB4_3890
; %bb.3005:                             ;   in Loop: Header=BB4_2983 Depth=2
	s_or_saveexec_b32 s25, s25
	v_mov_b32_e32 v15, s24
	s_xor_b32 exec_lo, exec_lo, s25
	s_cbranch_execnz .LBB4_3893
.LBB4_3006:                             ;   in Loop: Header=BB4_2983 Depth=2
	s_or_b32 exec_lo, exec_lo, s25
	s_and_saveexec_b32 s24, s7
	s_cbranch_execz .LBB4_3008
.LBB4_3007:                             ;   in Loop: Header=BB4_2983 Depth=2
	v_and_b32_e32 v15, 0xffff, v14
	v_lshlrev_b32_e32 v14, 24, v14
	s_delay_alu instid0(VALU_DEP_2) | instskip(NEXT) | instid1(VALU_DEP_2)
	v_and_b32_e32 v16, 7, v15
	v_and_b32_e32 v14, 0x80000000, v14
	s_delay_alu instid0(VALU_DEP_2) | instskip(NEXT) | instid1(VALU_DEP_1)
	v_clz_i32_u32_e32 v17, v16
	v_min_u32_e32 v17, 32, v17
	s_delay_alu instid0(VALU_DEP_1) | instskip(SKIP_1) | instid1(VALU_DEP_2)
	v_subrev_nc_u32_e32 v96, 28, v17
	v_sub_nc_u32_e32 v17, 29, v17
	v_lshlrev_b32_e32 v96, v96, v15
	v_bfe_u32 v15, v15, 3, 4
	s_delay_alu instid0(VALU_DEP_2) | instskip(NEXT) | instid1(VALU_DEP_2)
	v_and_b32_e32 v96, 7, v96
	v_cmp_eq_u32_e32 vcc_lo, 0, v15
	s_delay_alu instid0(VALU_DEP_2) | instskip(NEXT) | instid1(VALU_DEP_1)
	v_dual_cndmask_b32 v15, v15, v17 :: v_dual_cndmask_b32 v16, v16, v96
	v_lshl_add_u32 v15, v15, 23, 0x3b800000
	s_delay_alu instid0(VALU_DEP_2) | instskip(NEXT) | instid1(VALU_DEP_1)
	v_lshlrev_b32_e32 v16, 20, v16
	v_or3_b32 v15, v14, v15, v16
.LBB4_3008:                             ;   in Loop: Header=BB4_2983 Depth=2
	s_or_b32 exec_lo, exec_lo, s24
	s_delay_alu instid0(VALU_DEP_1) | instskip(SKIP_1) | instid1(VALU_DEP_1)
	v_dual_mul_f32 v14, s23, v15 :: v_dual_mov_b32 v99, 0x80
	s_mov_b32 s24, exec_lo
	v_and_b32_e32 v15, 0x7f800000, v14
	s_delay_alu instid0(VALU_DEP_1)
	v_cmpx_ne_u32_e32 0x7f800000, v15
	s_cbranch_execz .LBB4_3016
; %bb.3009:                             ;   in Loop: Header=BB4_2983 Depth=2
	v_mov_b32_e32 v99, 0
	s_mov_b32 s25, exec_lo
	v_cmpx_ne_u32_e32 0, v14
	s_cbranch_execz .LBB4_3015
; %bb.3010:                             ;   in Loop: Header=BB4_2983 Depth=2
	v_bfe_u32 v15, v14, 23, 8
	s_delay_alu instid0(VALU_DEP_1) | instskip(SKIP_1) | instid1(VALU_DEP_2)
	v_sub_nc_u32_e32 v17, 0x78, v15
	v_cmp_gt_u32_e32 vcc_lo, 0x79, v15
	v_dual_cndmask_b32 v17, 0, v17 :: v_dual_and_b32 v16, 0x7fffff, v14
	s_delay_alu instid0(VALU_DEP_1) | instskip(SKIP_2) | instid1(VALU_DEP_4)
	v_or_b32_e32 v96, 0x800000, v16
	v_cmp_eq_u32_e32 vcc_lo, 0, v15
	v_add_nc_u32_e32 v15, 0xffffff89, v15
	v_cndmask_b32_e64 v17, v17, 0x77, vcc_lo
	s_delay_alu instid0(VALU_DEP_4) | instskip(NEXT) | instid1(VALU_DEP_3)
	v_cndmask_b32_e32 v16, v96, v16, vcc_lo
	v_cndmask_b32_e64 v15, v15, 0xffffff8a, vcc_lo
	s_delay_alu instid0(VALU_DEP_3) | instskip(NEXT) | instid1(VALU_DEP_3)
	v_lshl_add_u32 v96, 0x100000, v17, -1
	v_lshrrev_b32_e32 v97, v17, v16
	v_lshlrev_b32_e64 v99, v17, 0x80000
	s_delay_alu instid0(VALU_DEP_4) | instskip(NEXT) | instid1(VALU_DEP_4)
	v_add_nc_u32_e32 v17, v17, v15
	v_and_b32_e32 v16, v96, v16
	s_delay_alu instid0(VALU_DEP_4) | instskip(NEXT) | instid1(VALU_DEP_2)
	v_bfe_u32 v98, v97, 20, 1
	v_cmp_eq_u32_e64 s7, v16, v99
	s_delay_alu instid0(VALU_DEP_2) | instskip(NEXT) | instid1(VALU_DEP_1)
	v_add_nc_u32_e32 v96, -1, v98
	v_cndmask_b32_e64 v16, 0, v96, s7
	v_lshrrev_b32_e32 v96, 23, v97
	s_mov_b32 s7, exec_lo
	s_delay_alu instid0(VALU_DEP_2) | instskip(NEXT) | instid1(VALU_DEP_2)
	v_add_nc_u32_e32 v16, v16, v97
	v_xor_b32_e32 v96, 1, v96
	s_delay_alu instid0(VALU_DEP_2) | instskip(NEXT) | instid1(VALU_DEP_1)
	v_and_b32_e32 v15, 0xfffff, v16
	v_add_nc_u32_e32 v16, v15, v97
                                        ; implicit-def: $vgpr15
	s_delay_alu instid0(VALU_DEP_3)
	v_cmpx_ne_u32_e64 v17, v96
	s_xor_b32 s7, exec_lo, s7
; %bb.3011:                             ;   in Loop: Header=BB4_2983 Depth=2
	s_delay_alu instid0(VALU_DEP_2) | instskip(SKIP_2) | instid1(VALU_DEP_2)
	v_cmp_lt_u32_e32 vcc_lo, 0xffffff, v16
	v_sub_nc_u32_e32 v15, v17, v96
	v_cndmask_b32_e64 v17, 0, 1, vcc_lo
	v_add_co_ci_u32_e32 v15, vcc_lo, 0, v15, vcc_lo
	s_delay_alu instid0(VALU_DEP_2)
	v_lshrrev_b32_e32 v16, v17, v16
; %bb.3012:                             ;   in Loop: Header=BB4_2983 Depth=2
	s_and_not1_saveexec_b32 s7, s7
; %bb.3013:                             ;   in Loop: Header=BB4_2983 Depth=2
	s_delay_alu instid0(VALU_DEP_1)
	v_bfe_u32 v15, v16, 23, 1
; %bb.3014:                             ;   in Loop: Header=BB4_2983 Depth=2
	s_or_b32 exec_lo, exec_lo, s7
	v_lshrrev_b32_e32 v16, 20, v16
	s_delay_alu instid0(VALU_DEP_2) | instskip(SKIP_2) | instid1(VALU_DEP_2)
	v_cmp_gt_i32_e32 vcc_lo, 16, v15
	v_min_i32_e32 v17, 15, v15
	v_lshrrev_b32_e32 v14, 24, v14
	v_dual_cndmask_b32 v16, 7, v16 :: v_dual_lshlrev_b32 v17, 3, v17
	s_delay_alu instid0(VALU_DEP_2) | instskip(NEXT) | instid1(VALU_DEP_2)
	v_and_b32_e32 v14, 0x80, v14
	v_or_b32_e32 v15, v15, v16
	s_delay_alu instid0(VALU_DEP_1) | instskip(SKIP_1) | instid1(VALU_DEP_1)
	v_cmp_ne_u32_e32 vcc_lo, 0, v15
	v_and_b32_e32 v96, 7, v16
	v_or3_b32 v14, v17, v14, v96
	s_delay_alu instid0(VALU_DEP_1)
	v_cndmask_b32_e32 v99, 0, v14, vcc_lo
.LBB4_3015:                             ;   in Loop: Header=BB4_2983 Depth=2
	s_or_b32 exec_lo, exec_lo, s25
.LBB4_3016:                             ;   in Loop: Header=BB4_2983 Depth=2
	s_delay_alu instid0(SALU_CYCLE_1) | instskip(SKIP_3) | instid1(VALU_DEP_1)
	s_or_b32 exec_lo, exec_lo, s24
	v_lshrrev_b32_e32 v14, 16, v10
	s_mov_b32 s7, 0
	s_mov_b32 s25, exec_lo
                                        ; implicit-def: $sgpr24
	v_and_b32_e32 v16, 0xff, v14
	s_delay_alu instid0(VALU_DEP_1)
	v_cmpx_lt_i16_e32 0x7f, v16
	s_xor_b32 s25, exec_lo, s25
	s_cbranch_execnz .LBB4_3894
; %bb.3017:                             ;   in Loop: Header=BB4_2983 Depth=2
	s_or_saveexec_b32 s25, s25
	v_mov_b32_e32 v15, s24
	s_xor_b32 exec_lo, exec_lo, s25
	s_cbranch_execnz .LBB4_3897
.LBB4_3018:                             ;   in Loop: Header=BB4_2983 Depth=2
	s_or_b32 exec_lo, exec_lo, s25
	s_and_saveexec_b32 s24, s7
	s_cbranch_execz .LBB4_3020
.LBB4_3019:                             ;   in Loop: Header=BB4_2983 Depth=2
	v_bfe_u32 v15, v10, 16, 3
	v_lshlrev_b32_e32 v96, 8, v10
	s_delay_alu instid0(VALU_DEP_2) | instskip(NEXT) | instid1(VALU_DEP_1)
	v_clz_i32_u32_e32 v16, v15
	v_min_u32_e32 v16, 32, v16
	s_delay_alu instid0(VALU_DEP_1) | instskip(SKIP_1) | instid1(VALU_DEP_2)
	v_subrev_nc_u32_e32 v17, 28, v16
	v_sub_nc_u32_e32 v16, 29, v16
	v_lshlrev_b32_e32 v14, v17, v14
	v_bfe_u32 v17, v10, 19, 4
	s_delay_alu instid0(VALU_DEP_2) | instskip(NEXT) | instid1(VALU_DEP_2)
	v_and_b32_e32 v14, 7, v14
	v_cmp_eq_u32_e32 vcc_lo, 0, v17
	v_cndmask_b32_e32 v16, v17, v16, vcc_lo
	s_delay_alu instid0(VALU_DEP_3) | instskip(NEXT) | instid1(VALU_DEP_2)
	v_dual_cndmask_b32 v14, v15, v14 :: v_dual_and_b32 v15, 0x80000000, v96
	v_lshl_add_u32 v16, v16, 23, 0x3b800000
	s_delay_alu instid0(VALU_DEP_2) | instskip(NEXT) | instid1(VALU_DEP_1)
	v_lshlrev_b32_e32 v14, 20, v14
	v_or3_b32 v15, v15, v16, v14
.LBB4_3020:                             ;   in Loop: Header=BB4_2983 Depth=2
	s_or_b32 exec_lo, exec_lo, s24
	s_delay_alu instid0(VALU_DEP_1) | instskip(SKIP_1) | instid1(VALU_DEP_1)
	v_dual_mul_f32 v14, s23, v15 :: v_dual_mov_b32 v113, 0x80
	s_mov_b32 s24, exec_lo
	v_and_b32_e32 v15, 0x7f800000, v14
	s_delay_alu instid0(VALU_DEP_1)
	v_cmpx_ne_u32_e32 0x7f800000, v15
	s_cbranch_execz .LBB4_3028
; %bb.3021:                             ;   in Loop: Header=BB4_2983 Depth=2
	v_mov_b32_e32 v113, 0
	s_mov_b32 s25, exec_lo
	v_cmpx_ne_u32_e32 0, v14
	s_cbranch_execz .LBB4_3027
; %bb.3022:                             ;   in Loop: Header=BB4_2983 Depth=2
	v_bfe_u32 v15, v14, 23, 8
	s_delay_alu instid0(VALU_DEP_1) | instskip(SKIP_1) | instid1(VALU_DEP_2)
	v_sub_nc_u32_e32 v17, 0x78, v15
	v_cmp_gt_u32_e32 vcc_lo, 0x79, v15
	v_dual_cndmask_b32 v17, 0, v17 :: v_dual_and_b32 v16, 0x7fffff, v14
	s_delay_alu instid0(VALU_DEP_1) | instskip(SKIP_2) | instid1(VALU_DEP_4)
	v_or_b32_e32 v96, 0x800000, v16
	v_cmp_eq_u32_e32 vcc_lo, 0, v15
	v_add_nc_u32_e32 v15, 0xffffff89, v15
	v_cndmask_b32_e64 v17, v17, 0x77, vcc_lo
	s_delay_alu instid0(VALU_DEP_4) | instskip(NEXT) | instid1(VALU_DEP_3)
	v_cndmask_b32_e32 v16, v96, v16, vcc_lo
	v_cndmask_b32_e64 v15, v15, 0xffffff8a, vcc_lo
	s_delay_alu instid0(VALU_DEP_3) | instskip(NEXT) | instid1(VALU_DEP_3)
	v_lshl_add_u32 v96, 0x100000, v17, -1
	v_lshrrev_b32_e32 v97, v17, v16
	v_lshlrev_b32_e64 v100, v17, 0x80000
	s_delay_alu instid0(VALU_DEP_4) | instskip(NEXT) | instid1(VALU_DEP_4)
	v_add_nc_u32_e32 v17, v17, v15
	v_and_b32_e32 v16, v96, v16
	s_delay_alu instid0(VALU_DEP_4) | instskip(NEXT) | instid1(VALU_DEP_2)
	v_bfe_u32 v98, v97, 20, 1
	v_cmp_eq_u32_e64 s7, v16, v100
	s_delay_alu instid0(VALU_DEP_2) | instskip(NEXT) | instid1(VALU_DEP_1)
	v_add_nc_u32_e32 v96, -1, v98
	v_cndmask_b32_e64 v16, 0, v96, s7
	v_lshrrev_b32_e32 v96, 23, v97
	s_mov_b32 s7, exec_lo
	s_delay_alu instid0(VALU_DEP_2) | instskip(NEXT) | instid1(VALU_DEP_2)
	v_add_nc_u32_e32 v16, v16, v97
	v_xor_b32_e32 v96, 1, v96
	s_delay_alu instid0(VALU_DEP_2) | instskip(NEXT) | instid1(VALU_DEP_1)
	v_and_b32_e32 v15, 0xfffff, v16
	v_add_nc_u32_e32 v16, v15, v97
                                        ; implicit-def: $vgpr15
	s_delay_alu instid0(VALU_DEP_3)
	v_cmpx_ne_u32_e64 v17, v96
	s_xor_b32 s7, exec_lo, s7
; %bb.3023:                             ;   in Loop: Header=BB4_2983 Depth=2
	s_delay_alu instid0(VALU_DEP_2) | instskip(SKIP_2) | instid1(VALU_DEP_2)
	v_cmp_lt_u32_e32 vcc_lo, 0xffffff, v16
	v_sub_nc_u32_e32 v15, v17, v96
	v_cndmask_b32_e64 v17, 0, 1, vcc_lo
	v_add_co_ci_u32_e32 v15, vcc_lo, 0, v15, vcc_lo
	s_delay_alu instid0(VALU_DEP_2)
	v_lshrrev_b32_e32 v16, v17, v16
; %bb.3024:                             ;   in Loop: Header=BB4_2983 Depth=2
	s_and_not1_saveexec_b32 s7, s7
; %bb.3025:                             ;   in Loop: Header=BB4_2983 Depth=2
	s_delay_alu instid0(VALU_DEP_1)
	v_bfe_u32 v15, v16, 23, 1
; %bb.3026:                             ;   in Loop: Header=BB4_2983 Depth=2
	s_or_b32 exec_lo, exec_lo, s7
	v_lshrrev_b32_e32 v16, 20, v16
	s_delay_alu instid0(VALU_DEP_2) | instskip(SKIP_2) | instid1(VALU_DEP_2)
	v_cmp_gt_i32_e32 vcc_lo, 16, v15
	v_min_i32_e32 v17, 15, v15
	v_lshrrev_b32_e32 v14, 24, v14
	v_dual_cndmask_b32 v16, 7, v16 :: v_dual_lshlrev_b32 v17, 3, v17
	s_delay_alu instid0(VALU_DEP_2) | instskip(NEXT) | instid1(VALU_DEP_2)
	v_and_b32_e32 v14, 0x80, v14
	v_or_b32_e32 v15, v15, v16
	s_delay_alu instid0(VALU_DEP_1) | instskip(SKIP_1) | instid1(VALU_DEP_1)
	v_cmp_ne_u32_e32 vcc_lo, 0, v15
	v_and_b32_e32 v96, 7, v16
	v_or3_b32 v14, v17, v14, v96
	s_delay_alu instid0(VALU_DEP_1)
	v_cndmask_b32_e32 v113, 0, v14, vcc_lo
.LBB4_3027:                             ;   in Loop: Header=BB4_2983 Depth=2
	s_or_b32 exec_lo, exec_lo, s25
.LBB4_3028:                             ;   in Loop: Header=BB4_2983 Depth=2
	s_delay_alu instid0(SALU_CYCLE_1) | instskip(SKIP_3) | instid1(VALU_DEP_1)
	s_or_b32 exec_lo, exec_lo, s24
	v_lshrrev_b32_e32 v14, 24, v10
	s_mov_b32 s7, 0
	s_mov_b32 s25, exec_lo
                                        ; implicit-def: $sgpr24
	v_cmpx_lt_i16_e32 0x7f, v14
	s_xor_b32 s25, exec_lo, s25
	s_cbranch_execnz .LBB4_3898
; %bb.3029:                             ;   in Loop: Header=BB4_2983 Depth=2
	s_or_saveexec_b32 s25, s25
	v_mov_b32_e32 v15, s24
	s_xor_b32 exec_lo, exec_lo, s25
	s_cbranch_execnz .LBB4_3901
.LBB4_3030:                             ;   in Loop: Header=BB4_2983 Depth=2
	s_or_b32 exec_lo, exec_lo, s25
	s_and_saveexec_b32 s24, s7
	s_cbranch_execz .LBB4_3032
.LBB4_3031:                             ;   in Loop: Header=BB4_2983 Depth=2
	v_bfe_u32 v15, v10, 24, 3
	s_delay_alu instid0(VALU_DEP_1) | instskip(NEXT) | instid1(VALU_DEP_1)
	v_clz_i32_u32_e32 v16, v15
	v_min_u32_e32 v16, 32, v16
	s_delay_alu instid0(VALU_DEP_1) | instskip(SKIP_1) | instid1(VALU_DEP_2)
	v_subrev_nc_u32_e32 v17, 28, v16
	v_sub_nc_u32_e32 v16, 29, v16
	v_lshlrev_b32_e32 v14, v17, v14
	v_bfe_u32 v17, v10, 27, 4
	v_and_b32_e32 v10, 0x80000000, v10
	s_delay_alu instid0(VALU_DEP_3) | instskip(NEXT) | instid1(VALU_DEP_3)
	v_and_b32_e32 v14, 7, v14
	v_cmp_eq_u32_e32 vcc_lo, 0, v17
	v_cndmask_b32_e32 v16, v17, v16, vcc_lo
	s_delay_alu instid0(VALU_DEP_3) | instskip(NEXT) | instid1(VALU_DEP_2)
	v_cndmask_b32_e32 v14, v15, v14, vcc_lo
	v_lshl_add_u32 v15, v16, 23, 0x3b800000
	s_delay_alu instid0(VALU_DEP_2) | instskip(NEXT) | instid1(VALU_DEP_1)
	v_lshlrev_b32_e32 v14, 20, v14
	v_or3_b32 v15, v10, v15, v14
.LBB4_3032:                             ;   in Loop: Header=BB4_2983 Depth=2
	s_or_b32 exec_lo, exec_lo, s24
	s_delay_alu instid0(VALU_DEP_1) | instskip(SKIP_1) | instid1(VALU_DEP_1)
	v_dual_mul_f32 v10, s23, v15 :: v_dual_mov_b32 v131, 0x80
	s_mov_b32 s24, exec_lo
	v_and_b32_e32 v14, 0x7f800000, v10
	s_delay_alu instid0(VALU_DEP_1)
	v_cmpx_ne_u32_e32 0x7f800000, v14
	s_cbranch_execz .LBB4_3040
; %bb.3033:                             ;   in Loop: Header=BB4_2983 Depth=2
	v_mov_b32_e32 v131, 0
	s_mov_b32 s25, exec_lo
	v_cmpx_ne_u32_e32 0, v10
	s_cbranch_execz .LBB4_3039
; %bb.3034:                             ;   in Loop: Header=BB4_2983 Depth=2
	v_bfe_u32 v14, v10, 23, 8
	s_delay_alu instid0(VALU_DEP_1) | instskip(SKIP_1) | instid1(VALU_DEP_2)
	v_sub_nc_u32_e32 v16, 0x78, v14
	v_cmp_gt_u32_e32 vcc_lo, 0x79, v14
	v_dual_cndmask_b32 v16, 0, v16 :: v_dual_and_b32 v15, 0x7fffff, v10
	s_delay_alu instid0(VALU_DEP_1) | instskip(SKIP_2) | instid1(VALU_DEP_4)
	v_or_b32_e32 v17, 0x800000, v15
	v_cmp_eq_u32_e32 vcc_lo, 0, v14
	v_add_nc_u32_e32 v14, 0xffffff89, v14
	v_cndmask_b32_e64 v16, v16, 0x77, vcc_lo
	s_delay_alu instid0(VALU_DEP_4) | instskip(NEXT) | instid1(VALU_DEP_3)
	v_cndmask_b32_e32 v15, v17, v15, vcc_lo
	v_cndmask_b32_e64 v14, v14, 0xffffff8a, vcc_lo
	s_delay_alu instid0(VALU_DEP_3) | instskip(NEXT) | instid1(VALU_DEP_3)
	v_lshl_add_u32 v17, 0x100000, v16, -1
	v_lshrrev_b32_e32 v96, v16, v15
	v_lshlrev_b32_e64 v98, v16, 0x80000
	s_delay_alu instid0(VALU_DEP_4) | instskip(NEXT) | instid1(VALU_DEP_4)
	v_add_nc_u32_e32 v16, v16, v14
	v_and_b32_e32 v15, v17, v15
	s_delay_alu instid0(VALU_DEP_4) | instskip(NEXT) | instid1(VALU_DEP_2)
	v_bfe_u32 v97, v96, 20, 1
	v_cmp_eq_u32_e64 s7, v15, v98
	s_delay_alu instid0(VALU_DEP_2) | instskip(NEXT) | instid1(VALU_DEP_1)
	v_add_nc_u32_e32 v17, -1, v97
	v_cndmask_b32_e64 v15, 0, v17, s7
	v_lshrrev_b32_e32 v17, 23, v96
	s_mov_b32 s7, exec_lo
	s_delay_alu instid0(VALU_DEP_2) | instskip(NEXT) | instid1(VALU_DEP_2)
	v_add_nc_u32_e32 v15, v15, v96
	v_xor_b32_e32 v17, 1, v17
	s_delay_alu instid0(VALU_DEP_2) | instskip(NEXT) | instid1(VALU_DEP_1)
	v_and_b32_e32 v14, 0xfffff, v15
	v_add_nc_u32_e32 v15, v14, v96
                                        ; implicit-def: $vgpr14
	s_delay_alu instid0(VALU_DEP_3)
	v_cmpx_ne_u32_e64 v16, v17
	s_xor_b32 s7, exec_lo, s7
; %bb.3035:                             ;   in Loop: Header=BB4_2983 Depth=2
	s_delay_alu instid0(VALU_DEP_2) | instskip(SKIP_2) | instid1(VALU_DEP_2)
	v_cmp_lt_u32_e32 vcc_lo, 0xffffff, v15
	v_sub_nc_u32_e32 v14, v16, v17
	v_cndmask_b32_e64 v16, 0, 1, vcc_lo
	v_add_co_ci_u32_e32 v14, vcc_lo, 0, v14, vcc_lo
	s_delay_alu instid0(VALU_DEP_2)
	v_lshrrev_b32_e32 v15, v16, v15
; %bb.3036:                             ;   in Loop: Header=BB4_2983 Depth=2
	s_and_not1_saveexec_b32 s7, s7
; %bb.3037:                             ;   in Loop: Header=BB4_2983 Depth=2
	s_delay_alu instid0(VALU_DEP_1)
	v_bfe_u32 v14, v15, 23, 1
; %bb.3038:                             ;   in Loop: Header=BB4_2983 Depth=2
	s_or_b32 exec_lo, exec_lo, s7
	v_lshrrev_b32_e32 v15, 20, v15
	s_delay_alu instid0(VALU_DEP_2) | instskip(SKIP_2) | instid1(VALU_DEP_2)
	v_cmp_gt_i32_e32 vcc_lo, 16, v14
	v_lshrrev_b32_e32 v10, 24, v10
	v_min_i32_e32 v16, 15, v14
	v_dual_cndmask_b32 v15, 7, v15 :: v_dual_and_b32 v10, 0x80, v10
	s_delay_alu instid0(VALU_DEP_1) | instskip(SKIP_1) | instid1(VALU_DEP_2)
	v_or_b32_e32 v14, v14, v15
	v_and_b32_e32 v17, 7, v15
	v_cmp_ne_u32_e32 vcc_lo, 0, v14
	v_lshlrev_b32_e32 v16, 3, v16
	s_delay_alu instid0(VALU_DEP_1) | instskip(NEXT) | instid1(VALU_DEP_1)
	v_or3_b32 v10, v16, v10, v17
	v_cndmask_b32_e32 v131, 0, v10, vcc_lo
.LBB4_3039:                             ;   in Loop: Header=BB4_2983 Depth=2
	s_or_b32 exec_lo, exec_lo, s25
.LBB4_3040:                             ;   in Loop: Header=BB4_2983 Depth=2
	s_delay_alu instid0(SALU_CYCLE_1) | instskip(SKIP_3) | instid1(VALU_DEP_1)
	s_or_b32 exec_lo, exec_lo, s24
	v_and_b32_e32 v14, 0xff, v11
	s_mov_b32 s7, 0
	s_mov_b32 s25, exec_lo
                                        ; implicit-def: $sgpr24
	v_cmpx_lt_i16_e32 0x7f, v14
	s_xor_b32 s25, exec_lo, s25
	s_cbranch_execnz .LBB4_3902
; %bb.3041:                             ;   in Loop: Header=BB4_2983 Depth=2
	s_or_saveexec_b32 s25, s25
	v_mov_b32_e32 v10, s24
	s_xor_b32 exec_lo, exec_lo, s25
	s_cbranch_execnz .LBB4_3905
.LBB4_3042:                             ;   in Loop: Header=BB4_2983 Depth=2
	s_or_b32 exec_lo, exec_lo, s25
	s_and_saveexec_b32 s24, s7
	s_cbranch_execz .LBB4_3044
.LBB4_3043:                             ;   in Loop: Header=BB4_2983 Depth=2
	v_and_b32_e32 v10, 7, v11
	v_bfe_u32 v16, v11, 3, 4
	v_lshlrev_b32_e32 v17, 24, v11
	s_delay_alu instid0(VALU_DEP_3) | instskip(NEXT) | instid1(VALU_DEP_3)
	v_clz_i32_u32_e32 v14, v10
	v_cmp_eq_u32_e32 vcc_lo, 0, v16
	s_delay_alu instid0(VALU_DEP_2) | instskip(NEXT) | instid1(VALU_DEP_1)
	v_min_u32_e32 v14, 32, v14
	v_subrev_nc_u32_e32 v15, 28, v14
	v_sub_nc_u32_e32 v14, 29, v14
	s_delay_alu instid0(VALU_DEP_1) | instskip(NEXT) | instid1(VALU_DEP_1)
	v_dual_cndmask_b32 v14, v16, v14 :: v_dual_lshlrev_b32 v15, v15, v11
	v_and_b32_e32 v15, 7, v15
	s_delay_alu instid0(VALU_DEP_2) | instskip(NEXT) | instid1(VALU_DEP_2)
	v_lshl_add_u32 v14, v14, 23, 0x3b800000
	v_dual_cndmask_b32 v10, v10, v15 :: v_dual_and_b32 v15, 0x80000000, v17
	s_delay_alu instid0(VALU_DEP_1) | instskip(NEXT) | instid1(VALU_DEP_1)
	v_lshlrev_b32_e32 v10, 20, v10
	v_or3_b32 v10, v15, v14, v10
.LBB4_3044:                             ;   in Loop: Header=BB4_2983 Depth=2
	s_or_b32 exec_lo, exec_lo, s24
	s_delay_alu instid0(VALU_DEP_1) | instskip(SKIP_2) | instid1(VALU_DEP_2)
	v_mul_f32_e32 v10, s23, v10
	v_mov_b32_e32 v128, 0x80
	s_mov_b32 s24, exec_lo
	v_and_b32_e32 v14, 0x7f800000, v10
	s_delay_alu instid0(VALU_DEP_1)
	v_cmpx_ne_u32_e32 0x7f800000, v14
	s_cbranch_execz .LBB4_3052
; %bb.3045:                             ;   in Loop: Header=BB4_2983 Depth=2
	v_mov_b32_e32 v128, 0
	s_mov_b32 s25, exec_lo
	v_cmpx_ne_u32_e32 0, v10
	s_cbranch_execz .LBB4_3051
; %bb.3046:                             ;   in Loop: Header=BB4_2983 Depth=2
	v_bfe_u32 v14, v10, 23, 8
	s_delay_alu instid0(VALU_DEP_1) | instskip(SKIP_1) | instid1(VALU_DEP_2)
	v_sub_nc_u32_e32 v16, 0x78, v14
	v_cmp_gt_u32_e32 vcc_lo, 0x79, v14
	v_dual_cndmask_b32 v16, 0, v16 :: v_dual_and_b32 v15, 0x7fffff, v10
	s_delay_alu instid0(VALU_DEP_1) | instskip(SKIP_2) | instid1(VALU_DEP_4)
	v_or_b32_e32 v17, 0x800000, v15
	v_cmp_eq_u32_e32 vcc_lo, 0, v14
	v_add_nc_u32_e32 v14, 0xffffff89, v14
	v_cndmask_b32_e64 v16, v16, 0x77, vcc_lo
	s_delay_alu instid0(VALU_DEP_4) | instskip(NEXT) | instid1(VALU_DEP_3)
	v_cndmask_b32_e32 v15, v17, v15, vcc_lo
	v_cndmask_b32_e64 v14, v14, 0xffffff8a, vcc_lo
	s_delay_alu instid0(VALU_DEP_3) | instskip(NEXT) | instid1(VALU_DEP_3)
	v_lshl_add_u32 v17, 0x100000, v16, -1
	v_lshrrev_b32_e32 v96, v16, v15
	v_lshlrev_b32_e64 v98, v16, 0x80000
	s_delay_alu instid0(VALU_DEP_4) | instskip(NEXT) | instid1(VALU_DEP_4)
	v_add_nc_u32_e32 v16, v16, v14
	v_and_b32_e32 v15, v17, v15
	s_delay_alu instid0(VALU_DEP_4) | instskip(NEXT) | instid1(VALU_DEP_2)
	v_bfe_u32 v97, v96, 20, 1
	v_cmp_eq_u32_e64 s7, v15, v98
	s_delay_alu instid0(VALU_DEP_2) | instskip(NEXT) | instid1(VALU_DEP_1)
	v_add_nc_u32_e32 v17, -1, v97
	v_cndmask_b32_e64 v15, 0, v17, s7
	v_lshrrev_b32_e32 v17, 23, v96
	s_mov_b32 s7, exec_lo
	s_delay_alu instid0(VALU_DEP_2) | instskip(NEXT) | instid1(VALU_DEP_2)
	v_add_nc_u32_e32 v15, v15, v96
	v_xor_b32_e32 v17, 1, v17
	s_delay_alu instid0(VALU_DEP_2) | instskip(NEXT) | instid1(VALU_DEP_1)
	v_and_b32_e32 v14, 0xfffff, v15
	v_add_nc_u32_e32 v15, v14, v96
                                        ; implicit-def: $vgpr14
	s_delay_alu instid0(VALU_DEP_3)
	v_cmpx_ne_u32_e64 v16, v17
	s_xor_b32 s7, exec_lo, s7
; %bb.3047:                             ;   in Loop: Header=BB4_2983 Depth=2
	s_delay_alu instid0(VALU_DEP_2) | instskip(SKIP_2) | instid1(VALU_DEP_2)
	v_cmp_lt_u32_e32 vcc_lo, 0xffffff, v15
	v_sub_nc_u32_e32 v14, v16, v17
	v_cndmask_b32_e64 v16, 0, 1, vcc_lo
	v_add_co_ci_u32_e32 v14, vcc_lo, 0, v14, vcc_lo
	s_delay_alu instid0(VALU_DEP_2)
	v_lshrrev_b32_e32 v15, v16, v15
; %bb.3048:                             ;   in Loop: Header=BB4_2983 Depth=2
	s_and_not1_saveexec_b32 s7, s7
; %bb.3049:                             ;   in Loop: Header=BB4_2983 Depth=2
	s_delay_alu instid0(VALU_DEP_1)
	v_bfe_u32 v14, v15, 23, 1
; %bb.3050:                             ;   in Loop: Header=BB4_2983 Depth=2
	s_or_b32 exec_lo, exec_lo, s7
	v_lshrrev_b32_e32 v15, 20, v15
	s_delay_alu instid0(VALU_DEP_2) | instskip(SKIP_2) | instid1(VALU_DEP_2)
	v_cmp_gt_i32_e32 vcc_lo, 16, v14
	v_min_i32_e32 v16, 15, v14
	v_lshrrev_b32_e32 v10, 24, v10
	v_dual_cndmask_b32 v15, 7, v15 :: v_dual_lshlrev_b32 v16, 3, v16
	s_delay_alu instid0(VALU_DEP_2) | instskip(NEXT) | instid1(VALU_DEP_2)
	v_and_b32_e32 v10, 0x80, v10
	v_or_b32_e32 v14, v14, v15
	s_delay_alu instid0(VALU_DEP_3) | instskip(NEXT) | instid1(VALU_DEP_2)
	v_and_b32_e32 v16, 0xf8, v16
	v_cmp_ne_u32_e32 vcc_lo, 0, v14
	v_and_b32_e32 v17, 7, v15
	s_delay_alu instid0(VALU_DEP_1) | instskip(NEXT) | instid1(VALU_DEP_1)
	v_or3_b32 v10, v16, v10, v17
	v_cndmask_b32_e32 v128, 0, v10, vcc_lo
.LBB4_3051:                             ;   in Loop: Header=BB4_2983 Depth=2
	s_or_b32 exec_lo, exec_lo, s25
.LBB4_3052:                             ;   in Loop: Header=BB4_2983 Depth=2
	s_delay_alu instid0(SALU_CYCLE_1) | instskip(SKIP_3) | instid1(VALU_DEP_1)
	s_or_b32 exec_lo, exec_lo, s24
	v_lshrrev_b16 v10, 8, v11
	s_mov_b32 s7, 0
	s_mov_b32 s25, exec_lo
                                        ; implicit-def: $sgpr24
	v_cmpx_lt_i16_e32 0x7f, v10
	s_xor_b32 s25, exec_lo, s25
	s_cbranch_execnz .LBB4_3906
; %bb.3053:                             ;   in Loop: Header=BB4_2983 Depth=2
	s_or_saveexec_b32 s25, s25
	v_mov_b32_e32 v14, s24
	s_xor_b32 exec_lo, exec_lo, s25
	s_cbranch_execnz .LBB4_3909
.LBB4_3054:                             ;   in Loop: Header=BB4_2983 Depth=2
	s_or_b32 exec_lo, exec_lo, s25
	s_and_saveexec_b32 s24, s7
	s_cbranch_execz .LBB4_3056
.LBB4_3055:                             ;   in Loop: Header=BB4_2983 Depth=2
	v_and_b32_e32 v14, 0xffff, v10
	v_lshlrev_b32_e32 v10, 24, v10
	s_delay_alu instid0(VALU_DEP_2) | instskip(NEXT) | instid1(VALU_DEP_2)
	v_and_b32_e32 v15, 7, v14
	v_and_b32_e32 v10, 0x80000000, v10
	s_delay_alu instid0(VALU_DEP_2) | instskip(NEXT) | instid1(VALU_DEP_1)
	v_clz_i32_u32_e32 v16, v15
	v_min_u32_e32 v16, 32, v16
	s_delay_alu instid0(VALU_DEP_1) | instskip(SKIP_1) | instid1(VALU_DEP_2)
	v_subrev_nc_u32_e32 v17, 28, v16
	v_sub_nc_u32_e32 v16, 29, v16
	v_lshlrev_b32_e32 v17, v17, v14
	v_bfe_u32 v14, v14, 3, 4
	s_delay_alu instid0(VALU_DEP_2) | instskip(NEXT) | instid1(VALU_DEP_2)
	v_and_b32_e32 v17, 7, v17
	v_cmp_eq_u32_e32 vcc_lo, 0, v14
	s_delay_alu instid0(VALU_DEP_2) | instskip(NEXT) | instid1(VALU_DEP_1)
	v_dual_cndmask_b32 v14, v14, v16 :: v_dual_cndmask_b32 v15, v15, v17
	v_lshl_add_u32 v14, v14, 23, 0x3b800000
	s_delay_alu instid0(VALU_DEP_2) | instskip(NEXT) | instid1(VALU_DEP_1)
	v_lshlrev_b32_e32 v15, 20, v15
	v_or3_b32 v14, v10, v14, v15
.LBB4_3056:                             ;   in Loop: Header=BB4_2983 Depth=2
	s_or_b32 exec_lo, exec_lo, s24
	s_delay_alu instid0(VALU_DEP_1) | instskip(SKIP_2) | instid1(VALU_DEP_2)
	v_mul_f32_e32 v10, s23, v14
	v_mov_b32_e32 v150, 0x8000
	s_mov_b32 s24, exec_lo
	v_and_b32_e32 v14, 0x7f800000, v10
	s_delay_alu instid0(VALU_DEP_1)
	v_cmpx_ne_u32_e32 0x7f800000, v14
	s_cbranch_execz .LBB4_3064
; %bb.3057:                             ;   in Loop: Header=BB4_2983 Depth=2
	v_mov_b32_e32 v150, 0
	s_mov_b32 s25, exec_lo
	v_cmpx_ne_u32_e32 0, v10
	s_cbranch_execz .LBB4_3063
; %bb.3058:                             ;   in Loop: Header=BB4_2983 Depth=2
	v_bfe_u32 v14, v10, 23, 8
	s_delay_alu instid0(VALU_DEP_1) | instskip(SKIP_1) | instid1(VALU_DEP_2)
	v_sub_nc_u32_e32 v16, 0x78, v14
	v_cmp_gt_u32_e32 vcc_lo, 0x79, v14
	v_dual_cndmask_b32 v16, 0, v16 :: v_dual_and_b32 v15, 0x7fffff, v10
	s_delay_alu instid0(VALU_DEP_1) | instskip(SKIP_2) | instid1(VALU_DEP_4)
	v_or_b32_e32 v17, 0x800000, v15
	v_cmp_eq_u32_e32 vcc_lo, 0, v14
	v_add_nc_u32_e32 v14, 0xffffff89, v14
	v_cndmask_b32_e64 v16, v16, 0x77, vcc_lo
	s_delay_alu instid0(VALU_DEP_4) | instskip(NEXT) | instid1(VALU_DEP_3)
	v_cndmask_b32_e32 v15, v17, v15, vcc_lo
	v_cndmask_b32_e64 v14, v14, 0xffffff8a, vcc_lo
	s_delay_alu instid0(VALU_DEP_3) | instskip(NEXT) | instid1(VALU_DEP_3)
	v_lshl_add_u32 v17, 0x100000, v16, -1
	v_lshrrev_b32_e32 v96, v16, v15
	v_lshlrev_b32_e64 v98, v16, 0x80000
	s_delay_alu instid0(VALU_DEP_4) | instskip(NEXT) | instid1(VALU_DEP_4)
	v_add_nc_u32_e32 v16, v16, v14
	v_and_b32_e32 v15, v17, v15
	s_delay_alu instid0(VALU_DEP_4) | instskip(NEXT) | instid1(VALU_DEP_2)
	v_bfe_u32 v97, v96, 20, 1
	v_cmp_eq_u32_e64 s7, v15, v98
	s_delay_alu instid0(VALU_DEP_2) | instskip(NEXT) | instid1(VALU_DEP_1)
	v_add_nc_u32_e32 v17, -1, v97
	v_cndmask_b32_e64 v15, 0, v17, s7
	v_lshrrev_b32_e32 v17, 23, v96
	s_mov_b32 s7, exec_lo
	s_delay_alu instid0(VALU_DEP_2) | instskip(NEXT) | instid1(VALU_DEP_2)
	v_add_nc_u32_e32 v15, v15, v96
	v_xor_b32_e32 v17, 1, v17
	s_delay_alu instid0(VALU_DEP_2) | instskip(NEXT) | instid1(VALU_DEP_1)
	v_and_b32_e32 v14, 0xfffff, v15
	v_add_nc_u32_e32 v15, v14, v96
                                        ; implicit-def: $vgpr14
	s_delay_alu instid0(VALU_DEP_3)
	v_cmpx_ne_u32_e64 v16, v17
	s_xor_b32 s7, exec_lo, s7
; %bb.3059:                             ;   in Loop: Header=BB4_2983 Depth=2
	s_delay_alu instid0(VALU_DEP_2) | instskip(SKIP_2) | instid1(VALU_DEP_2)
	v_cmp_lt_u32_e32 vcc_lo, 0xffffff, v15
	v_sub_nc_u32_e32 v14, v16, v17
	v_cndmask_b32_e64 v16, 0, 1, vcc_lo
	v_add_co_ci_u32_e32 v14, vcc_lo, 0, v14, vcc_lo
	s_delay_alu instid0(VALU_DEP_2)
	v_lshrrev_b32_e32 v15, v16, v15
; %bb.3060:                             ;   in Loop: Header=BB4_2983 Depth=2
	s_and_not1_saveexec_b32 s7, s7
; %bb.3061:                             ;   in Loop: Header=BB4_2983 Depth=2
	s_delay_alu instid0(VALU_DEP_1)
	v_bfe_u32 v14, v15, 23, 1
; %bb.3062:                             ;   in Loop: Header=BB4_2983 Depth=2
	s_or_b32 exec_lo, exec_lo, s7
	v_lshrrev_b32_e32 v15, 20, v15
	s_delay_alu instid0(VALU_DEP_2) | instskip(SKIP_2) | instid1(VALU_DEP_2)
	v_cmp_gt_i32_e32 vcc_lo, 16, v14
	v_min_i32_e32 v16, 15, v14
	v_lshrrev_b32_e32 v10, 24, v10
	v_dual_cndmask_b32 v15, 7, v15 :: v_dual_lshlrev_b32 v16, 3, v16
	s_delay_alu instid0(VALU_DEP_2) | instskip(NEXT) | instid1(VALU_DEP_2)
	v_and_b32_e32 v10, 0x80, v10
	v_or_b32_e32 v14, v14, v15
	s_delay_alu instid0(VALU_DEP_3) | instskip(NEXT) | instid1(VALU_DEP_2)
	v_and_b32_e32 v16, 0xf8, v16
	v_cmp_ne_u32_e32 vcc_lo, 0, v14
	v_and_b32_e32 v17, 7, v15
	s_delay_alu instid0(VALU_DEP_1) | instskip(NEXT) | instid1(VALU_DEP_1)
	v_or3_b32 v10, v10, v16, v17
	v_lshlrev_b32_e32 v10, 8, v10
	s_delay_alu instid0(VALU_DEP_1)
	v_cndmask_b32_e32 v150, 0, v10, vcc_lo
.LBB4_3063:                             ;   in Loop: Header=BB4_2983 Depth=2
	s_or_b32 exec_lo, exec_lo, s25
.LBB4_3064:                             ;   in Loop: Header=BB4_2983 Depth=2
	s_delay_alu instid0(SALU_CYCLE_1) | instskip(SKIP_3) | instid1(VALU_DEP_1)
	s_or_b32 exec_lo, exec_lo, s24
	v_lshrrev_b32_e32 v10, 16, v11
	s_mov_b32 s7, 0
	s_mov_b32 s25, exec_lo
                                        ; implicit-def: $sgpr24
	v_and_b32_e32 v15, 0xff, v10
	s_delay_alu instid0(VALU_DEP_1)
	v_cmpx_lt_i16_e32 0x7f, v15
	s_xor_b32 s25, exec_lo, s25
	s_cbranch_execnz .LBB4_3910
; %bb.3065:                             ;   in Loop: Header=BB4_2983 Depth=2
	s_or_saveexec_b32 s25, s25
	v_mov_b32_e32 v14, s24
	s_xor_b32 exec_lo, exec_lo, s25
	s_cbranch_execnz .LBB4_3913
.LBB4_3066:                             ;   in Loop: Header=BB4_2983 Depth=2
	s_or_b32 exec_lo, exec_lo, s25
	s_and_saveexec_b32 s24, s7
	s_cbranch_execz .LBB4_3068
.LBB4_3067:                             ;   in Loop: Header=BB4_2983 Depth=2
	v_bfe_u32 v14, v11, 16, 3
	s_delay_alu instid0(VALU_DEP_1) | instskip(NEXT) | instid1(VALU_DEP_1)
	v_clz_i32_u32_e32 v15, v14
	v_min_u32_e32 v15, 32, v15
	s_delay_alu instid0(VALU_DEP_1) | instskip(SKIP_1) | instid1(VALU_DEP_2)
	v_subrev_nc_u32_e32 v16, 28, v15
	v_sub_nc_u32_e32 v15, 29, v15
	v_lshlrev_b32_e32 v10, v16, v10
	v_bfe_u32 v16, v11, 19, 4
	s_delay_alu instid0(VALU_DEP_1) | instskip(NEXT) | instid1(VALU_DEP_3)
	v_cmp_eq_u32_e32 vcc_lo, 0, v16
	v_dual_cndmask_b32 v15, v16, v15 :: v_dual_and_b32 v10, 7, v10
	s_delay_alu instid0(VALU_DEP_1) | instskip(NEXT) | instid1(VALU_DEP_2)
	v_dual_cndmask_b32 v10, v14, v10 :: v_dual_lshlrev_b32 v17, 8, v11
	v_lshl_add_u32 v15, v15, 23, 0x3b800000
	s_delay_alu instid0(VALU_DEP_2) | instskip(NEXT) | instid1(VALU_DEP_3)
	v_and_b32_e32 v14, 0x80000000, v17
	v_lshlrev_b32_e32 v10, 20, v10
	s_delay_alu instid0(VALU_DEP_1)
	v_or3_b32 v14, v14, v15, v10
.LBB4_3068:                             ;   in Loop: Header=BB4_2983 Depth=2
	s_or_b32 exec_lo, exec_lo, s24
	s_delay_alu instid0(VALU_DEP_1) | instskip(SKIP_2) | instid1(VALU_DEP_2)
	v_mul_f32_e32 v10, s23, v14
	v_mov_b32_e32 v144, 0x80
	s_mov_b32 s24, exec_lo
	v_and_b32_e32 v14, 0x7f800000, v10
	s_delay_alu instid0(VALU_DEP_1)
	v_cmpx_ne_u32_e32 0x7f800000, v14
	s_cbranch_execz .LBB4_3076
; %bb.3069:                             ;   in Loop: Header=BB4_2983 Depth=2
	v_mov_b32_e32 v144, 0
	s_mov_b32 s25, exec_lo
	v_cmpx_ne_u32_e32 0, v10
	s_cbranch_execz .LBB4_3075
; %bb.3070:                             ;   in Loop: Header=BB4_2983 Depth=2
	v_bfe_u32 v14, v10, 23, 8
	s_delay_alu instid0(VALU_DEP_1) | instskip(SKIP_1) | instid1(VALU_DEP_2)
	v_sub_nc_u32_e32 v16, 0x78, v14
	v_cmp_gt_u32_e32 vcc_lo, 0x79, v14
	v_dual_cndmask_b32 v16, 0, v16 :: v_dual_and_b32 v15, 0x7fffff, v10
	s_delay_alu instid0(VALU_DEP_1) | instskip(SKIP_2) | instid1(VALU_DEP_4)
	v_or_b32_e32 v17, 0x800000, v15
	v_cmp_eq_u32_e32 vcc_lo, 0, v14
	v_add_nc_u32_e32 v14, 0xffffff89, v14
	v_cndmask_b32_e64 v16, v16, 0x77, vcc_lo
	s_delay_alu instid0(VALU_DEP_4) | instskip(NEXT) | instid1(VALU_DEP_3)
	v_cndmask_b32_e32 v15, v17, v15, vcc_lo
	v_cndmask_b32_e64 v14, v14, 0xffffff8a, vcc_lo
	s_delay_alu instid0(VALU_DEP_3) | instskip(NEXT) | instid1(VALU_DEP_3)
	v_lshl_add_u32 v17, 0x100000, v16, -1
	v_lshrrev_b32_e32 v96, v16, v15
	v_lshlrev_b32_e64 v98, v16, 0x80000
	s_delay_alu instid0(VALU_DEP_4) | instskip(NEXT) | instid1(VALU_DEP_4)
	v_add_nc_u32_e32 v16, v16, v14
	v_and_b32_e32 v15, v17, v15
	s_delay_alu instid0(VALU_DEP_4) | instskip(NEXT) | instid1(VALU_DEP_2)
	v_bfe_u32 v97, v96, 20, 1
	v_cmp_eq_u32_e64 s7, v15, v98
	s_delay_alu instid0(VALU_DEP_2) | instskip(NEXT) | instid1(VALU_DEP_1)
	v_add_nc_u32_e32 v17, -1, v97
	v_cndmask_b32_e64 v15, 0, v17, s7
	v_lshrrev_b32_e32 v17, 23, v96
	s_mov_b32 s7, exec_lo
	s_delay_alu instid0(VALU_DEP_2) | instskip(NEXT) | instid1(VALU_DEP_2)
	v_add_nc_u32_e32 v15, v15, v96
	v_xor_b32_e32 v17, 1, v17
	s_delay_alu instid0(VALU_DEP_2) | instskip(NEXT) | instid1(VALU_DEP_1)
	v_and_b32_e32 v14, 0xfffff, v15
	v_add_nc_u32_e32 v15, v14, v96
                                        ; implicit-def: $vgpr14
	s_delay_alu instid0(VALU_DEP_3)
	v_cmpx_ne_u32_e64 v16, v17
	s_xor_b32 s7, exec_lo, s7
; %bb.3071:                             ;   in Loop: Header=BB4_2983 Depth=2
	s_delay_alu instid0(VALU_DEP_2) | instskip(SKIP_2) | instid1(VALU_DEP_2)
	v_cmp_lt_u32_e32 vcc_lo, 0xffffff, v15
	v_sub_nc_u32_e32 v14, v16, v17
	v_cndmask_b32_e64 v16, 0, 1, vcc_lo
	v_add_co_ci_u32_e32 v14, vcc_lo, 0, v14, vcc_lo
	s_delay_alu instid0(VALU_DEP_2)
	v_lshrrev_b32_e32 v15, v16, v15
; %bb.3072:                             ;   in Loop: Header=BB4_2983 Depth=2
	s_and_not1_saveexec_b32 s7, s7
; %bb.3073:                             ;   in Loop: Header=BB4_2983 Depth=2
	s_delay_alu instid0(VALU_DEP_1)
	v_bfe_u32 v14, v15, 23, 1
; %bb.3074:                             ;   in Loop: Header=BB4_2983 Depth=2
	s_or_b32 exec_lo, exec_lo, s7
	v_lshrrev_b32_e32 v15, 20, v15
	s_delay_alu instid0(VALU_DEP_2) | instskip(SKIP_2) | instid1(VALU_DEP_2)
	v_cmp_gt_i32_e32 vcc_lo, 16, v14
	v_min_i32_e32 v16, 15, v14
	v_lshrrev_b32_e32 v10, 24, v10
	v_dual_cndmask_b32 v15, 7, v15 :: v_dual_lshlrev_b32 v16, 3, v16
	s_delay_alu instid0(VALU_DEP_2) | instskip(NEXT) | instid1(VALU_DEP_2)
	v_and_b32_e32 v10, 0x80, v10
	v_or_b32_e32 v14, v14, v15
	s_delay_alu instid0(VALU_DEP_3) | instskip(NEXT) | instid1(VALU_DEP_2)
	v_and_b32_e32 v16, 0xf8, v16
	v_cmp_ne_u32_e32 vcc_lo, 0, v14
	v_and_b32_e32 v17, 7, v15
	s_delay_alu instid0(VALU_DEP_1) | instskip(NEXT) | instid1(VALU_DEP_1)
	v_or3_b32 v10, v16, v10, v17
	v_cndmask_b32_e32 v144, 0, v10, vcc_lo
.LBB4_3075:                             ;   in Loop: Header=BB4_2983 Depth=2
	s_or_b32 exec_lo, exec_lo, s25
.LBB4_3076:                             ;   in Loop: Header=BB4_2983 Depth=2
	s_delay_alu instid0(SALU_CYCLE_1) | instskip(SKIP_3) | instid1(VALU_DEP_1)
	s_or_b32 exec_lo, exec_lo, s24
	v_lshrrev_b32_e32 v10, 24, v11
	s_mov_b32 s7, 0
	s_mov_b32 s25, exec_lo
                                        ; implicit-def: $sgpr24
	v_cmpx_lt_i16_e32 0x7f, v10
	s_xor_b32 s25, exec_lo, s25
	s_cbranch_execnz .LBB4_3914
; %bb.3077:                             ;   in Loop: Header=BB4_2983 Depth=2
	s_or_saveexec_b32 s25, s25
	v_mov_b32_e32 v14, s24
	s_xor_b32 exec_lo, exec_lo, s25
	s_cbranch_execnz .LBB4_3917
.LBB4_3078:                             ;   in Loop: Header=BB4_2983 Depth=2
	s_or_b32 exec_lo, exec_lo, s25
	s_and_saveexec_b32 s24, s7
	s_cbranch_execz .LBB4_3080
.LBB4_3079:                             ;   in Loop: Header=BB4_2983 Depth=2
	v_bfe_u32 v14, v11, 24, 3
	s_delay_alu instid0(VALU_DEP_1) | instskip(NEXT) | instid1(VALU_DEP_1)
	v_clz_i32_u32_e32 v15, v14
	v_min_u32_e32 v15, 32, v15
	s_delay_alu instid0(VALU_DEP_1) | instskip(SKIP_1) | instid1(VALU_DEP_2)
	v_subrev_nc_u32_e32 v16, 28, v15
	v_sub_nc_u32_e32 v15, 29, v15
	v_lshlrev_b32_e32 v10, v16, v10
	v_bfe_u32 v16, v11, 27, 4
	v_and_b32_e32 v11, 0x80000000, v11
	s_delay_alu instid0(VALU_DEP_2) | instskip(NEXT) | instid1(VALU_DEP_4)
	v_cmp_eq_u32_e32 vcc_lo, 0, v16
	v_dual_cndmask_b32 v15, v16, v15 :: v_dual_and_b32 v10, 7, v10
	s_delay_alu instid0(VALU_DEP_1) | instskip(NEXT) | instid1(VALU_DEP_2)
	v_cndmask_b32_e32 v10, v14, v10, vcc_lo
	v_lshl_add_u32 v14, v15, 23, 0x3b800000
	s_delay_alu instid0(VALU_DEP_2) | instskip(NEXT) | instid1(VALU_DEP_1)
	v_lshlrev_b32_e32 v10, 20, v10
	v_or3_b32 v14, v11, v14, v10
.LBB4_3080:                             ;   in Loop: Header=BB4_2983 Depth=2
	s_or_b32 exec_lo, exec_lo, s24
	s_delay_alu instid0(VALU_DEP_1) | instskip(SKIP_1) | instid1(VALU_DEP_1)
	v_dual_mul_f32 v10, s23, v14 :: v_dual_mov_b32 v149, 0x8000
	s_mov_b32 s24, exec_lo
	v_and_b32_e32 v11, 0x7f800000, v10
	s_delay_alu instid0(VALU_DEP_1)
	v_cmpx_ne_u32_e32 0x7f800000, v11
	s_cbranch_execz .LBB4_3088
; %bb.3081:                             ;   in Loop: Header=BB4_2983 Depth=2
	v_mov_b32_e32 v149, 0
	s_mov_b32 s25, exec_lo
	v_cmpx_ne_u32_e32 0, v10
	s_cbranch_execz .LBB4_3087
; %bb.3082:                             ;   in Loop: Header=BB4_2983 Depth=2
	v_bfe_u32 v11, v10, 23, 8
	s_delay_alu instid0(VALU_DEP_1) | instskip(SKIP_1) | instid1(VALU_DEP_2)
	v_sub_nc_u32_e32 v15, 0x78, v11
	v_cmp_gt_u32_e32 vcc_lo, 0x79, v11
	v_dual_cndmask_b32 v15, 0, v15 :: v_dual_and_b32 v14, 0x7fffff, v10
	s_delay_alu instid0(VALU_DEP_1) | instskip(SKIP_2) | instid1(VALU_DEP_4)
	v_or_b32_e32 v16, 0x800000, v14
	v_cmp_eq_u32_e32 vcc_lo, 0, v11
	v_add_nc_u32_e32 v11, 0xffffff89, v11
	v_cndmask_b32_e64 v15, v15, 0x77, vcc_lo
	s_delay_alu instid0(VALU_DEP_4) | instskip(NEXT) | instid1(VALU_DEP_3)
	v_cndmask_b32_e32 v14, v16, v14, vcc_lo
	v_cndmask_b32_e64 v11, v11, 0xffffff8a, vcc_lo
	s_delay_alu instid0(VALU_DEP_3) | instskip(NEXT) | instid1(VALU_DEP_3)
	v_lshl_add_u32 v16, 0x100000, v15, -1
	v_lshrrev_b32_e32 v17, v15, v14
	v_lshlrev_b32_e64 v97, v15, 0x80000
	s_delay_alu instid0(VALU_DEP_4) | instskip(NEXT) | instid1(VALU_DEP_4)
	v_add_nc_u32_e32 v15, v15, v11
	v_and_b32_e32 v14, v16, v14
	s_delay_alu instid0(VALU_DEP_4) | instskip(NEXT) | instid1(VALU_DEP_2)
	v_bfe_u32 v96, v17, 20, 1
	v_cmp_eq_u32_e64 s7, v14, v97
	s_delay_alu instid0(VALU_DEP_2) | instskip(NEXT) | instid1(VALU_DEP_1)
	v_add_nc_u32_e32 v16, -1, v96
	v_cndmask_b32_e64 v14, 0, v16, s7
	v_lshrrev_b32_e32 v16, 23, v17
	s_mov_b32 s7, exec_lo
	s_delay_alu instid0(VALU_DEP_2) | instskip(NEXT) | instid1(VALU_DEP_2)
	v_add_nc_u32_e32 v14, v14, v17
	v_xor_b32_e32 v16, 1, v16
	s_delay_alu instid0(VALU_DEP_2) | instskip(NEXT) | instid1(VALU_DEP_1)
	v_and_b32_e32 v11, 0xfffff, v14
	v_add_nc_u32_e32 v14, v11, v17
                                        ; implicit-def: $vgpr11
	s_delay_alu instid0(VALU_DEP_3)
	v_cmpx_ne_u32_e64 v15, v16
	s_xor_b32 s7, exec_lo, s7
; %bb.3083:                             ;   in Loop: Header=BB4_2983 Depth=2
	s_delay_alu instid0(VALU_DEP_2) | instskip(SKIP_2) | instid1(VALU_DEP_2)
	v_cmp_lt_u32_e32 vcc_lo, 0xffffff, v14
	v_sub_nc_u32_e32 v11, v15, v16
	v_cndmask_b32_e64 v15, 0, 1, vcc_lo
	v_add_co_ci_u32_e32 v11, vcc_lo, 0, v11, vcc_lo
	s_delay_alu instid0(VALU_DEP_2)
	v_lshrrev_b32_e32 v14, v15, v14
; %bb.3084:                             ;   in Loop: Header=BB4_2983 Depth=2
	s_and_not1_saveexec_b32 s7, s7
; %bb.3085:                             ;   in Loop: Header=BB4_2983 Depth=2
	s_delay_alu instid0(VALU_DEP_1)
	v_bfe_u32 v11, v14, 23, 1
; %bb.3086:                             ;   in Loop: Header=BB4_2983 Depth=2
	s_or_b32 exec_lo, exec_lo, s7
	v_lshrrev_b32_e32 v14, 20, v14
	s_delay_alu instid0(VALU_DEP_2) | instskip(SKIP_2) | instid1(VALU_DEP_3)
	v_min_i32_e32 v15, 15, v11
	v_cmp_gt_i32_e32 vcc_lo, 16, v11
	v_lshrrev_b32_e32 v10, 24, v10
	v_dual_cndmask_b32 v14, 7, v14 :: v_dual_lshlrev_b32 v15, 3, v15
	s_delay_alu instid0(VALU_DEP_2) | instskip(NEXT) | instid1(VALU_DEP_2)
	v_and_b32_e32 v10, 0x80, v10
	v_and_b32_e32 v15, 0xf8, v15
	s_delay_alu instid0(VALU_DEP_3) | instskip(SKIP_1) | instid1(VALU_DEP_2)
	v_and_b32_e32 v16, 7, v14
	v_or_b32_e32 v11, v11, v14
	v_or3_b32 v10, v10, v15, v16
	s_delay_alu instid0(VALU_DEP_2) | instskip(NEXT) | instid1(VALU_DEP_2)
	v_cmp_ne_u32_e32 vcc_lo, 0, v11
	v_lshlrev_b32_e32 v10, 8, v10
	s_delay_alu instid0(VALU_DEP_1)
	v_cndmask_b32_e32 v149, 0, v10, vcc_lo
.LBB4_3087:                             ;   in Loop: Header=BB4_2983 Depth=2
	s_or_b32 exec_lo, exec_lo, s25
.LBB4_3088:                             ;   in Loop: Header=BB4_2983 Depth=2
	s_delay_alu instid0(SALU_CYCLE_1) | instskip(SKIP_3) | instid1(VALU_DEP_1)
	s_or_b32 exec_lo, exec_lo, s24
	v_and_b32_e32 v11, 0xff, v12
	s_mov_b32 s7, 0
	s_mov_b32 s25, exec_lo
                                        ; implicit-def: $sgpr24
	v_cmpx_lt_i16_e32 0x7f, v11
	s_xor_b32 s25, exec_lo, s25
	s_cbranch_execnz .LBB4_3918
; %bb.3089:                             ;   in Loop: Header=BB4_2983 Depth=2
	s_or_saveexec_b32 s25, s25
	v_mov_b32_e32 v10, s24
	s_xor_b32 exec_lo, exec_lo, s25
	s_cbranch_execnz .LBB4_3921
.LBB4_3090:                             ;   in Loop: Header=BB4_2983 Depth=2
	s_or_b32 exec_lo, exec_lo, s25
	s_and_saveexec_b32 s24, s7
	s_cbranch_execz .LBB4_3092
.LBB4_3091:                             ;   in Loop: Header=BB4_2983 Depth=2
	v_bfe_u32 v15, v12, 3, 4
	v_lshlrev_b32_e32 v16, 24, v12
	s_delay_alu instid0(VALU_DEP_2) | instskip(SKIP_1) | instid1(VALU_DEP_1)
	v_cmp_eq_u32_e32 vcc_lo, 0, v15
	v_and_b32_e32 v10, 7, v12
	v_clz_i32_u32_e32 v11, v10
	s_delay_alu instid0(VALU_DEP_1) | instskip(NEXT) | instid1(VALU_DEP_1)
	v_min_u32_e32 v11, 32, v11
	v_subrev_nc_u32_e32 v14, 28, v11
	v_sub_nc_u32_e32 v11, 29, v11
	s_delay_alu instid0(VALU_DEP_1) | instskip(NEXT) | instid1(VALU_DEP_1)
	v_dual_cndmask_b32 v11, v15, v11 :: v_dual_lshlrev_b32 v14, v14, v12
	v_and_b32_e32 v14, 7, v14
	s_delay_alu instid0(VALU_DEP_2) | instskip(NEXT) | instid1(VALU_DEP_2)
	v_lshl_add_u32 v11, v11, 23, 0x3b800000
	v_cndmask_b32_e32 v10, v10, v14, vcc_lo
	v_and_b32_e32 v14, 0x80000000, v16
	s_delay_alu instid0(VALU_DEP_2) | instskip(NEXT) | instid1(VALU_DEP_1)
	v_lshlrev_b32_e32 v10, 20, v10
	v_or3_b32 v10, v14, v11, v10
.LBB4_3092:                             ;   in Loop: Header=BB4_2983 Depth=2
	s_or_b32 exec_lo, exec_lo, s24
	s_delay_alu instid0(VALU_DEP_1) | instskip(SKIP_2) | instid1(VALU_DEP_2)
	v_mul_f32_e32 v10, s23, v10
	v_mov_b32_e32 v148, 0x80
	s_mov_b32 s24, exec_lo
	v_and_b32_e32 v11, 0x7f800000, v10
	s_delay_alu instid0(VALU_DEP_1)
	v_cmpx_ne_u32_e32 0x7f800000, v11
	s_cbranch_execz .LBB4_3100
; %bb.3093:                             ;   in Loop: Header=BB4_2983 Depth=2
	v_mov_b32_e32 v148, 0
	s_mov_b32 s25, exec_lo
	v_cmpx_ne_u32_e32 0, v10
	s_cbranch_execz .LBB4_3099
; %bb.3094:                             ;   in Loop: Header=BB4_2983 Depth=2
	v_bfe_u32 v11, v10, 23, 8
	s_delay_alu instid0(VALU_DEP_1) | instskip(SKIP_1) | instid1(VALU_DEP_2)
	v_sub_nc_u32_e32 v15, 0x78, v11
	v_cmp_gt_u32_e32 vcc_lo, 0x79, v11
	v_dual_cndmask_b32 v15, 0, v15 :: v_dual_and_b32 v14, 0x7fffff, v10
	s_delay_alu instid0(VALU_DEP_1) | instskip(SKIP_2) | instid1(VALU_DEP_4)
	v_or_b32_e32 v16, 0x800000, v14
	v_cmp_eq_u32_e32 vcc_lo, 0, v11
	v_add_nc_u32_e32 v11, 0xffffff89, v11
	v_cndmask_b32_e64 v15, v15, 0x77, vcc_lo
	s_delay_alu instid0(VALU_DEP_4) | instskip(NEXT) | instid1(VALU_DEP_3)
	v_cndmask_b32_e32 v14, v16, v14, vcc_lo
	v_cndmask_b32_e64 v11, v11, 0xffffff8a, vcc_lo
	s_delay_alu instid0(VALU_DEP_3) | instskip(NEXT) | instid1(VALU_DEP_3)
	v_lshl_add_u32 v16, 0x100000, v15, -1
	v_lshrrev_b32_e32 v17, v15, v14
	v_lshlrev_b32_e64 v97, v15, 0x80000
	s_delay_alu instid0(VALU_DEP_4) | instskip(NEXT) | instid1(VALU_DEP_4)
	v_add_nc_u32_e32 v15, v15, v11
	v_and_b32_e32 v14, v16, v14
	s_delay_alu instid0(VALU_DEP_4) | instskip(NEXT) | instid1(VALU_DEP_2)
	v_bfe_u32 v96, v17, 20, 1
	v_cmp_eq_u32_e64 s7, v14, v97
	s_delay_alu instid0(VALU_DEP_2) | instskip(NEXT) | instid1(VALU_DEP_1)
	v_add_nc_u32_e32 v16, -1, v96
	v_cndmask_b32_e64 v14, 0, v16, s7
	v_lshrrev_b32_e32 v16, 23, v17
	s_mov_b32 s7, exec_lo
	s_delay_alu instid0(VALU_DEP_2) | instskip(NEXT) | instid1(VALU_DEP_2)
	v_add_nc_u32_e32 v14, v14, v17
	v_xor_b32_e32 v16, 1, v16
	s_delay_alu instid0(VALU_DEP_2) | instskip(NEXT) | instid1(VALU_DEP_1)
	v_and_b32_e32 v11, 0xfffff, v14
	v_add_nc_u32_e32 v14, v11, v17
                                        ; implicit-def: $vgpr11
	s_delay_alu instid0(VALU_DEP_3)
	v_cmpx_ne_u32_e64 v15, v16
	s_xor_b32 s7, exec_lo, s7
; %bb.3095:                             ;   in Loop: Header=BB4_2983 Depth=2
	s_delay_alu instid0(VALU_DEP_2) | instskip(SKIP_2) | instid1(VALU_DEP_2)
	v_cmp_lt_u32_e32 vcc_lo, 0xffffff, v14
	v_sub_nc_u32_e32 v11, v15, v16
	v_cndmask_b32_e64 v15, 0, 1, vcc_lo
	v_add_co_ci_u32_e32 v11, vcc_lo, 0, v11, vcc_lo
	s_delay_alu instid0(VALU_DEP_2)
	v_lshrrev_b32_e32 v14, v15, v14
; %bb.3096:                             ;   in Loop: Header=BB4_2983 Depth=2
	s_and_not1_saveexec_b32 s7, s7
; %bb.3097:                             ;   in Loop: Header=BB4_2983 Depth=2
	s_delay_alu instid0(VALU_DEP_1)
	v_bfe_u32 v11, v14, 23, 1
; %bb.3098:                             ;   in Loop: Header=BB4_2983 Depth=2
	s_or_b32 exec_lo, exec_lo, s7
	v_lshrrev_b32_e32 v14, 20, v14
	s_delay_alu instid0(VALU_DEP_2) | instskip(SKIP_2) | instid1(VALU_DEP_4)
	v_cmp_gt_i32_e32 vcc_lo, 16, v11
	v_lshrrev_b32_e32 v10, 24, v10
	v_min_i32_e32 v15, 15, v11
	v_cndmask_b32_e32 v14, 7, v14, vcc_lo
	s_delay_alu instid0(VALU_DEP_3) | instskip(NEXT) | instid1(VALU_DEP_3)
	v_and_b32_e32 v10, 0x80, v10
	v_lshlrev_b32_e32 v15, 3, v15
	s_delay_alu instid0(VALU_DEP_3) | instskip(SKIP_1) | instid1(VALU_DEP_2)
	v_and_b32_e32 v16, 7, v14
	v_or_b32_e32 v11, v11, v14
	v_or3_b32 v10, v15, v10, v16
	s_delay_alu instid0(VALU_DEP_2) | instskip(NEXT) | instid1(VALU_DEP_2)
	v_cmp_ne_u32_e32 vcc_lo, 0, v11
	v_cndmask_b32_e32 v148, 0, v10, vcc_lo
.LBB4_3099:                             ;   in Loop: Header=BB4_2983 Depth=2
	s_or_b32 exec_lo, exec_lo, s25
.LBB4_3100:                             ;   in Loop: Header=BB4_2983 Depth=2
	s_delay_alu instid0(SALU_CYCLE_1) | instskip(SKIP_3) | instid1(VALU_DEP_1)
	s_or_b32 exec_lo, exec_lo, s24
	v_lshrrev_b16 v10, 8, v12
	s_mov_b32 s7, 0
	s_mov_b32 s25, exec_lo
                                        ; implicit-def: $sgpr24
	v_cmpx_lt_i16_e32 0x7f, v10
	s_xor_b32 s25, exec_lo, s25
	s_cbranch_execnz .LBB4_3922
; %bb.3101:                             ;   in Loop: Header=BB4_2983 Depth=2
	s_or_saveexec_b32 s25, s25
	v_mov_b32_e32 v11, s24
	s_xor_b32 exec_lo, exec_lo, s25
	s_cbranch_execnz .LBB4_3925
.LBB4_3102:                             ;   in Loop: Header=BB4_2983 Depth=2
	s_or_b32 exec_lo, exec_lo, s25
	s_and_saveexec_b32 s24, s7
	s_cbranch_execz .LBB4_3104
.LBB4_3103:                             ;   in Loop: Header=BB4_2983 Depth=2
	v_and_b32_e32 v11, 0xffff, v10
	v_lshlrev_b32_e32 v10, 24, v10
	s_delay_alu instid0(VALU_DEP_2) | instskip(NEXT) | instid1(VALU_DEP_2)
	v_and_b32_e32 v14, 7, v11
	v_and_b32_e32 v10, 0x80000000, v10
	s_delay_alu instid0(VALU_DEP_2) | instskip(NEXT) | instid1(VALU_DEP_1)
	v_clz_i32_u32_e32 v15, v14
	v_min_u32_e32 v15, 32, v15
	s_delay_alu instid0(VALU_DEP_1) | instskip(SKIP_1) | instid1(VALU_DEP_2)
	v_subrev_nc_u32_e32 v16, 28, v15
	v_sub_nc_u32_e32 v15, 29, v15
	v_lshlrev_b32_e32 v16, v16, v11
	v_bfe_u32 v11, v11, 3, 4
	s_delay_alu instid0(VALU_DEP_1) | instskip(NEXT) | instid1(VALU_DEP_3)
	v_cmp_eq_u32_e32 vcc_lo, 0, v11
	v_dual_cndmask_b32 v11, v11, v15 :: v_dual_and_b32 v16, 7, v16
	s_delay_alu instid0(VALU_DEP_1) | instskip(NEXT) | instid1(VALU_DEP_2)
	v_cndmask_b32_e32 v14, v14, v16, vcc_lo
	v_lshl_add_u32 v11, v11, 23, 0x3b800000
	s_delay_alu instid0(VALU_DEP_2) | instskip(NEXT) | instid1(VALU_DEP_1)
	v_lshlrev_b32_e32 v14, 20, v14
	v_or3_b32 v11, v10, v11, v14
.LBB4_3104:                             ;   in Loop: Header=BB4_2983 Depth=2
	s_or_b32 exec_lo, exec_lo, s24
	s_delay_alu instid0(VALU_DEP_1) | instskip(SKIP_2) | instid1(VALU_DEP_2)
	v_mul_f32_e32 v10, s23, v11
	v_mov_b32_e32 v146, 0x80
	s_mov_b32 s24, exec_lo
	v_and_b32_e32 v11, 0x7f800000, v10
	s_delay_alu instid0(VALU_DEP_1)
	v_cmpx_ne_u32_e32 0x7f800000, v11
	s_cbranch_execz .LBB4_3112
; %bb.3105:                             ;   in Loop: Header=BB4_2983 Depth=2
	v_mov_b32_e32 v146, 0
	s_mov_b32 s25, exec_lo
	v_cmpx_ne_u32_e32 0, v10
	s_cbranch_execz .LBB4_3111
; %bb.3106:                             ;   in Loop: Header=BB4_2983 Depth=2
	v_bfe_u32 v11, v10, 23, 8
	s_delay_alu instid0(VALU_DEP_1) | instskip(SKIP_1) | instid1(VALU_DEP_2)
	v_sub_nc_u32_e32 v15, 0x78, v11
	v_cmp_gt_u32_e32 vcc_lo, 0x79, v11
	v_dual_cndmask_b32 v15, 0, v15 :: v_dual_and_b32 v14, 0x7fffff, v10
	s_delay_alu instid0(VALU_DEP_1) | instskip(SKIP_2) | instid1(VALU_DEP_4)
	v_or_b32_e32 v16, 0x800000, v14
	v_cmp_eq_u32_e32 vcc_lo, 0, v11
	v_add_nc_u32_e32 v11, 0xffffff89, v11
	v_cndmask_b32_e64 v15, v15, 0x77, vcc_lo
	s_delay_alu instid0(VALU_DEP_4) | instskip(NEXT) | instid1(VALU_DEP_3)
	v_cndmask_b32_e32 v14, v16, v14, vcc_lo
	v_cndmask_b32_e64 v11, v11, 0xffffff8a, vcc_lo
	s_delay_alu instid0(VALU_DEP_3) | instskip(NEXT) | instid1(VALU_DEP_3)
	v_lshl_add_u32 v16, 0x100000, v15, -1
	v_lshrrev_b32_e32 v17, v15, v14
	v_lshlrev_b32_e64 v97, v15, 0x80000
	s_delay_alu instid0(VALU_DEP_4) | instskip(NEXT) | instid1(VALU_DEP_4)
	v_add_nc_u32_e32 v15, v15, v11
	v_and_b32_e32 v14, v16, v14
	s_delay_alu instid0(VALU_DEP_4) | instskip(NEXT) | instid1(VALU_DEP_2)
	v_bfe_u32 v96, v17, 20, 1
	v_cmp_eq_u32_e64 s7, v14, v97
	s_delay_alu instid0(VALU_DEP_2) | instskip(NEXT) | instid1(VALU_DEP_1)
	v_add_nc_u32_e32 v16, -1, v96
	v_cndmask_b32_e64 v14, 0, v16, s7
	v_lshrrev_b32_e32 v16, 23, v17
	s_mov_b32 s7, exec_lo
	s_delay_alu instid0(VALU_DEP_2) | instskip(NEXT) | instid1(VALU_DEP_2)
	v_add_nc_u32_e32 v14, v14, v17
	v_xor_b32_e32 v16, 1, v16
	s_delay_alu instid0(VALU_DEP_2) | instskip(NEXT) | instid1(VALU_DEP_1)
	v_and_b32_e32 v11, 0xfffff, v14
	v_add_nc_u32_e32 v14, v11, v17
                                        ; implicit-def: $vgpr11
	s_delay_alu instid0(VALU_DEP_3)
	v_cmpx_ne_u32_e64 v15, v16
	s_xor_b32 s7, exec_lo, s7
; %bb.3107:                             ;   in Loop: Header=BB4_2983 Depth=2
	s_delay_alu instid0(VALU_DEP_2) | instskip(SKIP_2) | instid1(VALU_DEP_2)
	v_cmp_lt_u32_e32 vcc_lo, 0xffffff, v14
	v_sub_nc_u32_e32 v11, v15, v16
	v_cndmask_b32_e64 v15, 0, 1, vcc_lo
	v_add_co_ci_u32_e32 v11, vcc_lo, 0, v11, vcc_lo
	s_delay_alu instid0(VALU_DEP_2)
	v_lshrrev_b32_e32 v14, v15, v14
; %bb.3108:                             ;   in Loop: Header=BB4_2983 Depth=2
	s_and_not1_saveexec_b32 s7, s7
; %bb.3109:                             ;   in Loop: Header=BB4_2983 Depth=2
	s_delay_alu instid0(VALU_DEP_1)
	v_bfe_u32 v11, v14, 23, 1
; %bb.3110:                             ;   in Loop: Header=BB4_2983 Depth=2
	s_or_b32 exec_lo, exec_lo, s7
	v_lshrrev_b32_e32 v14, 20, v14
	s_delay_alu instid0(VALU_DEP_2) | instskip(SKIP_2) | instid1(VALU_DEP_4)
	v_cmp_gt_i32_e32 vcc_lo, 16, v11
	v_lshrrev_b32_e32 v10, 24, v10
	v_min_i32_e32 v15, 15, v11
	v_cndmask_b32_e32 v14, 7, v14, vcc_lo
	s_delay_alu instid0(VALU_DEP_3) | instskip(NEXT) | instid1(VALU_DEP_3)
	v_and_b32_e32 v10, 0x80, v10
	v_lshlrev_b32_e32 v15, 3, v15
	s_delay_alu instid0(VALU_DEP_3) | instskip(SKIP_1) | instid1(VALU_DEP_2)
	v_and_b32_e32 v16, 7, v14
	v_or_b32_e32 v11, v11, v14
	v_or3_b32 v10, v15, v10, v16
	s_delay_alu instid0(VALU_DEP_2) | instskip(NEXT) | instid1(VALU_DEP_2)
	v_cmp_ne_u32_e32 vcc_lo, 0, v11
	v_cndmask_b32_e32 v146, 0, v10, vcc_lo
.LBB4_3111:                             ;   in Loop: Header=BB4_2983 Depth=2
	s_or_b32 exec_lo, exec_lo, s25
.LBB4_3112:                             ;   in Loop: Header=BB4_2983 Depth=2
	s_delay_alu instid0(SALU_CYCLE_1) | instskip(SKIP_3) | instid1(VALU_DEP_1)
	s_or_b32 exec_lo, exec_lo, s24
	v_lshrrev_b32_e32 v10, 16, v12
	s_mov_b32 s7, 0
	s_mov_b32 s25, exec_lo
                                        ; implicit-def: $sgpr24
	v_and_b32_e32 v14, 0xff, v10
	s_delay_alu instid0(VALU_DEP_1)
	v_cmpx_lt_i16_e32 0x7f, v14
	s_xor_b32 s25, exec_lo, s25
	s_cbranch_execnz .LBB4_3926
; %bb.3113:                             ;   in Loop: Header=BB4_2983 Depth=2
	s_or_saveexec_b32 s25, s25
	v_mov_b32_e32 v11, s24
	s_xor_b32 exec_lo, exec_lo, s25
	s_cbranch_execnz .LBB4_3929
.LBB4_3114:                             ;   in Loop: Header=BB4_2983 Depth=2
	s_or_b32 exec_lo, exec_lo, s25
	s_and_saveexec_b32 s24, s7
	s_cbranch_execz .LBB4_3116
.LBB4_3115:                             ;   in Loop: Header=BB4_2983 Depth=2
	v_bfe_u32 v11, v12, 16, 3
	v_lshlrev_b32_e32 v16, 8, v12
	s_delay_alu instid0(VALU_DEP_2) | instskip(NEXT) | instid1(VALU_DEP_1)
	v_clz_i32_u32_e32 v14, v11
	v_min_u32_e32 v14, 32, v14
	s_delay_alu instid0(VALU_DEP_1) | instskip(SKIP_1) | instid1(VALU_DEP_2)
	v_subrev_nc_u32_e32 v15, 28, v14
	v_sub_nc_u32_e32 v14, 29, v14
	v_lshlrev_b32_e32 v10, v15, v10
	v_bfe_u32 v15, v12, 19, 4
	s_delay_alu instid0(VALU_DEP_2) | instskip(NEXT) | instid1(VALU_DEP_2)
	v_and_b32_e32 v10, 7, v10
	v_cmp_eq_u32_e32 vcc_lo, 0, v15
	v_cndmask_b32_e32 v14, v15, v14, vcc_lo
	s_delay_alu instid0(VALU_DEP_3) | instskip(NEXT) | instid1(VALU_DEP_2)
	v_dual_cndmask_b32 v10, v11, v10 :: v_dual_and_b32 v11, 0x80000000, v16
	v_lshl_add_u32 v14, v14, 23, 0x3b800000
	s_delay_alu instid0(VALU_DEP_2) | instskip(NEXT) | instid1(VALU_DEP_1)
	v_lshlrev_b32_e32 v10, 20, v10
	v_or3_b32 v11, v11, v14, v10
.LBB4_3116:                             ;   in Loop: Header=BB4_2983 Depth=2
	s_or_b32 exec_lo, exec_lo, s24
	s_delay_alu instid0(VALU_DEP_1) | instskip(SKIP_1) | instid1(VALU_DEP_1)
	v_dual_mul_f32 v10, s23, v11 :: v_dual_mov_b32 v145, 0x80
	s_mov_b32 s24, exec_lo
	v_and_b32_e32 v11, 0x7f800000, v10
	s_delay_alu instid0(VALU_DEP_1)
	v_cmpx_ne_u32_e32 0x7f800000, v11
	s_cbranch_execz .LBB4_3124
; %bb.3117:                             ;   in Loop: Header=BB4_2983 Depth=2
	v_mov_b32_e32 v145, 0
	s_mov_b32 s25, exec_lo
	v_cmpx_ne_u32_e32 0, v10
	s_cbranch_execz .LBB4_3123
; %bb.3118:                             ;   in Loop: Header=BB4_2983 Depth=2
	v_bfe_u32 v11, v10, 23, 8
	s_delay_alu instid0(VALU_DEP_1) | instskip(SKIP_1) | instid1(VALU_DEP_2)
	v_sub_nc_u32_e32 v15, 0x78, v11
	v_cmp_gt_u32_e32 vcc_lo, 0x79, v11
	v_dual_cndmask_b32 v15, 0, v15 :: v_dual_and_b32 v14, 0x7fffff, v10
	s_delay_alu instid0(VALU_DEP_1) | instskip(SKIP_2) | instid1(VALU_DEP_4)
	v_or_b32_e32 v16, 0x800000, v14
	v_cmp_eq_u32_e32 vcc_lo, 0, v11
	v_add_nc_u32_e32 v11, 0xffffff89, v11
	v_cndmask_b32_e64 v15, v15, 0x77, vcc_lo
	s_delay_alu instid0(VALU_DEP_4) | instskip(NEXT) | instid1(VALU_DEP_3)
	v_cndmask_b32_e32 v14, v16, v14, vcc_lo
	v_cndmask_b32_e64 v11, v11, 0xffffff8a, vcc_lo
	s_delay_alu instid0(VALU_DEP_3) | instskip(NEXT) | instid1(VALU_DEP_3)
	v_lshl_add_u32 v16, 0x100000, v15, -1
	v_lshrrev_b32_e32 v17, v15, v14
	v_lshlrev_b32_e64 v97, v15, 0x80000
	s_delay_alu instid0(VALU_DEP_4) | instskip(NEXT) | instid1(VALU_DEP_4)
	v_add_nc_u32_e32 v15, v15, v11
	v_and_b32_e32 v14, v16, v14
	s_delay_alu instid0(VALU_DEP_4) | instskip(NEXT) | instid1(VALU_DEP_2)
	v_bfe_u32 v96, v17, 20, 1
	v_cmp_eq_u32_e64 s7, v14, v97
	s_delay_alu instid0(VALU_DEP_2) | instskip(NEXT) | instid1(VALU_DEP_1)
	v_add_nc_u32_e32 v16, -1, v96
	v_cndmask_b32_e64 v14, 0, v16, s7
	v_lshrrev_b32_e32 v16, 23, v17
	s_mov_b32 s7, exec_lo
	s_delay_alu instid0(VALU_DEP_2) | instskip(NEXT) | instid1(VALU_DEP_2)
	v_add_nc_u32_e32 v14, v14, v17
	v_xor_b32_e32 v16, 1, v16
	s_delay_alu instid0(VALU_DEP_2) | instskip(NEXT) | instid1(VALU_DEP_1)
	v_and_b32_e32 v11, 0xfffff, v14
	v_add_nc_u32_e32 v14, v11, v17
                                        ; implicit-def: $vgpr11
	s_delay_alu instid0(VALU_DEP_3)
	v_cmpx_ne_u32_e64 v15, v16
	s_xor_b32 s7, exec_lo, s7
; %bb.3119:                             ;   in Loop: Header=BB4_2983 Depth=2
	s_delay_alu instid0(VALU_DEP_2) | instskip(SKIP_2) | instid1(VALU_DEP_2)
	v_cmp_lt_u32_e32 vcc_lo, 0xffffff, v14
	v_sub_nc_u32_e32 v11, v15, v16
	v_cndmask_b32_e64 v15, 0, 1, vcc_lo
	v_add_co_ci_u32_e32 v11, vcc_lo, 0, v11, vcc_lo
	s_delay_alu instid0(VALU_DEP_2)
	v_lshrrev_b32_e32 v14, v15, v14
; %bb.3120:                             ;   in Loop: Header=BB4_2983 Depth=2
	s_and_not1_saveexec_b32 s7, s7
; %bb.3121:                             ;   in Loop: Header=BB4_2983 Depth=2
	s_delay_alu instid0(VALU_DEP_1)
	v_bfe_u32 v11, v14, 23, 1
; %bb.3122:                             ;   in Loop: Header=BB4_2983 Depth=2
	s_or_b32 exec_lo, exec_lo, s7
	v_lshrrev_b32_e32 v14, 20, v14
	s_delay_alu instid0(VALU_DEP_2) | instskip(SKIP_2) | instid1(VALU_DEP_4)
	v_cmp_gt_i32_e32 vcc_lo, 16, v11
	v_lshrrev_b32_e32 v10, 24, v10
	v_min_i32_e32 v15, 15, v11
	v_cndmask_b32_e32 v14, 7, v14, vcc_lo
	s_delay_alu instid0(VALU_DEP_3) | instskip(NEXT) | instid1(VALU_DEP_3)
	v_and_b32_e32 v10, 0x80, v10
	v_lshlrev_b32_e32 v15, 3, v15
	s_delay_alu instid0(VALU_DEP_3) | instskip(SKIP_1) | instid1(VALU_DEP_2)
	v_and_b32_e32 v16, 7, v14
	v_or_b32_e32 v11, v11, v14
	v_or3_b32 v10, v15, v10, v16
	s_delay_alu instid0(VALU_DEP_2) | instskip(NEXT) | instid1(VALU_DEP_2)
	v_cmp_ne_u32_e32 vcc_lo, 0, v11
	v_cndmask_b32_e32 v145, 0, v10, vcc_lo
.LBB4_3123:                             ;   in Loop: Header=BB4_2983 Depth=2
	s_or_b32 exec_lo, exec_lo, s25
.LBB4_3124:                             ;   in Loop: Header=BB4_2983 Depth=2
	s_delay_alu instid0(SALU_CYCLE_1) | instskip(SKIP_3) | instid1(VALU_DEP_1)
	s_or_b32 exec_lo, exec_lo, s24
	v_lshrrev_b32_e32 v10, 24, v12
	s_mov_b32 s7, 0
	s_mov_b32 s25, exec_lo
                                        ; implicit-def: $sgpr24
	v_cmpx_lt_i16_e32 0x7f, v10
	s_xor_b32 s25, exec_lo, s25
	s_cbranch_execnz .LBB4_3930
; %bb.3125:                             ;   in Loop: Header=BB4_2983 Depth=2
	s_or_saveexec_b32 s25, s25
	v_mov_b32_e32 v11, s24
	s_xor_b32 exec_lo, exec_lo, s25
	s_cbranch_execnz .LBB4_3933
.LBB4_3126:                             ;   in Loop: Header=BB4_2983 Depth=2
	s_or_b32 exec_lo, exec_lo, s25
	s_and_saveexec_b32 s24, s7
	s_cbranch_execz .LBB4_3128
.LBB4_3127:                             ;   in Loop: Header=BB4_2983 Depth=2
	v_bfe_u32 v11, v12, 24, 3
	s_delay_alu instid0(VALU_DEP_1) | instskip(NEXT) | instid1(VALU_DEP_1)
	v_clz_i32_u32_e32 v14, v11
	v_min_u32_e32 v14, 32, v14
	s_delay_alu instid0(VALU_DEP_1) | instskip(SKIP_1) | instid1(VALU_DEP_2)
	v_subrev_nc_u32_e32 v15, 28, v14
	v_sub_nc_u32_e32 v14, 29, v14
	v_lshlrev_b32_e32 v10, v15, v10
	v_bfe_u32 v15, v12, 27, 4
	s_delay_alu instid0(VALU_DEP_2) | instskip(NEXT) | instid1(VALU_DEP_2)
	v_and_b32_e32 v10, 7, v10
	v_cmp_eq_u32_e32 vcc_lo, 0, v15
	v_cndmask_b32_e32 v14, v15, v14, vcc_lo
	s_delay_alu instid0(VALU_DEP_3) | instskip(NEXT) | instid1(VALU_DEP_2)
	v_dual_cndmask_b32 v10, v11, v10 :: v_dual_and_b32 v11, 0x80000000, v12
	v_lshl_add_u32 v12, v14, 23, 0x3b800000
	s_delay_alu instid0(VALU_DEP_2) | instskip(NEXT) | instid1(VALU_DEP_1)
	v_lshlrev_b32_e32 v10, 20, v10
	v_or3_b32 v11, v11, v12, v10
.LBB4_3128:                             ;   in Loop: Header=BB4_2983 Depth=2
	s_or_b32 exec_lo, exec_lo, s24
	s_delay_alu instid0(VALU_DEP_1) | instskip(SKIP_2) | instid1(VALU_DEP_2)
	v_mul_f32_e32 v10, s23, v11
	v_mov_b32_e32 v134, 0x80
	s_mov_b32 s24, exec_lo
	v_and_b32_e32 v11, 0x7f800000, v10
	s_delay_alu instid0(VALU_DEP_1)
	v_cmpx_ne_u32_e32 0x7f800000, v11
	s_cbranch_execz .LBB4_3136
; %bb.3129:                             ;   in Loop: Header=BB4_2983 Depth=2
	v_mov_b32_e32 v134, 0
	s_mov_b32 s25, exec_lo
	v_cmpx_ne_u32_e32 0, v10
	s_cbranch_execz .LBB4_3135
; %bb.3130:                             ;   in Loop: Header=BB4_2983 Depth=2
	v_bfe_u32 v11, v10, 23, 8
	v_and_b32_e32 v12, 0x7fffff, v10
	s_delay_alu instid0(VALU_DEP_2) | instskip(SKIP_1) | instid1(VALU_DEP_3)
	v_sub_nc_u32_e32 v14, 0x78, v11
	v_cmp_gt_u32_e32 vcc_lo, 0x79, v11
	v_or_b32_e32 v15, 0x800000, v12
	s_delay_alu instid0(VALU_DEP_3) | instskip(SKIP_2) | instid1(VALU_DEP_3)
	v_cndmask_b32_e32 v14, 0, v14, vcc_lo
	v_cmp_eq_u32_e32 vcc_lo, 0, v11
	v_add_nc_u32_e32 v11, 0xffffff89, v11
	v_cndmask_b32_e64 v14, v14, 0x77, vcc_lo
	v_cndmask_b32_e32 v12, v15, v12, vcc_lo
	s_delay_alu instid0(VALU_DEP_3) | instskip(NEXT) | instid1(VALU_DEP_3)
	v_cndmask_b32_e64 v11, v11, 0xffffff8a, vcc_lo
	v_lshl_add_u32 v15, 0x100000, v14, -1
	s_delay_alu instid0(VALU_DEP_3) | instskip(SKIP_1) | instid1(VALU_DEP_4)
	v_lshrrev_b32_e32 v16, v14, v12
	v_lshlrev_b32_e64 v96, v14, 0x80000
	v_add_nc_u32_e32 v14, v14, v11
	s_delay_alu instid0(VALU_DEP_4) | instskip(NEXT) | instid1(VALU_DEP_4)
	v_and_b32_e32 v12, v15, v12
	v_bfe_u32 v17, v16, 20, 1
	s_delay_alu instid0(VALU_DEP_2) | instskip(NEXT) | instid1(VALU_DEP_2)
	v_cmp_eq_u32_e64 s7, v12, v96
	v_add_nc_u32_e32 v15, -1, v17
	s_delay_alu instid0(VALU_DEP_1) | instskip(SKIP_2) | instid1(VALU_DEP_2)
	v_cndmask_b32_e64 v12, 0, v15, s7
	v_lshrrev_b32_e32 v15, 23, v16
	s_mov_b32 s7, exec_lo
	v_add_nc_u32_e32 v12, v12, v16
	s_delay_alu instid0(VALU_DEP_2) | instskip(NEXT) | instid1(VALU_DEP_2)
	v_xor_b32_e32 v15, 1, v15
	v_and_b32_e32 v11, 0xfffff, v12
	s_delay_alu instid0(VALU_DEP_1) | instskip(NEXT) | instid1(VALU_DEP_3)
	v_add_nc_u32_e32 v12, v11, v16
                                        ; implicit-def: $vgpr11
	v_cmpx_ne_u32_e64 v14, v15
	s_xor_b32 s7, exec_lo, s7
; %bb.3131:                             ;   in Loop: Header=BB4_2983 Depth=2
	s_delay_alu instid0(VALU_DEP_2) | instskip(SKIP_2) | instid1(VALU_DEP_2)
	v_cmp_lt_u32_e32 vcc_lo, 0xffffff, v12
	v_sub_nc_u32_e32 v11, v14, v15
	v_cndmask_b32_e64 v14, 0, 1, vcc_lo
	v_add_co_ci_u32_e32 v11, vcc_lo, 0, v11, vcc_lo
	s_delay_alu instid0(VALU_DEP_2)
	v_lshrrev_b32_e32 v12, v14, v12
; %bb.3132:                             ;   in Loop: Header=BB4_2983 Depth=2
	s_and_not1_saveexec_b32 s7, s7
; %bb.3133:                             ;   in Loop: Header=BB4_2983 Depth=2
	s_delay_alu instid0(VALU_DEP_1)
	v_bfe_u32 v11, v12, 23, 1
; %bb.3134:                             ;   in Loop: Header=BB4_2983 Depth=2
	s_or_b32 exec_lo, exec_lo, s7
	v_lshrrev_b32_e32 v12, 20, v12
	s_delay_alu instid0(VALU_DEP_2) | instskip(SKIP_2) | instid1(VALU_DEP_4)
	v_cmp_gt_i32_e32 vcc_lo, 16, v11
	v_lshrrev_b32_e32 v10, 24, v10
	v_min_i32_e32 v14, 15, v11
	v_cndmask_b32_e32 v12, 7, v12, vcc_lo
	s_delay_alu instid0(VALU_DEP_3) | instskip(NEXT) | instid1(VALU_DEP_3)
	v_and_b32_e32 v10, 0x80, v10
	v_lshlrev_b32_e32 v14, 3, v14
	s_delay_alu instid0(VALU_DEP_3) | instskip(NEXT) | instid1(VALU_DEP_1)
	v_or_b32_e32 v11, v11, v12
	v_cmp_ne_u32_e32 vcc_lo, 0, v11
	v_and_b32_e32 v15, 7, v12
	s_delay_alu instid0(VALU_DEP_1) | instskip(NEXT) | instid1(VALU_DEP_1)
	v_or3_b32 v10, v14, v10, v15
	v_cndmask_b32_e32 v134, 0, v10, vcc_lo
.LBB4_3135:                             ;   in Loop: Header=BB4_2983 Depth=2
	s_or_b32 exec_lo, exec_lo, s25
.LBB4_3136:                             ;   in Loop: Header=BB4_2983 Depth=2
	s_delay_alu instid0(SALU_CYCLE_1) | instskip(SKIP_3) | instid1(VALU_DEP_1)
	s_or_b32 exec_lo, exec_lo, s24
	v_and_b32_e32 v11, 0xff, v13
	s_mov_b32 s7, 0
	s_mov_b32 s25, exec_lo
                                        ; implicit-def: $sgpr24
	v_cmpx_lt_i16_e32 0x7f, v11
	s_xor_b32 s25, exec_lo, s25
	s_cbranch_execnz .LBB4_3934
; %bb.3137:                             ;   in Loop: Header=BB4_2983 Depth=2
	s_or_saveexec_b32 s25, s25
	v_mov_b32_e32 v10, s24
	s_xor_b32 exec_lo, exec_lo, s25
	s_cbranch_execnz .LBB4_3937
.LBB4_3138:                             ;   in Loop: Header=BB4_2983 Depth=2
	s_or_b32 exec_lo, exec_lo, s25
	s_and_saveexec_b32 s24, s7
	s_cbranch_execz .LBB4_3140
.LBB4_3139:                             ;   in Loop: Header=BB4_2983 Depth=2
	v_bfe_u32 v14, v13, 3, 4
	s_delay_alu instid0(VALU_DEP_1) | instskip(SKIP_1) | instid1(VALU_DEP_1)
	v_cmp_eq_u32_e32 vcc_lo, 0, v14
	v_and_b32_e32 v10, 7, v13
	v_clz_i32_u32_e32 v11, v10
	s_delay_alu instid0(VALU_DEP_1) | instskip(NEXT) | instid1(VALU_DEP_1)
	v_min_u32_e32 v11, 32, v11
	v_subrev_nc_u32_e32 v12, 28, v11
	v_sub_nc_u32_e32 v11, 29, v11
	s_delay_alu instid0(VALU_DEP_1) | instskip(NEXT) | instid1(VALU_DEP_1)
	v_dual_cndmask_b32 v11, v14, v11 :: v_dual_lshlrev_b32 v12, v12, v13
	v_and_b32_e32 v12, 7, v12
	v_lshlrev_b32_e32 v15, 24, v13
	s_delay_alu instid0(VALU_DEP_3) | instskip(NEXT) | instid1(VALU_DEP_3)
	v_lshl_add_u32 v11, v11, 23, 0x3b800000
	v_cndmask_b32_e32 v10, v10, v12, vcc_lo
	s_delay_alu instid0(VALU_DEP_3) | instskip(NEXT) | instid1(VALU_DEP_2)
	v_and_b32_e32 v12, 0x80000000, v15
	v_lshlrev_b32_e32 v10, 20, v10
	s_delay_alu instid0(VALU_DEP_1)
	v_or3_b32 v10, v12, v11, v10
.LBB4_3140:                             ;   in Loop: Header=BB4_2983 Depth=2
	s_or_b32 exec_lo, exec_lo, s24
	s_delay_alu instid0(VALU_DEP_1) | instskip(SKIP_1) | instid1(VALU_DEP_1)
	v_dual_mul_f32 v10, s23, v10 :: v_dual_mov_b32 v133, 0x80
	s_mov_b32 s24, exec_lo
	v_and_b32_e32 v11, 0x7f800000, v10
	s_delay_alu instid0(VALU_DEP_1)
	v_cmpx_ne_u32_e32 0x7f800000, v11
	s_cbranch_execz .LBB4_3148
; %bb.3141:                             ;   in Loop: Header=BB4_2983 Depth=2
	v_mov_b32_e32 v133, 0
	s_mov_b32 s25, exec_lo
	v_cmpx_ne_u32_e32 0, v10
	s_cbranch_execz .LBB4_3147
; %bb.3142:                             ;   in Loop: Header=BB4_2983 Depth=2
	v_bfe_u32 v11, v10, 23, 8
	v_and_b32_e32 v12, 0x7fffff, v10
	s_delay_alu instid0(VALU_DEP_2) | instskip(SKIP_1) | instid1(VALU_DEP_3)
	v_sub_nc_u32_e32 v14, 0x78, v11
	v_cmp_gt_u32_e32 vcc_lo, 0x79, v11
	v_or_b32_e32 v15, 0x800000, v12
	s_delay_alu instid0(VALU_DEP_3) | instskip(SKIP_2) | instid1(VALU_DEP_3)
	v_cndmask_b32_e32 v14, 0, v14, vcc_lo
	v_cmp_eq_u32_e32 vcc_lo, 0, v11
	v_add_nc_u32_e32 v11, 0xffffff89, v11
	v_cndmask_b32_e64 v14, v14, 0x77, vcc_lo
	v_cndmask_b32_e32 v12, v15, v12, vcc_lo
	s_delay_alu instid0(VALU_DEP_3) | instskip(NEXT) | instid1(VALU_DEP_3)
	v_cndmask_b32_e64 v11, v11, 0xffffff8a, vcc_lo
	v_lshl_add_u32 v15, 0x100000, v14, -1
	s_delay_alu instid0(VALU_DEP_3) | instskip(SKIP_1) | instid1(VALU_DEP_4)
	v_lshrrev_b32_e32 v16, v14, v12
	v_lshlrev_b32_e64 v96, v14, 0x80000
	v_add_nc_u32_e32 v14, v14, v11
	s_delay_alu instid0(VALU_DEP_4) | instskip(NEXT) | instid1(VALU_DEP_4)
	v_and_b32_e32 v12, v15, v12
	v_bfe_u32 v17, v16, 20, 1
	s_delay_alu instid0(VALU_DEP_2) | instskip(NEXT) | instid1(VALU_DEP_2)
	v_cmp_eq_u32_e64 s7, v12, v96
	v_add_nc_u32_e32 v15, -1, v17
	s_delay_alu instid0(VALU_DEP_1) | instskip(SKIP_2) | instid1(VALU_DEP_2)
	v_cndmask_b32_e64 v12, 0, v15, s7
	v_lshrrev_b32_e32 v15, 23, v16
	s_mov_b32 s7, exec_lo
	v_add_nc_u32_e32 v12, v12, v16
	s_delay_alu instid0(VALU_DEP_2) | instskip(NEXT) | instid1(VALU_DEP_2)
	v_xor_b32_e32 v15, 1, v15
	v_and_b32_e32 v11, 0xfffff, v12
	s_delay_alu instid0(VALU_DEP_1) | instskip(NEXT) | instid1(VALU_DEP_3)
	v_add_nc_u32_e32 v12, v11, v16
                                        ; implicit-def: $vgpr11
	v_cmpx_ne_u32_e64 v14, v15
	s_xor_b32 s7, exec_lo, s7
; %bb.3143:                             ;   in Loop: Header=BB4_2983 Depth=2
	s_delay_alu instid0(VALU_DEP_2) | instskip(SKIP_2) | instid1(VALU_DEP_2)
	v_cmp_lt_u32_e32 vcc_lo, 0xffffff, v12
	v_sub_nc_u32_e32 v11, v14, v15
	v_cndmask_b32_e64 v14, 0, 1, vcc_lo
	v_add_co_ci_u32_e32 v11, vcc_lo, 0, v11, vcc_lo
	s_delay_alu instid0(VALU_DEP_2)
	v_lshrrev_b32_e32 v12, v14, v12
; %bb.3144:                             ;   in Loop: Header=BB4_2983 Depth=2
	s_and_not1_saveexec_b32 s7, s7
; %bb.3145:                             ;   in Loop: Header=BB4_2983 Depth=2
	s_delay_alu instid0(VALU_DEP_1)
	v_bfe_u32 v11, v12, 23, 1
; %bb.3146:                             ;   in Loop: Header=BB4_2983 Depth=2
	s_or_b32 exec_lo, exec_lo, s7
	v_lshrrev_b32_e32 v12, 20, v12
	s_delay_alu instid0(VALU_DEP_2) | instskip(SKIP_2) | instid1(VALU_DEP_3)
	v_min_i32_e32 v14, 15, v11
	v_cmp_gt_i32_e32 vcc_lo, 16, v11
	v_lshrrev_b32_e32 v10, 24, v10
	v_lshlrev_b32_e32 v14, 3, v14
	v_cndmask_b32_e32 v12, 7, v12, vcc_lo
	s_delay_alu instid0(VALU_DEP_3) | instskip(NEXT) | instid1(VALU_DEP_3)
	v_and_b32_e32 v10, 0x80, v10
	v_and_b32_e32 v14, 0xf8, v14
	s_delay_alu instid0(VALU_DEP_3) | instskip(SKIP_1) | instid1(VALU_DEP_2)
	v_and_b32_e32 v15, 7, v12
	v_or_b32_e32 v11, v11, v12
	v_or3_b32 v10, v14, v10, v15
	s_delay_alu instid0(VALU_DEP_2) | instskip(NEXT) | instid1(VALU_DEP_2)
	v_cmp_ne_u32_e32 vcc_lo, 0, v11
	v_cndmask_b32_e32 v133, 0, v10, vcc_lo
.LBB4_3147:                             ;   in Loop: Header=BB4_2983 Depth=2
	s_or_b32 exec_lo, exec_lo, s25
.LBB4_3148:                             ;   in Loop: Header=BB4_2983 Depth=2
	s_delay_alu instid0(SALU_CYCLE_1) | instskip(SKIP_3) | instid1(VALU_DEP_1)
	s_or_b32 exec_lo, exec_lo, s24
	v_lshrrev_b16 v10, 8, v13
	s_mov_b32 s7, 0
	s_mov_b32 s25, exec_lo
                                        ; implicit-def: $sgpr24
	v_cmpx_lt_i16_e32 0x7f, v10
	s_xor_b32 s25, exec_lo, s25
	s_cbranch_execnz .LBB4_3938
; %bb.3149:                             ;   in Loop: Header=BB4_2983 Depth=2
	s_or_saveexec_b32 s25, s25
	v_mov_b32_e32 v11, s24
	s_xor_b32 exec_lo, exec_lo, s25
	s_cbranch_execnz .LBB4_3941
.LBB4_3150:                             ;   in Loop: Header=BB4_2983 Depth=2
	s_or_b32 exec_lo, exec_lo, s25
	s_and_saveexec_b32 s24, s7
	s_cbranch_execz .LBB4_3152
.LBB4_3151:                             ;   in Loop: Header=BB4_2983 Depth=2
	v_and_b32_e32 v11, 0xffff, v10
	v_lshlrev_b32_e32 v10, 24, v10
	s_delay_alu instid0(VALU_DEP_2) | instskip(NEXT) | instid1(VALU_DEP_2)
	v_and_b32_e32 v12, 7, v11
	v_and_b32_e32 v10, 0x80000000, v10
	s_delay_alu instid0(VALU_DEP_2) | instskip(NEXT) | instid1(VALU_DEP_1)
	v_clz_i32_u32_e32 v14, v12
	v_min_u32_e32 v14, 32, v14
	s_delay_alu instid0(VALU_DEP_1) | instskip(SKIP_1) | instid1(VALU_DEP_2)
	v_subrev_nc_u32_e32 v15, 28, v14
	v_sub_nc_u32_e32 v14, 29, v14
	v_lshlrev_b32_e32 v15, v15, v11
	v_bfe_u32 v11, v11, 3, 4
	s_delay_alu instid0(VALU_DEP_2) | instskip(NEXT) | instid1(VALU_DEP_2)
	v_and_b32_e32 v15, 7, v15
	v_cmp_eq_u32_e32 vcc_lo, 0, v11
	s_delay_alu instid0(VALU_DEP_2) | instskip(NEXT) | instid1(VALU_DEP_1)
	v_dual_cndmask_b32 v11, v11, v14 :: v_dual_cndmask_b32 v12, v12, v15
	v_lshl_add_u32 v11, v11, 23, 0x3b800000
	s_delay_alu instid0(VALU_DEP_2) | instskip(NEXT) | instid1(VALU_DEP_1)
	v_lshlrev_b32_e32 v12, 20, v12
	v_or3_b32 v11, v10, v11, v12
.LBB4_3152:                             ;   in Loop: Header=BB4_2983 Depth=2
	s_or_b32 exec_lo, exec_lo, s24
	s_delay_alu instid0(VALU_DEP_1) | instskip(SKIP_1) | instid1(VALU_DEP_1)
	v_dual_mul_f32 v10, s23, v11 :: v_dual_mov_b32 v147, 0x8000
	s_mov_b32 s24, exec_lo
	v_and_b32_e32 v11, 0x7f800000, v10
	s_delay_alu instid0(VALU_DEP_1)
	v_cmpx_ne_u32_e32 0x7f800000, v11
	s_cbranch_execz .LBB4_3160
; %bb.3153:                             ;   in Loop: Header=BB4_2983 Depth=2
	v_mov_b32_e32 v147, 0
	s_mov_b32 s25, exec_lo
	v_cmpx_ne_u32_e32 0, v10
	s_cbranch_execz .LBB4_3159
; %bb.3154:                             ;   in Loop: Header=BB4_2983 Depth=2
	v_bfe_u32 v11, v10, 23, 8
	v_and_b32_e32 v12, 0x7fffff, v10
	s_delay_alu instid0(VALU_DEP_2) | instskip(SKIP_1) | instid1(VALU_DEP_3)
	v_sub_nc_u32_e32 v14, 0x78, v11
	v_cmp_gt_u32_e32 vcc_lo, 0x79, v11
	v_or_b32_e32 v15, 0x800000, v12
	s_delay_alu instid0(VALU_DEP_3) | instskip(SKIP_2) | instid1(VALU_DEP_3)
	v_cndmask_b32_e32 v14, 0, v14, vcc_lo
	v_cmp_eq_u32_e32 vcc_lo, 0, v11
	v_add_nc_u32_e32 v11, 0xffffff89, v11
	v_cndmask_b32_e64 v14, v14, 0x77, vcc_lo
	v_cndmask_b32_e32 v12, v15, v12, vcc_lo
	s_delay_alu instid0(VALU_DEP_3) | instskip(NEXT) | instid1(VALU_DEP_3)
	v_cndmask_b32_e64 v11, v11, 0xffffff8a, vcc_lo
	v_lshl_add_u32 v15, 0x100000, v14, -1
	s_delay_alu instid0(VALU_DEP_3) | instskip(SKIP_1) | instid1(VALU_DEP_4)
	v_lshrrev_b32_e32 v16, v14, v12
	v_lshlrev_b32_e64 v96, v14, 0x80000
	v_add_nc_u32_e32 v14, v14, v11
	s_delay_alu instid0(VALU_DEP_4) | instskip(NEXT) | instid1(VALU_DEP_4)
	v_and_b32_e32 v12, v15, v12
	v_bfe_u32 v17, v16, 20, 1
	s_delay_alu instid0(VALU_DEP_2) | instskip(NEXT) | instid1(VALU_DEP_2)
	v_cmp_eq_u32_e64 s7, v12, v96
	v_add_nc_u32_e32 v15, -1, v17
	s_delay_alu instid0(VALU_DEP_1) | instskip(SKIP_2) | instid1(VALU_DEP_2)
	v_cndmask_b32_e64 v12, 0, v15, s7
	v_lshrrev_b32_e32 v15, 23, v16
	s_mov_b32 s7, exec_lo
	v_add_nc_u32_e32 v12, v12, v16
	s_delay_alu instid0(VALU_DEP_2) | instskip(NEXT) | instid1(VALU_DEP_2)
	v_xor_b32_e32 v15, 1, v15
	v_and_b32_e32 v11, 0xfffff, v12
	s_delay_alu instid0(VALU_DEP_1) | instskip(NEXT) | instid1(VALU_DEP_3)
	v_add_nc_u32_e32 v12, v11, v16
                                        ; implicit-def: $vgpr11
	v_cmpx_ne_u32_e64 v14, v15
	s_xor_b32 s7, exec_lo, s7
; %bb.3155:                             ;   in Loop: Header=BB4_2983 Depth=2
	s_delay_alu instid0(VALU_DEP_2) | instskip(SKIP_2) | instid1(VALU_DEP_2)
	v_cmp_lt_u32_e32 vcc_lo, 0xffffff, v12
	v_sub_nc_u32_e32 v11, v14, v15
	v_cndmask_b32_e64 v14, 0, 1, vcc_lo
	v_add_co_ci_u32_e32 v11, vcc_lo, 0, v11, vcc_lo
	s_delay_alu instid0(VALU_DEP_2)
	v_lshrrev_b32_e32 v12, v14, v12
; %bb.3156:                             ;   in Loop: Header=BB4_2983 Depth=2
	s_and_not1_saveexec_b32 s7, s7
; %bb.3157:                             ;   in Loop: Header=BB4_2983 Depth=2
	s_delay_alu instid0(VALU_DEP_1)
	v_bfe_u32 v11, v12, 23, 1
; %bb.3158:                             ;   in Loop: Header=BB4_2983 Depth=2
	s_or_b32 exec_lo, exec_lo, s7
	v_lshrrev_b32_e32 v12, 20, v12
	s_delay_alu instid0(VALU_DEP_2) | instskip(SKIP_2) | instid1(VALU_DEP_3)
	v_min_i32_e32 v14, 15, v11
	v_cmp_gt_i32_e32 vcc_lo, 16, v11
	v_lshrrev_b32_e32 v10, 24, v10
	v_lshlrev_b32_e32 v14, 3, v14
	v_cndmask_b32_e32 v12, 7, v12, vcc_lo
	s_delay_alu instid0(VALU_DEP_3) | instskip(NEXT) | instid1(VALU_DEP_3)
	v_and_b32_e32 v10, 0x80, v10
	v_and_b32_e32 v14, 0xf8, v14
	s_delay_alu instid0(VALU_DEP_3) | instskip(SKIP_1) | instid1(VALU_DEP_2)
	v_and_b32_e32 v15, 7, v12
	v_or_b32_e32 v11, v11, v12
	v_or3_b32 v10, v10, v14, v15
	s_delay_alu instid0(VALU_DEP_2) | instskip(NEXT) | instid1(VALU_DEP_2)
	v_cmp_ne_u32_e32 vcc_lo, 0, v11
	v_lshlrev_b32_e32 v10, 8, v10
	s_delay_alu instid0(VALU_DEP_1)
	v_cndmask_b32_e32 v147, 0, v10, vcc_lo
.LBB4_3159:                             ;   in Loop: Header=BB4_2983 Depth=2
	s_or_b32 exec_lo, exec_lo, s25
.LBB4_3160:                             ;   in Loop: Header=BB4_2983 Depth=2
	s_delay_alu instid0(SALU_CYCLE_1) | instskip(SKIP_3) | instid1(VALU_DEP_1)
	s_or_b32 exec_lo, exec_lo, s24
	v_lshrrev_b32_e32 v10, 16, v13
	s_mov_b32 s7, 0
	s_mov_b32 s25, exec_lo
                                        ; implicit-def: $sgpr24
	v_and_b32_e32 v12, 0xff, v10
	s_delay_alu instid0(VALU_DEP_1)
	v_cmpx_lt_i16_e32 0x7f, v12
	s_xor_b32 s25, exec_lo, s25
	s_cbranch_execnz .LBB4_3942
; %bb.3161:                             ;   in Loop: Header=BB4_2983 Depth=2
	s_or_saveexec_b32 s25, s25
	v_mov_b32_e32 v11, s24
	s_xor_b32 exec_lo, exec_lo, s25
	s_cbranch_execnz .LBB4_3945
.LBB4_3162:                             ;   in Loop: Header=BB4_2983 Depth=2
	s_or_b32 exec_lo, exec_lo, s25
	s_and_saveexec_b32 s24, s7
	s_cbranch_execz .LBB4_3164
.LBB4_3163:                             ;   in Loop: Header=BB4_2983 Depth=2
	v_bfe_u32 v11, v13, 16, 3
	s_delay_alu instid0(VALU_DEP_1) | instskip(NEXT) | instid1(VALU_DEP_1)
	v_clz_i32_u32_e32 v12, v11
	v_min_u32_e32 v12, 32, v12
	s_delay_alu instid0(VALU_DEP_1) | instskip(SKIP_1) | instid1(VALU_DEP_2)
	v_subrev_nc_u32_e32 v14, 28, v12
	v_sub_nc_u32_e32 v12, 29, v12
	v_lshlrev_b32_e32 v10, v14, v10
	v_bfe_u32 v14, v13, 19, 4
	s_delay_alu instid0(VALU_DEP_2) | instskip(NEXT) | instid1(VALU_DEP_2)
	v_and_b32_e32 v10, 7, v10
	v_cmp_eq_u32_e32 vcc_lo, 0, v14
	v_dual_cndmask_b32 v12, v14, v12 :: v_dual_lshlrev_b32 v15, 8, v13
	s_delay_alu instid0(VALU_DEP_1) | instskip(NEXT) | instid1(VALU_DEP_2)
	v_dual_cndmask_b32 v10, v11, v10 :: v_dual_and_b32 v11, 0x80000000, v15
	v_lshl_add_u32 v12, v12, 23, 0x3b800000
	s_delay_alu instid0(VALU_DEP_2) | instskip(NEXT) | instid1(VALU_DEP_1)
	v_lshlrev_b32_e32 v10, 20, v10
	v_or3_b32 v11, v11, v12, v10
.LBB4_3164:                             ;   in Loop: Header=BB4_2983 Depth=2
	s_or_b32 exec_lo, exec_lo, s24
	s_delay_alu instid0(VALU_DEP_1) | instskip(SKIP_2) | instid1(VALU_DEP_2)
	v_mul_f32_e32 v10, s23, v11
	v_mov_b32_e32 v132, 0x80
	s_mov_b32 s24, exec_lo
	v_and_b32_e32 v11, 0x7f800000, v10
	s_delay_alu instid0(VALU_DEP_1)
	v_cmpx_ne_u32_e32 0x7f800000, v11
	s_cbranch_execz .LBB4_3172
; %bb.3165:                             ;   in Loop: Header=BB4_2983 Depth=2
	v_mov_b32_e32 v132, 0
	s_mov_b32 s25, exec_lo
	v_cmpx_ne_u32_e32 0, v10
	s_cbranch_execz .LBB4_3171
; %bb.3166:                             ;   in Loop: Header=BB4_2983 Depth=2
	v_bfe_u32 v11, v10, 23, 8
	v_and_b32_e32 v12, 0x7fffff, v10
	s_delay_alu instid0(VALU_DEP_2) | instskip(SKIP_1) | instid1(VALU_DEP_3)
	v_sub_nc_u32_e32 v14, 0x78, v11
	v_cmp_gt_u32_e32 vcc_lo, 0x79, v11
	v_or_b32_e32 v15, 0x800000, v12
	s_delay_alu instid0(VALU_DEP_3) | instskip(SKIP_2) | instid1(VALU_DEP_3)
	v_cndmask_b32_e32 v14, 0, v14, vcc_lo
	v_cmp_eq_u32_e32 vcc_lo, 0, v11
	v_add_nc_u32_e32 v11, 0xffffff89, v11
	v_cndmask_b32_e64 v14, v14, 0x77, vcc_lo
	v_cndmask_b32_e32 v12, v15, v12, vcc_lo
	s_delay_alu instid0(VALU_DEP_3) | instskip(NEXT) | instid1(VALU_DEP_3)
	v_cndmask_b32_e64 v11, v11, 0xffffff8a, vcc_lo
	v_lshl_add_u32 v15, 0x100000, v14, -1
	s_delay_alu instid0(VALU_DEP_3) | instskip(SKIP_1) | instid1(VALU_DEP_4)
	v_lshrrev_b32_e32 v16, v14, v12
	v_lshlrev_b32_e64 v96, v14, 0x80000
	v_add_nc_u32_e32 v14, v14, v11
	s_delay_alu instid0(VALU_DEP_4) | instskip(NEXT) | instid1(VALU_DEP_4)
	v_and_b32_e32 v12, v15, v12
	v_bfe_u32 v17, v16, 20, 1
	s_delay_alu instid0(VALU_DEP_2) | instskip(NEXT) | instid1(VALU_DEP_2)
	v_cmp_eq_u32_e64 s7, v12, v96
	v_add_nc_u32_e32 v15, -1, v17
	s_delay_alu instid0(VALU_DEP_1) | instskip(SKIP_2) | instid1(VALU_DEP_2)
	v_cndmask_b32_e64 v12, 0, v15, s7
	v_lshrrev_b32_e32 v15, 23, v16
	s_mov_b32 s7, exec_lo
	v_add_nc_u32_e32 v12, v12, v16
	s_delay_alu instid0(VALU_DEP_2) | instskip(NEXT) | instid1(VALU_DEP_2)
	v_xor_b32_e32 v15, 1, v15
	v_and_b32_e32 v11, 0xfffff, v12
	s_delay_alu instid0(VALU_DEP_1) | instskip(NEXT) | instid1(VALU_DEP_3)
	v_add_nc_u32_e32 v12, v11, v16
                                        ; implicit-def: $vgpr11
	v_cmpx_ne_u32_e64 v14, v15
	s_xor_b32 s7, exec_lo, s7
; %bb.3167:                             ;   in Loop: Header=BB4_2983 Depth=2
	s_delay_alu instid0(VALU_DEP_2) | instskip(SKIP_2) | instid1(VALU_DEP_2)
	v_cmp_lt_u32_e32 vcc_lo, 0xffffff, v12
	v_sub_nc_u32_e32 v11, v14, v15
	v_cndmask_b32_e64 v14, 0, 1, vcc_lo
	v_add_co_ci_u32_e32 v11, vcc_lo, 0, v11, vcc_lo
	s_delay_alu instid0(VALU_DEP_2)
	v_lshrrev_b32_e32 v12, v14, v12
; %bb.3168:                             ;   in Loop: Header=BB4_2983 Depth=2
	s_and_not1_saveexec_b32 s7, s7
; %bb.3169:                             ;   in Loop: Header=BB4_2983 Depth=2
	s_delay_alu instid0(VALU_DEP_1)
	v_bfe_u32 v11, v12, 23, 1
; %bb.3170:                             ;   in Loop: Header=BB4_2983 Depth=2
	s_or_b32 exec_lo, exec_lo, s7
	v_lshrrev_b32_e32 v12, 20, v12
	s_delay_alu instid0(VALU_DEP_2) | instskip(SKIP_2) | instid1(VALU_DEP_4)
	v_cmp_gt_i32_e32 vcc_lo, 16, v11
	v_min_i32_e32 v14, 15, v11
	v_lshrrev_b32_e32 v10, 24, v10
	v_cndmask_b32_e32 v12, 7, v12, vcc_lo
	s_delay_alu instid0(VALU_DEP_3) | instskip(NEXT) | instid1(VALU_DEP_3)
	v_lshlrev_b32_e32 v14, 3, v14
	v_and_b32_e32 v10, 0x80, v10
	s_delay_alu instid0(VALU_DEP_3) | instskip(NEXT) | instid1(VALU_DEP_3)
	v_or_b32_e32 v11, v11, v12
	v_and_b32_e32 v14, 0xf8, v14
	s_delay_alu instid0(VALU_DEP_2) | instskip(SKIP_1) | instid1(VALU_DEP_1)
	v_cmp_ne_u32_e32 vcc_lo, 0, v11
	v_and_b32_e32 v15, 7, v12
	v_or3_b32 v10, v14, v10, v15
	s_delay_alu instid0(VALU_DEP_1)
	v_cndmask_b32_e32 v132, 0, v10, vcc_lo
.LBB4_3171:                             ;   in Loop: Header=BB4_2983 Depth=2
	s_or_b32 exec_lo, exec_lo, s25
.LBB4_3172:                             ;   in Loop: Header=BB4_2983 Depth=2
	s_delay_alu instid0(SALU_CYCLE_1) | instskip(SKIP_3) | instid1(VALU_DEP_1)
	s_or_b32 exec_lo, exec_lo, s24
	v_lshrrev_b32_e32 v10, 24, v13
	s_mov_b32 s7, 0
	s_mov_b32 s25, exec_lo
                                        ; implicit-def: $sgpr24
	v_cmpx_lt_i16_e32 0x7f, v10
	s_xor_b32 s25, exec_lo, s25
	s_cbranch_execnz .LBB4_3946
; %bb.3173:                             ;   in Loop: Header=BB4_2983 Depth=2
	s_or_saveexec_b32 s25, s25
	v_mov_b32_e32 v11, s24
	s_xor_b32 exec_lo, exec_lo, s25
	s_cbranch_execnz .LBB4_3949
.LBB4_3174:                             ;   in Loop: Header=BB4_2983 Depth=2
	s_or_b32 exec_lo, exec_lo, s25
	s_and_saveexec_b32 s24, s7
	s_cbranch_execz .LBB4_3176
.LBB4_3175:                             ;   in Loop: Header=BB4_2983 Depth=2
	v_bfe_u32 v11, v13, 24, 3
	s_delay_alu instid0(VALU_DEP_1) | instskip(NEXT) | instid1(VALU_DEP_1)
	v_clz_i32_u32_e32 v12, v11
	v_min_u32_e32 v12, 32, v12
	s_delay_alu instid0(VALU_DEP_1) | instskip(SKIP_1) | instid1(VALU_DEP_2)
	v_subrev_nc_u32_e32 v14, 28, v12
	v_sub_nc_u32_e32 v12, 29, v12
	v_lshlrev_b32_e32 v10, v14, v10
	v_bfe_u32 v14, v13, 27, 4
	s_delay_alu instid0(VALU_DEP_2) | instskip(NEXT) | instid1(VALU_DEP_2)
	v_and_b32_e32 v10, 7, v10
	v_cmp_eq_u32_e32 vcc_lo, 0, v14
	v_cndmask_b32_e32 v12, v14, v12, vcc_lo
	s_delay_alu instid0(VALU_DEP_3) | instskip(NEXT) | instid1(VALU_DEP_2)
	v_dual_cndmask_b32 v10, v11, v10 :: v_dual_and_b32 v11, 0x80000000, v13
	v_lshl_add_u32 v12, v12, 23, 0x3b800000
	s_delay_alu instid0(VALU_DEP_2) | instskip(NEXT) | instid1(VALU_DEP_1)
	v_lshlrev_b32_e32 v10, 20, v10
	v_or3_b32 v11, v11, v12, v10
.LBB4_3176:                             ;   in Loop: Header=BB4_2983 Depth=2
	s_or_b32 exec_lo, exec_lo, s24
	s_delay_alu instid0(VALU_DEP_1) | instskip(SKIP_1) | instid1(VALU_DEP_1)
	v_dual_mul_f32 v10, s23, v11 :: v_dual_mov_b32 v135, 0x8000
	s_mov_b32 s24, exec_lo
	v_and_b32_e32 v11, 0x7f800000, v10
	s_delay_alu instid0(VALU_DEP_1)
	v_cmpx_ne_u32_e32 0x7f800000, v11
	s_cbranch_execz .LBB4_3184
; %bb.3177:                             ;   in Loop: Header=BB4_2983 Depth=2
	v_mov_b32_e32 v135, 0
	s_mov_b32 s25, exec_lo
	v_cmpx_ne_u32_e32 0, v10
	s_cbranch_execz .LBB4_3183
; %bb.3178:                             ;   in Loop: Header=BB4_2983 Depth=2
	v_bfe_u32 v11, v10, 23, 8
	s_delay_alu instid0(VALU_DEP_1) | instskip(SKIP_1) | instid1(VALU_DEP_2)
	v_sub_nc_u32_e32 v13, 0x78, v11
	v_cmp_gt_u32_e32 vcc_lo, 0x79, v11
	v_dual_cndmask_b32 v13, 0, v13 :: v_dual_and_b32 v12, 0x7fffff, v10
	s_delay_alu instid0(VALU_DEP_1) | instskip(SKIP_2) | instid1(VALU_DEP_4)
	v_or_b32_e32 v14, 0x800000, v12
	v_cmp_eq_u32_e32 vcc_lo, 0, v11
	v_add_nc_u32_e32 v11, 0xffffff89, v11
	v_cndmask_b32_e64 v13, v13, 0x77, vcc_lo
	s_delay_alu instid0(VALU_DEP_4) | instskip(NEXT) | instid1(VALU_DEP_3)
	v_cndmask_b32_e32 v12, v14, v12, vcc_lo
	v_cndmask_b32_e64 v11, v11, 0xffffff8a, vcc_lo
	s_delay_alu instid0(VALU_DEP_3) | instskip(NEXT) | instid1(VALU_DEP_3)
	v_lshl_add_u32 v14, 0x100000, v13, -1
	v_lshrrev_b32_e32 v15, v13, v12
	v_lshlrev_b32_e64 v17, v13, 0x80000
	s_delay_alu instid0(VALU_DEP_4) | instskip(NEXT) | instid1(VALU_DEP_4)
	v_add_nc_u32_e32 v13, v13, v11
	v_and_b32_e32 v12, v14, v12
	s_delay_alu instid0(VALU_DEP_4) | instskip(NEXT) | instid1(VALU_DEP_2)
	v_bfe_u32 v16, v15, 20, 1
	v_cmp_eq_u32_e64 s7, v12, v17
	s_delay_alu instid0(VALU_DEP_2) | instskip(NEXT) | instid1(VALU_DEP_1)
	v_add_nc_u32_e32 v14, -1, v16
	v_cndmask_b32_e64 v12, 0, v14, s7
	v_lshrrev_b32_e32 v14, 23, v15
	s_mov_b32 s7, exec_lo
	s_delay_alu instid0(VALU_DEP_2) | instskip(NEXT) | instid1(VALU_DEP_2)
	v_add_nc_u32_e32 v12, v12, v15
	v_xor_b32_e32 v14, 1, v14
	s_delay_alu instid0(VALU_DEP_2) | instskip(NEXT) | instid1(VALU_DEP_1)
	v_and_b32_e32 v11, 0xfffff, v12
	v_add_nc_u32_e32 v12, v11, v15
                                        ; implicit-def: $vgpr11
	s_delay_alu instid0(VALU_DEP_3)
	v_cmpx_ne_u32_e64 v13, v14
	s_xor_b32 s7, exec_lo, s7
; %bb.3179:                             ;   in Loop: Header=BB4_2983 Depth=2
	s_delay_alu instid0(VALU_DEP_2) | instskip(SKIP_2) | instid1(VALU_DEP_2)
	v_cmp_lt_u32_e32 vcc_lo, 0xffffff, v12
	v_sub_nc_u32_e32 v11, v13, v14
	v_cndmask_b32_e64 v13, 0, 1, vcc_lo
	v_add_co_ci_u32_e32 v11, vcc_lo, 0, v11, vcc_lo
	s_delay_alu instid0(VALU_DEP_2)
	v_lshrrev_b32_e32 v12, v13, v12
; %bb.3180:                             ;   in Loop: Header=BB4_2983 Depth=2
	s_and_not1_saveexec_b32 s7, s7
; %bb.3181:                             ;   in Loop: Header=BB4_2983 Depth=2
	s_delay_alu instid0(VALU_DEP_1)
	v_bfe_u32 v11, v12, 23, 1
; %bb.3182:                             ;   in Loop: Header=BB4_2983 Depth=2
	s_or_b32 exec_lo, exec_lo, s7
	v_lshrrev_b32_e32 v12, 20, v12
	s_delay_alu instid0(VALU_DEP_2) | instskip(SKIP_2) | instid1(VALU_DEP_2)
	v_cmp_gt_i32_e32 vcc_lo, 16, v11
	v_min_i32_e32 v13, 15, v11
	v_lshrrev_b32_e32 v10, 24, v10
	v_dual_cndmask_b32 v12, 7, v12 :: v_dual_lshlrev_b32 v13, 3, v13
	s_delay_alu instid0(VALU_DEP_2) | instskip(NEXT) | instid1(VALU_DEP_2)
	v_and_b32_e32 v10, 0x80, v10
	v_or_b32_e32 v11, v11, v12
	s_delay_alu instid0(VALU_DEP_3) | instskip(NEXT) | instid1(VALU_DEP_2)
	v_and_b32_e32 v13, 0xf8, v13
	v_cmp_ne_u32_e32 vcc_lo, 0, v11
	v_and_b32_e32 v14, 7, v12
	s_delay_alu instid0(VALU_DEP_1) | instskip(NEXT) | instid1(VALU_DEP_1)
	v_or3_b32 v10, v10, v13, v14
	v_lshlrev_b32_e32 v10, 8, v10
	s_delay_alu instid0(VALU_DEP_1)
	v_cndmask_b32_e32 v135, 0, v10, vcc_lo
.LBB4_3183:                             ;   in Loop: Header=BB4_2983 Depth=2
	s_or_b32 exec_lo, exec_lo, s25
.LBB4_3184:                             ;   in Loop: Header=BB4_2983 Depth=2
	s_delay_alu instid0(SALU_CYCLE_1)
	s_or_b32 exec_lo, exec_lo, s24
	global_load_b128 v[10:13], v[48:49], off offset:512 slc dlc
	s_mov_b32 s7, 0
	s_mov_b32 s25, exec_lo
                                        ; implicit-def: $sgpr24
	s_waitcnt vmcnt(0)
	v_and_b32_e32 v15, 0xff, v10
	s_delay_alu instid0(VALU_DEP_1)
	v_cmpx_lt_i16_e32 0x7f, v15
	s_xor_b32 s25, exec_lo, s25
	s_cbranch_execnz .LBB4_3950
; %bb.3185:                             ;   in Loop: Header=BB4_2983 Depth=2
	s_or_saveexec_b32 s25, s25
	v_mov_b32_e32 v14, s24
	s_xor_b32 exec_lo, exec_lo, s25
	s_cbranch_execnz .LBB4_3953
.LBB4_3186:                             ;   in Loop: Header=BB4_2983 Depth=2
	s_or_b32 exec_lo, exec_lo, s25
	s_and_saveexec_b32 s24, s7
	s_cbranch_execz .LBB4_3188
.LBB4_3187:                             ;   in Loop: Header=BB4_2983 Depth=2
	v_bfe_u32 v17, v10, 3, 4
	v_lshlrev_b32_e32 v96, 24, v10
	s_delay_alu instid0(VALU_DEP_2) | instskip(SKIP_1) | instid1(VALU_DEP_1)
	v_cmp_eq_u32_e32 vcc_lo, 0, v17
	v_and_b32_e32 v14, 7, v10
	v_clz_i32_u32_e32 v15, v14
	s_delay_alu instid0(VALU_DEP_1) | instskip(NEXT) | instid1(VALU_DEP_1)
	v_min_u32_e32 v15, 32, v15
	v_subrev_nc_u32_e32 v16, 28, v15
	v_sub_nc_u32_e32 v15, 29, v15
	s_delay_alu instid0(VALU_DEP_1) | instskip(NEXT) | instid1(VALU_DEP_1)
	v_dual_cndmask_b32 v15, v17, v15 :: v_dual_lshlrev_b32 v16, v16, v10
	v_and_b32_e32 v16, 7, v16
	s_delay_alu instid0(VALU_DEP_2) | instskip(NEXT) | instid1(VALU_DEP_2)
	v_lshl_add_u32 v15, v15, 23, 0x3b800000
	v_cndmask_b32_e32 v14, v14, v16, vcc_lo
	v_and_b32_e32 v16, 0x80000000, v96
	s_delay_alu instid0(VALU_DEP_2) | instskip(NEXT) | instid1(VALU_DEP_1)
	v_lshlrev_b32_e32 v14, 20, v14
	v_or3_b32 v14, v16, v15, v14
.LBB4_3188:                             ;   in Loop: Header=BB4_2983 Depth=2
	s_or_b32 exec_lo, exec_lo, s24
	s_delay_alu instid0(VALU_DEP_1) | instskip(SKIP_2) | instid1(VALU_DEP_2)
	v_mul_f32_e32 v14, s23, v14
	v_mov_b32_e32 v130, 0x80
	s_mov_b32 s24, exec_lo
	v_and_b32_e32 v15, 0x7f800000, v14
	s_delay_alu instid0(VALU_DEP_1)
	v_cmpx_ne_u32_e32 0x7f800000, v15
	s_cbranch_execz .LBB4_3196
; %bb.3189:                             ;   in Loop: Header=BB4_2983 Depth=2
	v_mov_b32_e32 v130, 0
	s_mov_b32 s25, exec_lo
	v_cmpx_ne_u32_e32 0, v14
	s_cbranch_execz .LBB4_3195
; %bb.3190:                             ;   in Loop: Header=BB4_2983 Depth=2
	v_bfe_u32 v15, v14, 23, 8
	s_delay_alu instid0(VALU_DEP_1) | instskip(SKIP_1) | instid1(VALU_DEP_2)
	v_sub_nc_u32_e32 v17, 0x78, v15
	v_cmp_gt_u32_e32 vcc_lo, 0x79, v15
	v_dual_cndmask_b32 v17, 0, v17 :: v_dual_and_b32 v16, 0x7fffff, v14
	s_delay_alu instid0(VALU_DEP_1) | instskip(SKIP_2) | instid1(VALU_DEP_4)
	v_or_b32_e32 v96, 0x800000, v16
	v_cmp_eq_u32_e32 vcc_lo, 0, v15
	v_add_nc_u32_e32 v15, 0xffffff89, v15
	v_cndmask_b32_e64 v17, v17, 0x77, vcc_lo
	s_delay_alu instid0(VALU_DEP_4) | instskip(NEXT) | instid1(VALU_DEP_3)
	v_cndmask_b32_e32 v16, v96, v16, vcc_lo
	v_cndmask_b32_e64 v15, v15, 0xffffff8a, vcc_lo
	s_delay_alu instid0(VALU_DEP_3) | instskip(NEXT) | instid1(VALU_DEP_3)
	v_lshl_add_u32 v96, 0x100000, v17, -1
	v_lshrrev_b32_e32 v97, v17, v16
	v_lshlrev_b32_e64 v100, v17, 0x80000
	s_delay_alu instid0(VALU_DEP_4) | instskip(NEXT) | instid1(VALU_DEP_4)
	v_add_nc_u32_e32 v17, v17, v15
	v_and_b32_e32 v16, v96, v16
	s_delay_alu instid0(VALU_DEP_4) | instskip(NEXT) | instid1(VALU_DEP_2)
	v_bfe_u32 v98, v97, 20, 1
	v_cmp_eq_u32_e64 s7, v16, v100
	s_delay_alu instid0(VALU_DEP_2) | instskip(NEXT) | instid1(VALU_DEP_1)
	v_add_nc_u32_e32 v96, -1, v98
	v_cndmask_b32_e64 v16, 0, v96, s7
	v_lshrrev_b32_e32 v96, 23, v97
	s_mov_b32 s7, exec_lo
	s_delay_alu instid0(VALU_DEP_2) | instskip(NEXT) | instid1(VALU_DEP_2)
	v_add_nc_u32_e32 v16, v16, v97
	v_xor_b32_e32 v96, 1, v96
	s_delay_alu instid0(VALU_DEP_2) | instskip(NEXT) | instid1(VALU_DEP_1)
	v_and_b32_e32 v15, 0xfffff, v16
	v_add_nc_u32_e32 v16, v15, v97
                                        ; implicit-def: $vgpr15
	s_delay_alu instid0(VALU_DEP_3)
	v_cmpx_ne_u32_e64 v17, v96
	s_xor_b32 s7, exec_lo, s7
; %bb.3191:                             ;   in Loop: Header=BB4_2983 Depth=2
	s_delay_alu instid0(VALU_DEP_2) | instskip(SKIP_2) | instid1(VALU_DEP_2)
	v_cmp_lt_u32_e32 vcc_lo, 0xffffff, v16
	v_sub_nc_u32_e32 v15, v17, v96
	v_cndmask_b32_e64 v17, 0, 1, vcc_lo
	v_add_co_ci_u32_e32 v15, vcc_lo, 0, v15, vcc_lo
	s_delay_alu instid0(VALU_DEP_2)
	v_lshrrev_b32_e32 v16, v17, v16
; %bb.3192:                             ;   in Loop: Header=BB4_2983 Depth=2
	s_and_not1_saveexec_b32 s7, s7
; %bb.3193:                             ;   in Loop: Header=BB4_2983 Depth=2
	s_delay_alu instid0(VALU_DEP_1)
	v_bfe_u32 v15, v16, 23, 1
; %bb.3194:                             ;   in Loop: Header=BB4_2983 Depth=2
	s_or_b32 exec_lo, exec_lo, s7
	v_lshrrev_b32_e32 v16, 20, v16
	s_delay_alu instid0(VALU_DEP_2) | instskip(SKIP_2) | instid1(VALU_DEP_4)
	v_cmp_gt_i32_e32 vcc_lo, 16, v15
	v_lshrrev_b32_e32 v14, 24, v14
	v_min_i32_e32 v17, 15, v15
	v_cndmask_b32_e32 v16, 7, v16, vcc_lo
	s_delay_alu instid0(VALU_DEP_3) | instskip(NEXT) | instid1(VALU_DEP_3)
	v_and_b32_e32 v14, 0x80, v14
	v_lshlrev_b32_e32 v17, 3, v17
	s_delay_alu instid0(VALU_DEP_3) | instskip(SKIP_1) | instid1(VALU_DEP_2)
	v_and_b32_e32 v96, 7, v16
	v_or_b32_e32 v15, v15, v16
	v_or3_b32 v14, v17, v14, v96
	s_delay_alu instid0(VALU_DEP_2) | instskip(NEXT) | instid1(VALU_DEP_2)
	v_cmp_ne_u32_e32 vcc_lo, 0, v15
	v_cndmask_b32_e32 v130, 0, v14, vcc_lo
.LBB4_3195:                             ;   in Loop: Header=BB4_2983 Depth=2
	s_or_b32 exec_lo, exec_lo, s25
.LBB4_3196:                             ;   in Loop: Header=BB4_2983 Depth=2
	s_delay_alu instid0(SALU_CYCLE_1) | instskip(SKIP_3) | instid1(VALU_DEP_1)
	s_or_b32 exec_lo, exec_lo, s24
	v_lshrrev_b16 v14, 8, v10
	s_mov_b32 s7, 0
	s_mov_b32 s25, exec_lo
                                        ; implicit-def: $sgpr24
	v_cmpx_lt_i16_e32 0x7f, v14
	s_xor_b32 s25, exec_lo, s25
	s_cbranch_execnz .LBB4_3954
; %bb.3197:                             ;   in Loop: Header=BB4_2983 Depth=2
	s_or_saveexec_b32 s25, s25
	v_mov_b32_e32 v15, s24
	s_xor_b32 exec_lo, exec_lo, s25
	s_cbranch_execnz .LBB4_3957
.LBB4_3198:                             ;   in Loop: Header=BB4_2983 Depth=2
	s_or_b32 exec_lo, exec_lo, s25
	s_and_saveexec_b32 s24, s7
	s_cbranch_execz .LBB4_3200
.LBB4_3199:                             ;   in Loop: Header=BB4_2983 Depth=2
	v_and_b32_e32 v15, 0xffff, v14
	v_lshlrev_b32_e32 v14, 24, v14
	s_delay_alu instid0(VALU_DEP_2) | instskip(NEXT) | instid1(VALU_DEP_2)
	v_and_b32_e32 v16, 7, v15
	v_and_b32_e32 v14, 0x80000000, v14
	s_delay_alu instid0(VALU_DEP_2) | instskip(NEXT) | instid1(VALU_DEP_1)
	v_clz_i32_u32_e32 v17, v16
	v_min_u32_e32 v17, 32, v17
	s_delay_alu instid0(VALU_DEP_1) | instskip(SKIP_1) | instid1(VALU_DEP_2)
	v_subrev_nc_u32_e32 v96, 28, v17
	v_sub_nc_u32_e32 v17, 29, v17
	v_lshlrev_b32_e32 v96, v96, v15
	v_bfe_u32 v15, v15, 3, 4
	s_delay_alu instid0(VALU_DEP_2) | instskip(NEXT) | instid1(VALU_DEP_2)
	v_and_b32_e32 v96, 7, v96
	v_cmp_eq_u32_e32 vcc_lo, 0, v15
	s_delay_alu instid0(VALU_DEP_2) | instskip(NEXT) | instid1(VALU_DEP_1)
	v_dual_cndmask_b32 v15, v15, v17 :: v_dual_cndmask_b32 v16, v16, v96
	v_lshl_add_u32 v15, v15, 23, 0x3b800000
	s_delay_alu instid0(VALU_DEP_2) | instskip(NEXT) | instid1(VALU_DEP_1)
	v_lshlrev_b32_e32 v16, 20, v16
	v_or3_b32 v15, v14, v15, v16
.LBB4_3200:                             ;   in Loop: Header=BB4_2983 Depth=2
	s_or_b32 exec_lo, exec_lo, s24
	s_delay_alu instid0(VALU_DEP_1) | instskip(SKIP_1) | instid1(VALU_DEP_1)
	v_dual_mul_f32 v14, s23, v15 :: v_dual_mov_b32 v119, 0x80
	s_mov_b32 s24, exec_lo
	v_and_b32_e32 v15, 0x7f800000, v14
	s_delay_alu instid0(VALU_DEP_1)
	v_cmpx_ne_u32_e32 0x7f800000, v15
	s_cbranch_execz .LBB4_3208
; %bb.3201:                             ;   in Loop: Header=BB4_2983 Depth=2
	v_mov_b32_e32 v119, 0
	s_mov_b32 s25, exec_lo
	v_cmpx_ne_u32_e32 0, v14
	s_cbranch_execz .LBB4_3207
; %bb.3202:                             ;   in Loop: Header=BB4_2983 Depth=2
	v_bfe_u32 v15, v14, 23, 8
	s_delay_alu instid0(VALU_DEP_1) | instskip(SKIP_1) | instid1(VALU_DEP_2)
	v_sub_nc_u32_e32 v17, 0x78, v15
	v_cmp_gt_u32_e32 vcc_lo, 0x79, v15
	v_dual_cndmask_b32 v17, 0, v17 :: v_dual_and_b32 v16, 0x7fffff, v14
	s_delay_alu instid0(VALU_DEP_1) | instskip(SKIP_2) | instid1(VALU_DEP_4)
	v_or_b32_e32 v96, 0x800000, v16
	v_cmp_eq_u32_e32 vcc_lo, 0, v15
	v_add_nc_u32_e32 v15, 0xffffff89, v15
	v_cndmask_b32_e64 v17, v17, 0x77, vcc_lo
	s_delay_alu instid0(VALU_DEP_4) | instskip(NEXT) | instid1(VALU_DEP_3)
	v_cndmask_b32_e32 v16, v96, v16, vcc_lo
	v_cndmask_b32_e64 v15, v15, 0xffffff8a, vcc_lo
	s_delay_alu instid0(VALU_DEP_3) | instskip(NEXT) | instid1(VALU_DEP_3)
	v_lshl_add_u32 v96, 0x100000, v17, -1
	v_lshrrev_b32_e32 v97, v17, v16
	v_lshlrev_b32_e64 v100, v17, 0x80000
	s_delay_alu instid0(VALU_DEP_4) | instskip(NEXT) | instid1(VALU_DEP_4)
	v_add_nc_u32_e32 v17, v17, v15
	v_and_b32_e32 v16, v96, v16
	s_delay_alu instid0(VALU_DEP_4) | instskip(NEXT) | instid1(VALU_DEP_2)
	v_bfe_u32 v98, v97, 20, 1
	v_cmp_eq_u32_e64 s7, v16, v100
	s_delay_alu instid0(VALU_DEP_2) | instskip(NEXT) | instid1(VALU_DEP_1)
	v_add_nc_u32_e32 v96, -1, v98
	v_cndmask_b32_e64 v16, 0, v96, s7
	v_lshrrev_b32_e32 v96, 23, v97
	s_mov_b32 s7, exec_lo
	s_delay_alu instid0(VALU_DEP_2) | instskip(NEXT) | instid1(VALU_DEP_2)
	v_add_nc_u32_e32 v16, v16, v97
	v_xor_b32_e32 v96, 1, v96
	s_delay_alu instid0(VALU_DEP_2) | instskip(NEXT) | instid1(VALU_DEP_1)
	v_and_b32_e32 v15, 0xfffff, v16
	v_add_nc_u32_e32 v16, v15, v97
                                        ; implicit-def: $vgpr15
	s_delay_alu instid0(VALU_DEP_3)
	v_cmpx_ne_u32_e64 v17, v96
	s_xor_b32 s7, exec_lo, s7
; %bb.3203:                             ;   in Loop: Header=BB4_2983 Depth=2
	s_delay_alu instid0(VALU_DEP_2) | instskip(SKIP_2) | instid1(VALU_DEP_2)
	v_cmp_lt_u32_e32 vcc_lo, 0xffffff, v16
	v_sub_nc_u32_e32 v15, v17, v96
	v_cndmask_b32_e64 v17, 0, 1, vcc_lo
	v_add_co_ci_u32_e32 v15, vcc_lo, 0, v15, vcc_lo
	s_delay_alu instid0(VALU_DEP_2)
	v_lshrrev_b32_e32 v16, v17, v16
; %bb.3204:                             ;   in Loop: Header=BB4_2983 Depth=2
	s_and_not1_saveexec_b32 s7, s7
; %bb.3205:                             ;   in Loop: Header=BB4_2983 Depth=2
	s_delay_alu instid0(VALU_DEP_1)
	v_bfe_u32 v15, v16, 23, 1
; %bb.3206:                             ;   in Loop: Header=BB4_2983 Depth=2
	s_or_b32 exec_lo, exec_lo, s7
	v_lshrrev_b32_e32 v16, 20, v16
	s_delay_alu instid0(VALU_DEP_2) | instskip(SKIP_2) | instid1(VALU_DEP_2)
	v_cmp_gt_i32_e32 vcc_lo, 16, v15
	v_min_i32_e32 v17, 15, v15
	v_lshrrev_b32_e32 v14, 24, v14
	v_dual_cndmask_b32 v16, 7, v16 :: v_dual_lshlrev_b32 v17, 3, v17
	s_delay_alu instid0(VALU_DEP_2) | instskip(NEXT) | instid1(VALU_DEP_2)
	v_and_b32_e32 v14, 0x80, v14
	v_or_b32_e32 v15, v15, v16
	s_delay_alu instid0(VALU_DEP_1) | instskip(SKIP_1) | instid1(VALU_DEP_1)
	v_cmp_ne_u32_e32 vcc_lo, 0, v15
	v_and_b32_e32 v96, 7, v16
	v_or3_b32 v14, v17, v14, v96
	s_delay_alu instid0(VALU_DEP_1)
	v_cndmask_b32_e32 v119, 0, v14, vcc_lo
.LBB4_3207:                             ;   in Loop: Header=BB4_2983 Depth=2
	s_or_b32 exec_lo, exec_lo, s25
.LBB4_3208:                             ;   in Loop: Header=BB4_2983 Depth=2
	s_delay_alu instid0(SALU_CYCLE_1) | instskip(SKIP_3) | instid1(VALU_DEP_1)
	s_or_b32 exec_lo, exec_lo, s24
	v_lshrrev_b32_e32 v14, 16, v10
	s_mov_b32 s7, 0
	s_mov_b32 s25, exec_lo
                                        ; implicit-def: $sgpr24
	v_and_b32_e32 v16, 0xff, v14
	s_delay_alu instid0(VALU_DEP_1)
	v_cmpx_lt_i16_e32 0x7f, v16
	s_xor_b32 s25, exec_lo, s25
	s_cbranch_execnz .LBB4_3958
; %bb.3209:                             ;   in Loop: Header=BB4_2983 Depth=2
	s_or_saveexec_b32 s25, s25
	v_mov_b32_e32 v15, s24
	s_xor_b32 exec_lo, exec_lo, s25
	s_cbranch_execnz .LBB4_3961
.LBB4_3210:                             ;   in Loop: Header=BB4_2983 Depth=2
	s_or_b32 exec_lo, exec_lo, s25
	s_and_saveexec_b32 s24, s7
	s_cbranch_execz .LBB4_3212
.LBB4_3211:                             ;   in Loop: Header=BB4_2983 Depth=2
	v_bfe_u32 v15, v10, 16, 3
	v_lshlrev_b32_e32 v96, 8, v10
	s_delay_alu instid0(VALU_DEP_2) | instskip(NEXT) | instid1(VALU_DEP_1)
	v_clz_i32_u32_e32 v16, v15
	v_min_u32_e32 v16, 32, v16
	s_delay_alu instid0(VALU_DEP_1) | instskip(SKIP_1) | instid1(VALU_DEP_2)
	v_subrev_nc_u32_e32 v17, 28, v16
	v_sub_nc_u32_e32 v16, 29, v16
	v_lshlrev_b32_e32 v14, v17, v14
	v_bfe_u32 v17, v10, 19, 4
	s_delay_alu instid0(VALU_DEP_2) | instskip(NEXT) | instid1(VALU_DEP_2)
	v_and_b32_e32 v14, 7, v14
	v_cmp_eq_u32_e32 vcc_lo, 0, v17
	v_cndmask_b32_e32 v16, v17, v16, vcc_lo
	s_delay_alu instid0(VALU_DEP_3) | instskip(NEXT) | instid1(VALU_DEP_2)
	v_dual_cndmask_b32 v14, v15, v14 :: v_dual_and_b32 v15, 0x80000000, v96
	v_lshl_add_u32 v16, v16, 23, 0x3b800000
	s_delay_alu instid0(VALU_DEP_2) | instskip(NEXT) | instid1(VALU_DEP_1)
	v_lshlrev_b32_e32 v14, 20, v14
	v_or3_b32 v15, v15, v16, v14
.LBB4_3212:                             ;   in Loop: Header=BB4_2983 Depth=2
	s_or_b32 exec_lo, exec_lo, s24
	s_delay_alu instid0(VALU_DEP_1) | instskip(SKIP_2) | instid1(VALU_DEP_2)
	v_mul_f32_e32 v14, s23, v15
	v_mov_b32_e32 v118, 0x80
	s_mov_b32 s24, exec_lo
	v_and_b32_e32 v15, 0x7f800000, v14
	s_delay_alu instid0(VALU_DEP_1)
	v_cmpx_ne_u32_e32 0x7f800000, v15
	s_cbranch_execz .LBB4_3220
; %bb.3213:                             ;   in Loop: Header=BB4_2983 Depth=2
	v_mov_b32_e32 v118, 0
	s_mov_b32 s25, exec_lo
	v_cmpx_ne_u32_e32 0, v14
	s_cbranch_execz .LBB4_3219
; %bb.3214:                             ;   in Loop: Header=BB4_2983 Depth=2
	v_bfe_u32 v15, v14, 23, 8
	s_delay_alu instid0(VALU_DEP_1) | instskip(SKIP_1) | instid1(VALU_DEP_2)
	v_sub_nc_u32_e32 v17, 0x78, v15
	v_cmp_gt_u32_e32 vcc_lo, 0x79, v15
	v_dual_cndmask_b32 v17, 0, v17 :: v_dual_and_b32 v16, 0x7fffff, v14
	s_delay_alu instid0(VALU_DEP_1) | instskip(SKIP_2) | instid1(VALU_DEP_4)
	v_or_b32_e32 v96, 0x800000, v16
	v_cmp_eq_u32_e32 vcc_lo, 0, v15
	v_add_nc_u32_e32 v15, 0xffffff89, v15
	v_cndmask_b32_e64 v17, v17, 0x77, vcc_lo
	s_delay_alu instid0(VALU_DEP_4) | instskip(NEXT) | instid1(VALU_DEP_3)
	v_cndmask_b32_e32 v16, v96, v16, vcc_lo
	v_cndmask_b32_e64 v15, v15, 0xffffff8a, vcc_lo
	s_delay_alu instid0(VALU_DEP_3) | instskip(NEXT) | instid1(VALU_DEP_3)
	v_lshl_add_u32 v96, 0x100000, v17, -1
	v_lshrrev_b32_e32 v97, v17, v16
	v_lshlrev_b32_e64 v100, v17, 0x80000
	s_delay_alu instid0(VALU_DEP_4) | instskip(NEXT) | instid1(VALU_DEP_4)
	v_add_nc_u32_e32 v17, v17, v15
	v_and_b32_e32 v16, v96, v16
	s_delay_alu instid0(VALU_DEP_4) | instskip(NEXT) | instid1(VALU_DEP_2)
	v_bfe_u32 v98, v97, 20, 1
	v_cmp_eq_u32_e64 s7, v16, v100
	s_delay_alu instid0(VALU_DEP_2) | instskip(NEXT) | instid1(VALU_DEP_1)
	v_add_nc_u32_e32 v96, -1, v98
	v_cndmask_b32_e64 v16, 0, v96, s7
	v_lshrrev_b32_e32 v96, 23, v97
	s_mov_b32 s7, exec_lo
	s_delay_alu instid0(VALU_DEP_2) | instskip(NEXT) | instid1(VALU_DEP_2)
	v_add_nc_u32_e32 v16, v16, v97
	v_xor_b32_e32 v96, 1, v96
	s_delay_alu instid0(VALU_DEP_2) | instskip(NEXT) | instid1(VALU_DEP_1)
	v_and_b32_e32 v15, 0xfffff, v16
	v_add_nc_u32_e32 v16, v15, v97
                                        ; implicit-def: $vgpr15
	s_delay_alu instid0(VALU_DEP_3)
	v_cmpx_ne_u32_e64 v17, v96
	s_xor_b32 s7, exec_lo, s7
; %bb.3215:                             ;   in Loop: Header=BB4_2983 Depth=2
	s_delay_alu instid0(VALU_DEP_2) | instskip(SKIP_2) | instid1(VALU_DEP_2)
	v_cmp_lt_u32_e32 vcc_lo, 0xffffff, v16
	v_sub_nc_u32_e32 v15, v17, v96
	v_cndmask_b32_e64 v17, 0, 1, vcc_lo
	v_add_co_ci_u32_e32 v15, vcc_lo, 0, v15, vcc_lo
	s_delay_alu instid0(VALU_DEP_2)
	v_lshrrev_b32_e32 v16, v17, v16
; %bb.3216:                             ;   in Loop: Header=BB4_2983 Depth=2
	s_and_not1_saveexec_b32 s7, s7
; %bb.3217:                             ;   in Loop: Header=BB4_2983 Depth=2
	s_delay_alu instid0(VALU_DEP_1)
	v_bfe_u32 v15, v16, 23, 1
; %bb.3218:                             ;   in Loop: Header=BB4_2983 Depth=2
	s_or_b32 exec_lo, exec_lo, s7
	v_lshrrev_b32_e32 v16, 20, v16
	s_delay_alu instid0(VALU_DEP_2) | instskip(SKIP_2) | instid1(VALU_DEP_4)
	v_cmp_gt_i32_e32 vcc_lo, 16, v15
	v_lshrrev_b32_e32 v14, 24, v14
	v_min_i32_e32 v17, 15, v15
	v_cndmask_b32_e32 v16, 7, v16, vcc_lo
	s_delay_alu instid0(VALU_DEP_3) | instskip(NEXT) | instid1(VALU_DEP_3)
	v_and_b32_e32 v14, 0x80, v14
	v_lshlrev_b32_e32 v17, 3, v17
	s_delay_alu instid0(VALU_DEP_3) | instskip(SKIP_1) | instid1(VALU_DEP_2)
	v_and_b32_e32 v96, 7, v16
	v_or_b32_e32 v15, v15, v16
	v_or3_b32 v14, v17, v14, v96
	s_delay_alu instid0(VALU_DEP_2) | instskip(NEXT) | instid1(VALU_DEP_2)
	v_cmp_ne_u32_e32 vcc_lo, 0, v15
	v_cndmask_b32_e32 v118, 0, v14, vcc_lo
.LBB4_3219:                             ;   in Loop: Header=BB4_2983 Depth=2
	s_or_b32 exec_lo, exec_lo, s25
.LBB4_3220:                             ;   in Loop: Header=BB4_2983 Depth=2
	s_delay_alu instid0(SALU_CYCLE_1) | instskip(SKIP_3) | instid1(VALU_DEP_1)
	s_or_b32 exec_lo, exec_lo, s24
	v_lshrrev_b32_e32 v14, 24, v10
	s_mov_b32 s7, 0
	s_mov_b32 s25, exec_lo
                                        ; implicit-def: $sgpr24
	v_cmpx_lt_i16_e32 0x7f, v14
	s_xor_b32 s25, exec_lo, s25
	s_cbranch_execnz .LBB4_3962
; %bb.3221:                             ;   in Loop: Header=BB4_2983 Depth=2
	s_or_saveexec_b32 s25, s25
	v_mov_b32_e32 v15, s24
	s_xor_b32 exec_lo, exec_lo, s25
	s_cbranch_execnz .LBB4_3965
.LBB4_3222:                             ;   in Loop: Header=BB4_2983 Depth=2
	s_or_b32 exec_lo, exec_lo, s25
	s_and_saveexec_b32 s24, s7
	s_cbranch_execz .LBB4_3224
.LBB4_3223:                             ;   in Loop: Header=BB4_2983 Depth=2
	v_bfe_u32 v15, v10, 24, 3
	s_delay_alu instid0(VALU_DEP_1) | instskip(NEXT) | instid1(VALU_DEP_1)
	v_clz_i32_u32_e32 v16, v15
	v_min_u32_e32 v16, 32, v16
	s_delay_alu instid0(VALU_DEP_1) | instskip(SKIP_1) | instid1(VALU_DEP_2)
	v_subrev_nc_u32_e32 v17, 28, v16
	v_sub_nc_u32_e32 v16, 29, v16
	v_lshlrev_b32_e32 v14, v17, v14
	v_bfe_u32 v17, v10, 27, 4
	v_and_b32_e32 v10, 0x80000000, v10
	s_delay_alu instid0(VALU_DEP_3) | instskip(NEXT) | instid1(VALU_DEP_3)
	v_and_b32_e32 v14, 7, v14
	v_cmp_eq_u32_e32 vcc_lo, 0, v17
	v_cndmask_b32_e32 v16, v17, v16, vcc_lo
	s_delay_alu instid0(VALU_DEP_3) | instskip(NEXT) | instid1(VALU_DEP_2)
	v_cndmask_b32_e32 v14, v15, v14, vcc_lo
	v_lshl_add_u32 v15, v16, 23, 0x3b800000
	s_delay_alu instid0(VALU_DEP_2) | instskip(NEXT) | instid1(VALU_DEP_1)
	v_lshlrev_b32_e32 v14, 20, v14
	v_or3_b32 v15, v10, v15, v14
.LBB4_3224:                             ;   in Loop: Header=BB4_2983 Depth=2
	s_or_b32 exec_lo, exec_lo, s24
	s_delay_alu instid0(VALU_DEP_1) | instskip(SKIP_2) | instid1(VALU_DEP_2)
	v_mul_f32_e32 v10, s23, v15
	v_mov_b32_e32 v116, 0x80
	s_mov_b32 s24, exec_lo
	v_and_b32_e32 v14, 0x7f800000, v10
	s_delay_alu instid0(VALU_DEP_1)
	v_cmpx_ne_u32_e32 0x7f800000, v14
	s_cbranch_execz .LBB4_3232
; %bb.3225:                             ;   in Loop: Header=BB4_2983 Depth=2
	v_mov_b32_e32 v116, 0
	s_mov_b32 s25, exec_lo
	v_cmpx_ne_u32_e32 0, v10
	s_cbranch_execz .LBB4_3231
; %bb.3226:                             ;   in Loop: Header=BB4_2983 Depth=2
	v_bfe_u32 v14, v10, 23, 8
	s_delay_alu instid0(VALU_DEP_1) | instskip(SKIP_1) | instid1(VALU_DEP_2)
	v_sub_nc_u32_e32 v16, 0x78, v14
	v_cmp_gt_u32_e32 vcc_lo, 0x79, v14
	v_dual_cndmask_b32 v16, 0, v16 :: v_dual_and_b32 v15, 0x7fffff, v10
	s_delay_alu instid0(VALU_DEP_1) | instskip(SKIP_2) | instid1(VALU_DEP_4)
	v_or_b32_e32 v17, 0x800000, v15
	v_cmp_eq_u32_e32 vcc_lo, 0, v14
	v_add_nc_u32_e32 v14, 0xffffff89, v14
	v_cndmask_b32_e64 v16, v16, 0x77, vcc_lo
	s_delay_alu instid0(VALU_DEP_4) | instskip(NEXT) | instid1(VALU_DEP_3)
	v_cndmask_b32_e32 v15, v17, v15, vcc_lo
	v_cndmask_b32_e64 v14, v14, 0xffffff8a, vcc_lo
	s_delay_alu instid0(VALU_DEP_3) | instskip(NEXT) | instid1(VALU_DEP_3)
	v_lshl_add_u32 v17, 0x100000, v16, -1
	v_lshrrev_b32_e32 v96, v16, v15
	v_lshlrev_b32_e64 v98, v16, 0x80000
	s_delay_alu instid0(VALU_DEP_4) | instskip(NEXT) | instid1(VALU_DEP_4)
	v_add_nc_u32_e32 v16, v16, v14
	v_and_b32_e32 v15, v17, v15
	s_delay_alu instid0(VALU_DEP_4) | instskip(NEXT) | instid1(VALU_DEP_2)
	v_bfe_u32 v97, v96, 20, 1
	v_cmp_eq_u32_e64 s7, v15, v98
	s_delay_alu instid0(VALU_DEP_2) | instskip(NEXT) | instid1(VALU_DEP_1)
	v_add_nc_u32_e32 v17, -1, v97
	v_cndmask_b32_e64 v15, 0, v17, s7
	v_lshrrev_b32_e32 v17, 23, v96
	s_mov_b32 s7, exec_lo
	s_delay_alu instid0(VALU_DEP_2) | instskip(NEXT) | instid1(VALU_DEP_2)
	v_add_nc_u32_e32 v15, v15, v96
	v_xor_b32_e32 v17, 1, v17
	s_delay_alu instid0(VALU_DEP_2) | instskip(NEXT) | instid1(VALU_DEP_1)
	v_and_b32_e32 v14, 0xfffff, v15
	v_add_nc_u32_e32 v15, v14, v96
                                        ; implicit-def: $vgpr14
	s_delay_alu instid0(VALU_DEP_3)
	v_cmpx_ne_u32_e64 v16, v17
	s_xor_b32 s7, exec_lo, s7
; %bb.3227:                             ;   in Loop: Header=BB4_2983 Depth=2
	s_delay_alu instid0(VALU_DEP_2) | instskip(SKIP_2) | instid1(VALU_DEP_2)
	v_cmp_lt_u32_e32 vcc_lo, 0xffffff, v15
	v_sub_nc_u32_e32 v14, v16, v17
	v_cndmask_b32_e64 v16, 0, 1, vcc_lo
	v_add_co_ci_u32_e32 v14, vcc_lo, 0, v14, vcc_lo
	s_delay_alu instid0(VALU_DEP_2)
	v_lshrrev_b32_e32 v15, v16, v15
; %bb.3228:                             ;   in Loop: Header=BB4_2983 Depth=2
	s_and_not1_saveexec_b32 s7, s7
; %bb.3229:                             ;   in Loop: Header=BB4_2983 Depth=2
	s_delay_alu instid0(VALU_DEP_1)
	v_bfe_u32 v14, v15, 23, 1
; %bb.3230:                             ;   in Loop: Header=BB4_2983 Depth=2
	s_or_b32 exec_lo, exec_lo, s7
	v_lshrrev_b32_e32 v15, 20, v15
	s_delay_alu instid0(VALU_DEP_2) | instskip(SKIP_2) | instid1(VALU_DEP_2)
	v_cmp_gt_i32_e32 vcc_lo, 16, v14
	v_lshrrev_b32_e32 v10, 24, v10
	v_min_i32_e32 v16, 15, v14
	v_dual_cndmask_b32 v15, 7, v15 :: v_dual_and_b32 v10, 0x80, v10
	s_delay_alu instid0(VALU_DEP_2) | instskip(NEXT) | instid1(VALU_DEP_2)
	v_lshlrev_b32_e32 v16, 3, v16
	v_or_b32_e32 v14, v14, v15
	s_delay_alu instid0(VALU_DEP_1) | instskip(SKIP_1) | instid1(VALU_DEP_1)
	v_cmp_ne_u32_e32 vcc_lo, 0, v14
	v_and_b32_e32 v17, 7, v15
	v_or3_b32 v10, v16, v10, v17
	s_delay_alu instid0(VALU_DEP_1)
	v_cndmask_b32_e32 v116, 0, v10, vcc_lo
.LBB4_3231:                             ;   in Loop: Header=BB4_2983 Depth=2
	s_or_b32 exec_lo, exec_lo, s25
.LBB4_3232:                             ;   in Loop: Header=BB4_2983 Depth=2
	s_delay_alu instid0(SALU_CYCLE_1) | instskip(SKIP_3) | instid1(VALU_DEP_1)
	s_or_b32 exec_lo, exec_lo, s24
	v_and_b32_e32 v14, 0xff, v11
	s_mov_b32 s7, 0
	s_mov_b32 s25, exec_lo
                                        ; implicit-def: $sgpr24
	v_cmpx_lt_i16_e32 0x7f, v14
	s_xor_b32 s25, exec_lo, s25
	s_cbranch_execnz .LBB4_3966
; %bb.3233:                             ;   in Loop: Header=BB4_2983 Depth=2
	s_or_saveexec_b32 s25, s25
	v_mov_b32_e32 v10, s24
	s_xor_b32 exec_lo, exec_lo, s25
	s_cbranch_execnz .LBB4_3969
.LBB4_3234:                             ;   in Loop: Header=BB4_2983 Depth=2
	s_or_b32 exec_lo, exec_lo, s25
	s_and_saveexec_b32 s24, s7
	s_cbranch_execz .LBB4_3236
.LBB4_3235:                             ;   in Loop: Header=BB4_2983 Depth=2
	v_and_b32_e32 v10, 7, v11
	v_bfe_u32 v16, v11, 3, 4
	v_lshlrev_b32_e32 v17, 24, v11
	s_delay_alu instid0(VALU_DEP_3) | instskip(NEXT) | instid1(VALU_DEP_3)
	v_clz_i32_u32_e32 v14, v10
	v_cmp_eq_u32_e32 vcc_lo, 0, v16
	s_delay_alu instid0(VALU_DEP_2) | instskip(NEXT) | instid1(VALU_DEP_1)
	v_min_u32_e32 v14, 32, v14
	v_subrev_nc_u32_e32 v15, 28, v14
	v_sub_nc_u32_e32 v14, 29, v14
	s_delay_alu instid0(VALU_DEP_1) | instskip(NEXT) | instid1(VALU_DEP_1)
	v_dual_cndmask_b32 v14, v16, v14 :: v_dual_lshlrev_b32 v15, v15, v11
	v_and_b32_e32 v15, 7, v15
	s_delay_alu instid0(VALU_DEP_2) | instskip(NEXT) | instid1(VALU_DEP_2)
	v_lshl_add_u32 v14, v14, 23, 0x3b800000
	v_dual_cndmask_b32 v10, v10, v15 :: v_dual_and_b32 v15, 0x80000000, v17
	s_delay_alu instid0(VALU_DEP_1) | instskip(NEXT) | instid1(VALU_DEP_1)
	v_lshlrev_b32_e32 v10, 20, v10
	v_or3_b32 v10, v15, v14, v10
.LBB4_3236:                             ;   in Loop: Header=BB4_2983 Depth=2
	s_or_b32 exec_lo, exec_lo, s24
	s_delay_alu instid0(VALU_DEP_1) | instskip(SKIP_1) | instid1(VALU_DEP_1)
	v_dual_mul_f32 v10, s23, v10 :: v_dual_mov_b32 v115, 0x80
	s_mov_b32 s24, exec_lo
	v_and_b32_e32 v14, 0x7f800000, v10
	s_delay_alu instid0(VALU_DEP_1)
	v_cmpx_ne_u32_e32 0x7f800000, v14
	s_cbranch_execz .LBB4_3244
; %bb.3237:                             ;   in Loop: Header=BB4_2983 Depth=2
	v_mov_b32_e32 v115, 0
	s_mov_b32 s25, exec_lo
	v_cmpx_ne_u32_e32 0, v10
	s_cbranch_execz .LBB4_3243
; %bb.3238:                             ;   in Loop: Header=BB4_2983 Depth=2
	v_bfe_u32 v14, v10, 23, 8
	s_delay_alu instid0(VALU_DEP_1) | instskip(SKIP_1) | instid1(VALU_DEP_2)
	v_sub_nc_u32_e32 v16, 0x78, v14
	v_cmp_gt_u32_e32 vcc_lo, 0x79, v14
	v_dual_cndmask_b32 v16, 0, v16 :: v_dual_and_b32 v15, 0x7fffff, v10
	s_delay_alu instid0(VALU_DEP_1) | instskip(SKIP_2) | instid1(VALU_DEP_4)
	v_or_b32_e32 v17, 0x800000, v15
	v_cmp_eq_u32_e32 vcc_lo, 0, v14
	v_add_nc_u32_e32 v14, 0xffffff89, v14
	v_cndmask_b32_e64 v16, v16, 0x77, vcc_lo
	s_delay_alu instid0(VALU_DEP_4) | instskip(NEXT) | instid1(VALU_DEP_3)
	v_cndmask_b32_e32 v15, v17, v15, vcc_lo
	v_cndmask_b32_e64 v14, v14, 0xffffff8a, vcc_lo
	s_delay_alu instid0(VALU_DEP_3) | instskip(NEXT) | instid1(VALU_DEP_3)
	v_lshl_add_u32 v17, 0x100000, v16, -1
	v_lshrrev_b32_e32 v96, v16, v15
	v_lshlrev_b32_e64 v98, v16, 0x80000
	s_delay_alu instid0(VALU_DEP_4) | instskip(NEXT) | instid1(VALU_DEP_4)
	v_add_nc_u32_e32 v16, v16, v14
	v_and_b32_e32 v15, v17, v15
	s_delay_alu instid0(VALU_DEP_4) | instskip(NEXT) | instid1(VALU_DEP_2)
	v_bfe_u32 v97, v96, 20, 1
	v_cmp_eq_u32_e64 s7, v15, v98
	s_delay_alu instid0(VALU_DEP_2) | instskip(NEXT) | instid1(VALU_DEP_1)
	v_add_nc_u32_e32 v17, -1, v97
	v_cndmask_b32_e64 v15, 0, v17, s7
	v_lshrrev_b32_e32 v17, 23, v96
	s_mov_b32 s7, exec_lo
	s_delay_alu instid0(VALU_DEP_2) | instskip(NEXT) | instid1(VALU_DEP_2)
	v_add_nc_u32_e32 v15, v15, v96
	v_xor_b32_e32 v17, 1, v17
	s_delay_alu instid0(VALU_DEP_2) | instskip(NEXT) | instid1(VALU_DEP_1)
	v_and_b32_e32 v14, 0xfffff, v15
	v_add_nc_u32_e32 v15, v14, v96
                                        ; implicit-def: $vgpr14
	s_delay_alu instid0(VALU_DEP_3)
	v_cmpx_ne_u32_e64 v16, v17
	s_xor_b32 s7, exec_lo, s7
; %bb.3239:                             ;   in Loop: Header=BB4_2983 Depth=2
	s_delay_alu instid0(VALU_DEP_2) | instskip(SKIP_2) | instid1(VALU_DEP_2)
	v_cmp_lt_u32_e32 vcc_lo, 0xffffff, v15
	v_sub_nc_u32_e32 v14, v16, v17
	v_cndmask_b32_e64 v16, 0, 1, vcc_lo
	v_add_co_ci_u32_e32 v14, vcc_lo, 0, v14, vcc_lo
	s_delay_alu instid0(VALU_DEP_2)
	v_lshrrev_b32_e32 v15, v16, v15
; %bb.3240:                             ;   in Loop: Header=BB4_2983 Depth=2
	s_and_not1_saveexec_b32 s7, s7
; %bb.3241:                             ;   in Loop: Header=BB4_2983 Depth=2
	s_delay_alu instid0(VALU_DEP_1)
	v_bfe_u32 v14, v15, 23, 1
; %bb.3242:                             ;   in Loop: Header=BB4_2983 Depth=2
	s_or_b32 exec_lo, exec_lo, s7
	v_lshrrev_b32_e32 v15, 20, v15
	s_delay_alu instid0(VALU_DEP_2) | instskip(SKIP_2) | instid1(VALU_DEP_2)
	v_cmp_gt_i32_e32 vcc_lo, 16, v14
	v_min_i32_e32 v16, 15, v14
	v_lshrrev_b32_e32 v10, 24, v10
	v_dual_cndmask_b32 v15, 7, v15 :: v_dual_lshlrev_b32 v16, 3, v16
	s_delay_alu instid0(VALU_DEP_2) | instskip(NEXT) | instid1(VALU_DEP_2)
	v_and_b32_e32 v10, 0x80, v10
	v_or_b32_e32 v14, v14, v15
	v_and_b32_e32 v17, 7, v15
	s_delay_alu instid0(VALU_DEP_2) | instskip(SKIP_1) | instid1(VALU_DEP_1)
	v_cmp_ne_u32_e32 vcc_lo, 0, v14
	v_and_b32_e32 v16, 0xf8, v16
	v_or3_b32 v10, v16, v10, v17
	s_delay_alu instid0(VALU_DEP_1)
	v_cndmask_b32_e32 v115, 0, v10, vcc_lo
.LBB4_3243:                             ;   in Loop: Header=BB4_2983 Depth=2
	s_or_b32 exec_lo, exec_lo, s25
.LBB4_3244:                             ;   in Loop: Header=BB4_2983 Depth=2
	s_delay_alu instid0(SALU_CYCLE_1) | instskip(SKIP_3) | instid1(VALU_DEP_1)
	s_or_b32 exec_lo, exec_lo, s24
	v_lshrrev_b16 v10, 8, v11
	s_mov_b32 s7, 0
	s_mov_b32 s25, exec_lo
                                        ; implicit-def: $sgpr24
	v_cmpx_lt_i16_e32 0x7f, v10
	s_xor_b32 s25, exec_lo, s25
	s_cbranch_execnz .LBB4_3970
; %bb.3245:                             ;   in Loop: Header=BB4_2983 Depth=2
	s_or_saveexec_b32 s25, s25
	v_mov_b32_e32 v14, s24
	s_xor_b32 exec_lo, exec_lo, s25
	s_cbranch_execnz .LBB4_3973
.LBB4_3246:                             ;   in Loop: Header=BB4_2983 Depth=2
	s_or_b32 exec_lo, exec_lo, s25
	s_and_saveexec_b32 s24, s7
	s_cbranch_execz .LBB4_3248
.LBB4_3247:                             ;   in Loop: Header=BB4_2983 Depth=2
	v_and_b32_e32 v14, 0xffff, v10
	v_lshlrev_b32_e32 v10, 24, v10
	s_delay_alu instid0(VALU_DEP_2) | instskip(NEXT) | instid1(VALU_DEP_2)
	v_and_b32_e32 v15, 7, v14
	v_and_b32_e32 v10, 0x80000000, v10
	s_delay_alu instid0(VALU_DEP_2) | instskip(NEXT) | instid1(VALU_DEP_1)
	v_clz_i32_u32_e32 v16, v15
	v_min_u32_e32 v16, 32, v16
	s_delay_alu instid0(VALU_DEP_1) | instskip(SKIP_1) | instid1(VALU_DEP_2)
	v_subrev_nc_u32_e32 v17, 28, v16
	v_sub_nc_u32_e32 v16, 29, v16
	v_lshlrev_b32_e32 v17, v17, v14
	v_bfe_u32 v14, v14, 3, 4
	s_delay_alu instid0(VALU_DEP_2) | instskip(NEXT) | instid1(VALU_DEP_2)
	v_and_b32_e32 v17, 7, v17
	v_cmp_eq_u32_e32 vcc_lo, 0, v14
	s_delay_alu instid0(VALU_DEP_2) | instskip(NEXT) | instid1(VALU_DEP_1)
	v_dual_cndmask_b32 v14, v14, v16 :: v_dual_cndmask_b32 v15, v15, v17
	v_lshl_add_u32 v14, v14, 23, 0x3b800000
	s_delay_alu instid0(VALU_DEP_2) | instskip(NEXT) | instid1(VALU_DEP_1)
	v_lshlrev_b32_e32 v15, 20, v15
	v_or3_b32 v14, v10, v14, v15
.LBB4_3248:                             ;   in Loop: Header=BB4_2983 Depth=2
	s_or_b32 exec_lo, exec_lo, s24
	s_delay_alu instid0(VALU_DEP_1) | instskip(SKIP_1) | instid1(VALU_DEP_1)
	v_dual_mul_f32 v10, s23, v14 :: v_dual_mov_b32 v129, 0x8000
	s_mov_b32 s24, exec_lo
	v_and_b32_e32 v14, 0x7f800000, v10
	s_delay_alu instid0(VALU_DEP_1)
	v_cmpx_ne_u32_e32 0x7f800000, v14
	s_cbranch_execz .LBB4_3256
; %bb.3249:                             ;   in Loop: Header=BB4_2983 Depth=2
	v_mov_b32_e32 v129, 0
	s_mov_b32 s25, exec_lo
	v_cmpx_ne_u32_e32 0, v10
	s_cbranch_execz .LBB4_3255
; %bb.3250:                             ;   in Loop: Header=BB4_2983 Depth=2
	v_bfe_u32 v14, v10, 23, 8
	s_delay_alu instid0(VALU_DEP_1) | instskip(SKIP_1) | instid1(VALU_DEP_2)
	v_sub_nc_u32_e32 v16, 0x78, v14
	v_cmp_gt_u32_e32 vcc_lo, 0x79, v14
	v_dual_cndmask_b32 v16, 0, v16 :: v_dual_and_b32 v15, 0x7fffff, v10
	s_delay_alu instid0(VALU_DEP_1) | instskip(SKIP_2) | instid1(VALU_DEP_4)
	v_or_b32_e32 v17, 0x800000, v15
	v_cmp_eq_u32_e32 vcc_lo, 0, v14
	v_add_nc_u32_e32 v14, 0xffffff89, v14
	v_cndmask_b32_e64 v16, v16, 0x77, vcc_lo
	s_delay_alu instid0(VALU_DEP_4) | instskip(NEXT) | instid1(VALU_DEP_3)
	v_cndmask_b32_e32 v15, v17, v15, vcc_lo
	v_cndmask_b32_e64 v14, v14, 0xffffff8a, vcc_lo
	s_delay_alu instid0(VALU_DEP_3) | instskip(NEXT) | instid1(VALU_DEP_3)
	v_lshl_add_u32 v17, 0x100000, v16, -1
	v_lshrrev_b32_e32 v96, v16, v15
	v_lshlrev_b32_e64 v98, v16, 0x80000
	s_delay_alu instid0(VALU_DEP_4) | instskip(NEXT) | instid1(VALU_DEP_4)
	v_add_nc_u32_e32 v16, v16, v14
	v_and_b32_e32 v15, v17, v15
	s_delay_alu instid0(VALU_DEP_4) | instskip(NEXT) | instid1(VALU_DEP_2)
	v_bfe_u32 v97, v96, 20, 1
	v_cmp_eq_u32_e64 s7, v15, v98
	s_delay_alu instid0(VALU_DEP_2) | instskip(NEXT) | instid1(VALU_DEP_1)
	v_add_nc_u32_e32 v17, -1, v97
	v_cndmask_b32_e64 v15, 0, v17, s7
	v_lshrrev_b32_e32 v17, 23, v96
	s_mov_b32 s7, exec_lo
	s_delay_alu instid0(VALU_DEP_2) | instskip(NEXT) | instid1(VALU_DEP_2)
	v_add_nc_u32_e32 v15, v15, v96
	v_xor_b32_e32 v17, 1, v17
	s_delay_alu instid0(VALU_DEP_2) | instskip(NEXT) | instid1(VALU_DEP_1)
	v_and_b32_e32 v14, 0xfffff, v15
	v_add_nc_u32_e32 v15, v14, v96
                                        ; implicit-def: $vgpr14
	s_delay_alu instid0(VALU_DEP_3)
	v_cmpx_ne_u32_e64 v16, v17
	s_xor_b32 s7, exec_lo, s7
; %bb.3251:                             ;   in Loop: Header=BB4_2983 Depth=2
	s_delay_alu instid0(VALU_DEP_2) | instskip(SKIP_2) | instid1(VALU_DEP_2)
	v_cmp_lt_u32_e32 vcc_lo, 0xffffff, v15
	v_sub_nc_u32_e32 v14, v16, v17
	v_cndmask_b32_e64 v16, 0, 1, vcc_lo
	v_add_co_ci_u32_e32 v14, vcc_lo, 0, v14, vcc_lo
	s_delay_alu instid0(VALU_DEP_2)
	v_lshrrev_b32_e32 v15, v16, v15
; %bb.3252:                             ;   in Loop: Header=BB4_2983 Depth=2
	s_and_not1_saveexec_b32 s7, s7
; %bb.3253:                             ;   in Loop: Header=BB4_2983 Depth=2
	s_delay_alu instid0(VALU_DEP_1)
	v_bfe_u32 v14, v15, 23, 1
; %bb.3254:                             ;   in Loop: Header=BB4_2983 Depth=2
	s_or_b32 exec_lo, exec_lo, s7
	v_lshrrev_b32_e32 v15, 20, v15
	s_delay_alu instid0(VALU_DEP_2) | instskip(SKIP_2) | instid1(VALU_DEP_2)
	v_cmp_gt_i32_e32 vcc_lo, 16, v14
	v_min_i32_e32 v16, 15, v14
	v_lshrrev_b32_e32 v10, 24, v10
	v_dual_cndmask_b32 v15, 7, v15 :: v_dual_lshlrev_b32 v16, 3, v16
	s_delay_alu instid0(VALU_DEP_2) | instskip(NEXT) | instid1(VALU_DEP_2)
	v_and_b32_e32 v10, 0x80, v10
	v_or_b32_e32 v14, v14, v15
	v_and_b32_e32 v17, 7, v15
	s_delay_alu instid0(VALU_DEP_2) | instskip(SKIP_1) | instid1(VALU_DEP_1)
	v_cmp_ne_u32_e32 vcc_lo, 0, v14
	v_and_b32_e32 v16, 0xf8, v16
	v_or3_b32 v10, v10, v16, v17
	s_delay_alu instid0(VALU_DEP_1) | instskip(NEXT) | instid1(VALU_DEP_1)
	v_lshlrev_b32_e32 v10, 8, v10
	v_cndmask_b32_e32 v129, 0, v10, vcc_lo
.LBB4_3255:                             ;   in Loop: Header=BB4_2983 Depth=2
	s_or_b32 exec_lo, exec_lo, s25
.LBB4_3256:                             ;   in Loop: Header=BB4_2983 Depth=2
	s_delay_alu instid0(SALU_CYCLE_1) | instskip(SKIP_3) | instid1(VALU_DEP_1)
	s_or_b32 exec_lo, exec_lo, s24
	v_lshrrev_b32_e32 v10, 16, v11
	s_mov_b32 s7, 0
	s_mov_b32 s25, exec_lo
                                        ; implicit-def: $sgpr24
	v_and_b32_e32 v15, 0xff, v10
	s_delay_alu instid0(VALU_DEP_1)
	v_cmpx_lt_i16_e32 0x7f, v15
	s_xor_b32 s25, exec_lo, s25
	s_cbranch_execnz .LBB4_3974
; %bb.3257:                             ;   in Loop: Header=BB4_2983 Depth=2
	s_or_saveexec_b32 s25, s25
	v_mov_b32_e32 v14, s24
	s_xor_b32 exec_lo, exec_lo, s25
	s_cbranch_execnz .LBB4_3977
.LBB4_3258:                             ;   in Loop: Header=BB4_2983 Depth=2
	s_or_b32 exec_lo, exec_lo, s25
	s_and_saveexec_b32 s24, s7
	s_cbranch_execz .LBB4_3260
.LBB4_3259:                             ;   in Loop: Header=BB4_2983 Depth=2
	v_bfe_u32 v14, v11, 16, 3
	s_delay_alu instid0(VALU_DEP_1) | instskip(NEXT) | instid1(VALU_DEP_1)
	v_clz_i32_u32_e32 v15, v14
	v_min_u32_e32 v15, 32, v15
	s_delay_alu instid0(VALU_DEP_1) | instskip(SKIP_1) | instid1(VALU_DEP_2)
	v_subrev_nc_u32_e32 v16, 28, v15
	v_sub_nc_u32_e32 v15, 29, v15
	v_lshlrev_b32_e32 v10, v16, v10
	v_bfe_u32 v16, v11, 19, 4
	s_delay_alu instid0(VALU_DEP_1) | instskip(NEXT) | instid1(VALU_DEP_3)
	v_cmp_eq_u32_e32 vcc_lo, 0, v16
	v_dual_cndmask_b32 v15, v16, v15 :: v_dual_and_b32 v10, 7, v10
	s_delay_alu instid0(VALU_DEP_1) | instskip(NEXT) | instid1(VALU_DEP_2)
	v_dual_cndmask_b32 v10, v14, v10 :: v_dual_lshlrev_b32 v17, 8, v11
	v_lshl_add_u32 v15, v15, 23, 0x3b800000
	s_delay_alu instid0(VALU_DEP_2) | instskip(NEXT) | instid1(VALU_DEP_3)
	v_and_b32_e32 v14, 0x80000000, v17
	v_lshlrev_b32_e32 v10, 20, v10
	s_delay_alu instid0(VALU_DEP_1)
	v_or3_b32 v14, v14, v15, v10
.LBB4_3260:                             ;   in Loop: Header=BB4_2983 Depth=2
	s_or_b32 exec_lo, exec_lo, s24
	s_delay_alu instid0(VALU_DEP_1) | instskip(SKIP_2) | instid1(VALU_DEP_2)
	v_mul_f32_e32 v10, s23, v14
	v_mov_b32_e32 v114, 0x80
	s_mov_b32 s24, exec_lo
	v_and_b32_e32 v14, 0x7f800000, v10
	s_delay_alu instid0(VALU_DEP_1)
	v_cmpx_ne_u32_e32 0x7f800000, v14
	s_cbranch_execz .LBB4_3268
; %bb.3261:                             ;   in Loop: Header=BB4_2983 Depth=2
	v_mov_b32_e32 v114, 0
	s_mov_b32 s25, exec_lo
	v_cmpx_ne_u32_e32 0, v10
	s_cbranch_execz .LBB4_3267
; %bb.3262:                             ;   in Loop: Header=BB4_2983 Depth=2
	v_bfe_u32 v14, v10, 23, 8
	s_delay_alu instid0(VALU_DEP_1) | instskip(SKIP_1) | instid1(VALU_DEP_2)
	v_sub_nc_u32_e32 v16, 0x78, v14
	v_cmp_gt_u32_e32 vcc_lo, 0x79, v14
	v_dual_cndmask_b32 v16, 0, v16 :: v_dual_and_b32 v15, 0x7fffff, v10
	s_delay_alu instid0(VALU_DEP_1) | instskip(SKIP_2) | instid1(VALU_DEP_4)
	v_or_b32_e32 v17, 0x800000, v15
	v_cmp_eq_u32_e32 vcc_lo, 0, v14
	v_add_nc_u32_e32 v14, 0xffffff89, v14
	v_cndmask_b32_e64 v16, v16, 0x77, vcc_lo
	s_delay_alu instid0(VALU_DEP_4) | instskip(NEXT) | instid1(VALU_DEP_3)
	v_cndmask_b32_e32 v15, v17, v15, vcc_lo
	v_cndmask_b32_e64 v14, v14, 0xffffff8a, vcc_lo
	s_delay_alu instid0(VALU_DEP_3) | instskip(NEXT) | instid1(VALU_DEP_3)
	v_lshl_add_u32 v17, 0x100000, v16, -1
	v_lshrrev_b32_e32 v96, v16, v15
	v_lshlrev_b32_e64 v98, v16, 0x80000
	s_delay_alu instid0(VALU_DEP_4) | instskip(NEXT) | instid1(VALU_DEP_4)
	v_add_nc_u32_e32 v16, v16, v14
	v_and_b32_e32 v15, v17, v15
	s_delay_alu instid0(VALU_DEP_4) | instskip(NEXT) | instid1(VALU_DEP_2)
	v_bfe_u32 v97, v96, 20, 1
	v_cmp_eq_u32_e64 s7, v15, v98
	s_delay_alu instid0(VALU_DEP_2) | instskip(NEXT) | instid1(VALU_DEP_1)
	v_add_nc_u32_e32 v17, -1, v97
	v_cndmask_b32_e64 v15, 0, v17, s7
	v_lshrrev_b32_e32 v17, 23, v96
	s_mov_b32 s7, exec_lo
	s_delay_alu instid0(VALU_DEP_2) | instskip(NEXT) | instid1(VALU_DEP_2)
	v_add_nc_u32_e32 v15, v15, v96
	v_xor_b32_e32 v17, 1, v17
	s_delay_alu instid0(VALU_DEP_2) | instskip(NEXT) | instid1(VALU_DEP_1)
	v_and_b32_e32 v14, 0xfffff, v15
	v_add_nc_u32_e32 v15, v14, v96
                                        ; implicit-def: $vgpr14
	s_delay_alu instid0(VALU_DEP_3)
	v_cmpx_ne_u32_e64 v16, v17
	s_xor_b32 s7, exec_lo, s7
; %bb.3263:                             ;   in Loop: Header=BB4_2983 Depth=2
	s_delay_alu instid0(VALU_DEP_2) | instskip(SKIP_2) | instid1(VALU_DEP_2)
	v_cmp_lt_u32_e32 vcc_lo, 0xffffff, v15
	v_sub_nc_u32_e32 v14, v16, v17
	v_cndmask_b32_e64 v16, 0, 1, vcc_lo
	v_add_co_ci_u32_e32 v14, vcc_lo, 0, v14, vcc_lo
	s_delay_alu instid0(VALU_DEP_2)
	v_lshrrev_b32_e32 v15, v16, v15
; %bb.3264:                             ;   in Loop: Header=BB4_2983 Depth=2
	s_and_not1_saveexec_b32 s7, s7
; %bb.3265:                             ;   in Loop: Header=BB4_2983 Depth=2
	s_delay_alu instid0(VALU_DEP_1)
	v_bfe_u32 v14, v15, 23, 1
; %bb.3266:                             ;   in Loop: Header=BB4_2983 Depth=2
	s_or_b32 exec_lo, exec_lo, s7
	v_lshrrev_b32_e32 v15, 20, v15
	s_delay_alu instid0(VALU_DEP_2) | instskip(SKIP_2) | instid1(VALU_DEP_2)
	v_cmp_gt_i32_e32 vcc_lo, 16, v14
	v_min_i32_e32 v16, 15, v14
	v_lshrrev_b32_e32 v10, 24, v10
	v_dual_cndmask_b32 v15, 7, v15 :: v_dual_lshlrev_b32 v16, 3, v16
	s_delay_alu instid0(VALU_DEP_2) | instskip(NEXT) | instid1(VALU_DEP_2)
	v_and_b32_e32 v10, 0x80, v10
	v_or_b32_e32 v14, v14, v15
	s_delay_alu instid0(VALU_DEP_3) | instskip(NEXT) | instid1(VALU_DEP_2)
	v_and_b32_e32 v16, 0xf8, v16
	v_cmp_ne_u32_e32 vcc_lo, 0, v14
	v_and_b32_e32 v17, 7, v15
	s_delay_alu instid0(VALU_DEP_1) | instskip(NEXT) | instid1(VALU_DEP_1)
	v_or3_b32 v10, v16, v10, v17
	v_cndmask_b32_e32 v114, 0, v10, vcc_lo
.LBB4_3267:                             ;   in Loop: Header=BB4_2983 Depth=2
	s_or_b32 exec_lo, exec_lo, s25
.LBB4_3268:                             ;   in Loop: Header=BB4_2983 Depth=2
	s_delay_alu instid0(SALU_CYCLE_1) | instskip(SKIP_3) | instid1(VALU_DEP_1)
	s_or_b32 exec_lo, exec_lo, s24
	v_lshrrev_b32_e32 v10, 24, v11
	s_mov_b32 s7, 0
	s_mov_b32 s25, exec_lo
                                        ; implicit-def: $sgpr24
	v_cmpx_lt_i16_e32 0x7f, v10
	s_xor_b32 s25, exec_lo, s25
	s_cbranch_execnz .LBB4_3978
; %bb.3269:                             ;   in Loop: Header=BB4_2983 Depth=2
	s_or_saveexec_b32 s25, s25
	v_mov_b32_e32 v14, s24
	s_xor_b32 exec_lo, exec_lo, s25
	s_cbranch_execnz .LBB4_3981
.LBB4_3270:                             ;   in Loop: Header=BB4_2983 Depth=2
	s_or_b32 exec_lo, exec_lo, s25
	s_and_saveexec_b32 s24, s7
	s_cbranch_execz .LBB4_3272
.LBB4_3271:                             ;   in Loop: Header=BB4_2983 Depth=2
	v_bfe_u32 v14, v11, 24, 3
	s_delay_alu instid0(VALU_DEP_1) | instskip(NEXT) | instid1(VALU_DEP_1)
	v_clz_i32_u32_e32 v15, v14
	v_min_u32_e32 v15, 32, v15
	s_delay_alu instid0(VALU_DEP_1) | instskip(SKIP_1) | instid1(VALU_DEP_2)
	v_subrev_nc_u32_e32 v16, 28, v15
	v_sub_nc_u32_e32 v15, 29, v15
	v_lshlrev_b32_e32 v10, v16, v10
	v_bfe_u32 v16, v11, 27, 4
	v_and_b32_e32 v11, 0x80000000, v11
	s_delay_alu instid0(VALU_DEP_2) | instskip(NEXT) | instid1(VALU_DEP_4)
	v_cmp_eq_u32_e32 vcc_lo, 0, v16
	v_dual_cndmask_b32 v15, v16, v15 :: v_dual_and_b32 v10, 7, v10
	s_delay_alu instid0(VALU_DEP_1) | instskip(NEXT) | instid1(VALU_DEP_2)
	v_cndmask_b32_e32 v10, v14, v10, vcc_lo
	v_lshl_add_u32 v14, v15, 23, 0x3b800000
	s_delay_alu instid0(VALU_DEP_2) | instskip(NEXT) | instid1(VALU_DEP_1)
	v_lshlrev_b32_e32 v10, 20, v10
	v_or3_b32 v14, v11, v14, v10
.LBB4_3272:                             ;   in Loop: Header=BB4_2983 Depth=2
	s_or_b32 exec_lo, exec_lo, s24
	s_delay_alu instid0(VALU_DEP_1) | instskip(SKIP_1) | instid1(VALU_DEP_1)
	v_dual_mul_f32 v10, s23, v14 :: v_dual_mov_b32 v117, 0x8000
	s_mov_b32 s24, exec_lo
	v_and_b32_e32 v11, 0x7f800000, v10
	s_delay_alu instid0(VALU_DEP_1)
	v_cmpx_ne_u32_e32 0x7f800000, v11
	s_cbranch_execz .LBB4_3280
; %bb.3273:                             ;   in Loop: Header=BB4_2983 Depth=2
	v_mov_b32_e32 v117, 0
	s_mov_b32 s25, exec_lo
	v_cmpx_ne_u32_e32 0, v10
	s_cbranch_execz .LBB4_3279
; %bb.3274:                             ;   in Loop: Header=BB4_2983 Depth=2
	v_bfe_u32 v11, v10, 23, 8
	s_delay_alu instid0(VALU_DEP_1) | instskip(SKIP_1) | instid1(VALU_DEP_2)
	v_sub_nc_u32_e32 v15, 0x78, v11
	v_cmp_gt_u32_e32 vcc_lo, 0x79, v11
	v_dual_cndmask_b32 v15, 0, v15 :: v_dual_and_b32 v14, 0x7fffff, v10
	s_delay_alu instid0(VALU_DEP_1) | instskip(SKIP_2) | instid1(VALU_DEP_4)
	v_or_b32_e32 v16, 0x800000, v14
	v_cmp_eq_u32_e32 vcc_lo, 0, v11
	v_add_nc_u32_e32 v11, 0xffffff89, v11
	v_cndmask_b32_e64 v15, v15, 0x77, vcc_lo
	s_delay_alu instid0(VALU_DEP_4) | instskip(NEXT) | instid1(VALU_DEP_3)
	v_cndmask_b32_e32 v14, v16, v14, vcc_lo
	v_cndmask_b32_e64 v11, v11, 0xffffff8a, vcc_lo
	s_delay_alu instid0(VALU_DEP_3) | instskip(NEXT) | instid1(VALU_DEP_3)
	v_lshl_add_u32 v16, 0x100000, v15, -1
	v_lshrrev_b32_e32 v17, v15, v14
	v_lshlrev_b32_e64 v97, v15, 0x80000
	s_delay_alu instid0(VALU_DEP_4) | instskip(NEXT) | instid1(VALU_DEP_4)
	v_add_nc_u32_e32 v15, v15, v11
	v_and_b32_e32 v14, v16, v14
	s_delay_alu instid0(VALU_DEP_4) | instskip(NEXT) | instid1(VALU_DEP_2)
	v_bfe_u32 v96, v17, 20, 1
	v_cmp_eq_u32_e64 s7, v14, v97
	s_delay_alu instid0(VALU_DEP_2) | instskip(NEXT) | instid1(VALU_DEP_1)
	v_add_nc_u32_e32 v16, -1, v96
	v_cndmask_b32_e64 v14, 0, v16, s7
	v_lshrrev_b32_e32 v16, 23, v17
	s_mov_b32 s7, exec_lo
	s_delay_alu instid0(VALU_DEP_2) | instskip(NEXT) | instid1(VALU_DEP_2)
	v_add_nc_u32_e32 v14, v14, v17
	v_xor_b32_e32 v16, 1, v16
	s_delay_alu instid0(VALU_DEP_2) | instskip(NEXT) | instid1(VALU_DEP_1)
	v_and_b32_e32 v11, 0xfffff, v14
	v_add_nc_u32_e32 v14, v11, v17
                                        ; implicit-def: $vgpr11
	s_delay_alu instid0(VALU_DEP_3)
	v_cmpx_ne_u32_e64 v15, v16
	s_xor_b32 s7, exec_lo, s7
; %bb.3275:                             ;   in Loop: Header=BB4_2983 Depth=2
	s_delay_alu instid0(VALU_DEP_2) | instskip(SKIP_2) | instid1(VALU_DEP_2)
	v_cmp_lt_u32_e32 vcc_lo, 0xffffff, v14
	v_sub_nc_u32_e32 v11, v15, v16
	v_cndmask_b32_e64 v15, 0, 1, vcc_lo
	v_add_co_ci_u32_e32 v11, vcc_lo, 0, v11, vcc_lo
	s_delay_alu instid0(VALU_DEP_2)
	v_lshrrev_b32_e32 v14, v15, v14
; %bb.3276:                             ;   in Loop: Header=BB4_2983 Depth=2
	s_and_not1_saveexec_b32 s7, s7
; %bb.3277:                             ;   in Loop: Header=BB4_2983 Depth=2
	s_delay_alu instid0(VALU_DEP_1)
	v_bfe_u32 v11, v14, 23, 1
; %bb.3278:                             ;   in Loop: Header=BB4_2983 Depth=2
	s_or_b32 exec_lo, exec_lo, s7
	v_lshrrev_b32_e32 v14, 20, v14
	s_delay_alu instid0(VALU_DEP_2) | instskip(SKIP_2) | instid1(VALU_DEP_3)
	v_min_i32_e32 v15, 15, v11
	v_cmp_gt_i32_e32 vcc_lo, 16, v11
	v_lshrrev_b32_e32 v10, 24, v10
	v_dual_cndmask_b32 v14, 7, v14 :: v_dual_lshlrev_b32 v15, 3, v15
	s_delay_alu instid0(VALU_DEP_2) | instskip(NEXT) | instid1(VALU_DEP_2)
	v_and_b32_e32 v10, 0x80, v10
	v_and_b32_e32 v15, 0xf8, v15
	s_delay_alu instid0(VALU_DEP_3) | instskip(SKIP_1) | instid1(VALU_DEP_2)
	v_and_b32_e32 v16, 7, v14
	v_or_b32_e32 v11, v11, v14
	v_or3_b32 v10, v10, v15, v16
	s_delay_alu instid0(VALU_DEP_2) | instskip(NEXT) | instid1(VALU_DEP_2)
	v_cmp_ne_u32_e32 vcc_lo, 0, v11
	v_lshlrev_b32_e32 v10, 8, v10
	s_delay_alu instid0(VALU_DEP_1)
	v_cndmask_b32_e32 v117, 0, v10, vcc_lo
.LBB4_3279:                             ;   in Loop: Header=BB4_2983 Depth=2
	s_or_b32 exec_lo, exec_lo, s25
.LBB4_3280:                             ;   in Loop: Header=BB4_2983 Depth=2
	s_delay_alu instid0(SALU_CYCLE_1) | instskip(SKIP_3) | instid1(VALU_DEP_1)
	s_or_b32 exec_lo, exec_lo, s24
	v_and_b32_e32 v11, 0xff, v12
	s_mov_b32 s7, 0
	s_mov_b32 s25, exec_lo
                                        ; implicit-def: $sgpr24
	v_cmpx_lt_i16_e32 0x7f, v11
	s_xor_b32 s25, exec_lo, s25
	s_cbranch_execnz .LBB4_3982
; %bb.3281:                             ;   in Loop: Header=BB4_2983 Depth=2
	s_or_saveexec_b32 s25, s25
	v_mov_b32_e32 v10, s24
	s_xor_b32 exec_lo, exec_lo, s25
	s_cbranch_execnz .LBB4_3985
.LBB4_3282:                             ;   in Loop: Header=BB4_2983 Depth=2
	s_or_b32 exec_lo, exec_lo, s25
	s_and_saveexec_b32 s24, s7
	s_cbranch_execz .LBB4_3284
.LBB4_3283:                             ;   in Loop: Header=BB4_2983 Depth=2
	v_bfe_u32 v15, v12, 3, 4
	v_lshlrev_b32_e32 v16, 24, v12
	s_delay_alu instid0(VALU_DEP_2) | instskip(SKIP_1) | instid1(VALU_DEP_1)
	v_cmp_eq_u32_e32 vcc_lo, 0, v15
	v_and_b32_e32 v10, 7, v12
	v_clz_i32_u32_e32 v11, v10
	s_delay_alu instid0(VALU_DEP_1) | instskip(NEXT) | instid1(VALU_DEP_1)
	v_min_u32_e32 v11, 32, v11
	v_subrev_nc_u32_e32 v14, 28, v11
	v_sub_nc_u32_e32 v11, 29, v11
	s_delay_alu instid0(VALU_DEP_1) | instskip(NEXT) | instid1(VALU_DEP_1)
	v_dual_cndmask_b32 v11, v15, v11 :: v_dual_lshlrev_b32 v14, v14, v12
	v_and_b32_e32 v14, 7, v14
	s_delay_alu instid0(VALU_DEP_2) | instskip(NEXT) | instid1(VALU_DEP_2)
	v_lshl_add_u32 v11, v11, 23, 0x3b800000
	v_cndmask_b32_e32 v10, v10, v14, vcc_lo
	v_and_b32_e32 v14, 0x80000000, v16
	s_delay_alu instid0(VALU_DEP_2) | instskip(NEXT) | instid1(VALU_DEP_1)
	v_lshlrev_b32_e32 v10, 20, v10
	v_or3_b32 v10, v14, v11, v10
.LBB4_3284:                             ;   in Loop: Header=BB4_2983 Depth=2
	s_or_b32 exec_lo, exec_lo, s24
	s_delay_alu instid0(VALU_DEP_1) | instskip(SKIP_2) | instid1(VALU_DEP_2)
	v_mul_f32_e32 v10, s23, v10
	v_mov_b32_e32 v112, 0x80
	s_mov_b32 s24, exec_lo
	v_and_b32_e32 v11, 0x7f800000, v10
	s_delay_alu instid0(VALU_DEP_1)
	v_cmpx_ne_u32_e32 0x7f800000, v11
	s_cbranch_execz .LBB4_3292
; %bb.3285:                             ;   in Loop: Header=BB4_2983 Depth=2
	v_mov_b32_e32 v112, 0
	s_mov_b32 s25, exec_lo
	v_cmpx_ne_u32_e32 0, v10
	s_cbranch_execz .LBB4_3291
; %bb.3286:                             ;   in Loop: Header=BB4_2983 Depth=2
	v_bfe_u32 v11, v10, 23, 8
	s_delay_alu instid0(VALU_DEP_1) | instskip(SKIP_1) | instid1(VALU_DEP_2)
	v_sub_nc_u32_e32 v15, 0x78, v11
	v_cmp_gt_u32_e32 vcc_lo, 0x79, v11
	v_dual_cndmask_b32 v15, 0, v15 :: v_dual_and_b32 v14, 0x7fffff, v10
	s_delay_alu instid0(VALU_DEP_1) | instskip(SKIP_2) | instid1(VALU_DEP_4)
	v_or_b32_e32 v16, 0x800000, v14
	v_cmp_eq_u32_e32 vcc_lo, 0, v11
	v_add_nc_u32_e32 v11, 0xffffff89, v11
	v_cndmask_b32_e64 v15, v15, 0x77, vcc_lo
	s_delay_alu instid0(VALU_DEP_4) | instskip(NEXT) | instid1(VALU_DEP_3)
	v_cndmask_b32_e32 v14, v16, v14, vcc_lo
	v_cndmask_b32_e64 v11, v11, 0xffffff8a, vcc_lo
	s_delay_alu instid0(VALU_DEP_3) | instskip(NEXT) | instid1(VALU_DEP_3)
	v_lshl_add_u32 v16, 0x100000, v15, -1
	v_lshrrev_b32_e32 v17, v15, v14
	v_lshlrev_b32_e64 v97, v15, 0x80000
	s_delay_alu instid0(VALU_DEP_4) | instskip(NEXT) | instid1(VALU_DEP_4)
	v_add_nc_u32_e32 v15, v15, v11
	v_and_b32_e32 v14, v16, v14
	s_delay_alu instid0(VALU_DEP_4) | instskip(NEXT) | instid1(VALU_DEP_2)
	v_bfe_u32 v96, v17, 20, 1
	v_cmp_eq_u32_e64 s7, v14, v97
	s_delay_alu instid0(VALU_DEP_2) | instskip(NEXT) | instid1(VALU_DEP_1)
	v_add_nc_u32_e32 v16, -1, v96
	v_cndmask_b32_e64 v14, 0, v16, s7
	v_lshrrev_b32_e32 v16, 23, v17
	s_mov_b32 s7, exec_lo
	s_delay_alu instid0(VALU_DEP_2) | instskip(NEXT) | instid1(VALU_DEP_2)
	v_add_nc_u32_e32 v14, v14, v17
	v_xor_b32_e32 v16, 1, v16
	s_delay_alu instid0(VALU_DEP_2) | instskip(NEXT) | instid1(VALU_DEP_1)
	v_and_b32_e32 v11, 0xfffff, v14
	v_add_nc_u32_e32 v14, v11, v17
                                        ; implicit-def: $vgpr11
	s_delay_alu instid0(VALU_DEP_3)
	v_cmpx_ne_u32_e64 v15, v16
	s_xor_b32 s7, exec_lo, s7
; %bb.3287:                             ;   in Loop: Header=BB4_2983 Depth=2
	s_delay_alu instid0(VALU_DEP_2) | instskip(SKIP_2) | instid1(VALU_DEP_2)
	v_cmp_lt_u32_e32 vcc_lo, 0xffffff, v14
	v_sub_nc_u32_e32 v11, v15, v16
	v_cndmask_b32_e64 v15, 0, 1, vcc_lo
	v_add_co_ci_u32_e32 v11, vcc_lo, 0, v11, vcc_lo
	s_delay_alu instid0(VALU_DEP_2)
	v_lshrrev_b32_e32 v14, v15, v14
; %bb.3288:                             ;   in Loop: Header=BB4_2983 Depth=2
	s_and_not1_saveexec_b32 s7, s7
; %bb.3289:                             ;   in Loop: Header=BB4_2983 Depth=2
	s_delay_alu instid0(VALU_DEP_1)
	v_bfe_u32 v11, v14, 23, 1
; %bb.3290:                             ;   in Loop: Header=BB4_2983 Depth=2
	s_or_b32 exec_lo, exec_lo, s7
	v_lshrrev_b32_e32 v14, 20, v14
	s_delay_alu instid0(VALU_DEP_2) | instskip(SKIP_2) | instid1(VALU_DEP_4)
	v_cmp_gt_i32_e32 vcc_lo, 16, v11
	v_lshrrev_b32_e32 v10, 24, v10
	v_min_i32_e32 v15, 15, v11
	v_cndmask_b32_e32 v14, 7, v14, vcc_lo
	s_delay_alu instid0(VALU_DEP_3) | instskip(NEXT) | instid1(VALU_DEP_3)
	v_and_b32_e32 v10, 0x80, v10
	v_lshlrev_b32_e32 v15, 3, v15
	s_delay_alu instid0(VALU_DEP_3) | instskip(SKIP_1) | instid1(VALU_DEP_2)
	v_and_b32_e32 v16, 7, v14
	v_or_b32_e32 v11, v11, v14
	v_or3_b32 v10, v15, v10, v16
	s_delay_alu instid0(VALU_DEP_2) | instskip(NEXT) | instid1(VALU_DEP_2)
	v_cmp_ne_u32_e32 vcc_lo, 0, v11
	v_cndmask_b32_e32 v112, 0, v10, vcc_lo
.LBB4_3291:                             ;   in Loop: Header=BB4_2983 Depth=2
	s_or_b32 exec_lo, exec_lo, s25
.LBB4_3292:                             ;   in Loop: Header=BB4_2983 Depth=2
	s_delay_alu instid0(SALU_CYCLE_1) | instskip(SKIP_3) | instid1(VALU_DEP_1)
	s_or_b32 exec_lo, exec_lo, s24
	v_lshrrev_b16 v10, 8, v12
	s_mov_b32 s7, 0
	s_mov_b32 s25, exec_lo
                                        ; implicit-def: $sgpr24
	v_cmpx_lt_i16_e32 0x7f, v10
	s_xor_b32 s25, exec_lo, s25
	s_cbranch_execnz .LBB4_3986
; %bb.3293:                             ;   in Loop: Header=BB4_2983 Depth=2
	s_or_saveexec_b32 s25, s25
	v_mov_b32_e32 v11, s24
	s_xor_b32 exec_lo, exec_lo, s25
	s_cbranch_execnz .LBB4_3989
.LBB4_3294:                             ;   in Loop: Header=BB4_2983 Depth=2
	s_or_b32 exec_lo, exec_lo, s25
	s_and_saveexec_b32 s24, s7
	s_cbranch_execz .LBB4_3296
.LBB4_3295:                             ;   in Loop: Header=BB4_2983 Depth=2
	v_and_b32_e32 v11, 0xffff, v10
	v_lshlrev_b32_e32 v10, 24, v10
	s_delay_alu instid0(VALU_DEP_2) | instskip(NEXT) | instid1(VALU_DEP_2)
	v_and_b32_e32 v14, 7, v11
	v_and_b32_e32 v10, 0x80000000, v10
	s_delay_alu instid0(VALU_DEP_2) | instskip(NEXT) | instid1(VALU_DEP_1)
	v_clz_i32_u32_e32 v15, v14
	v_min_u32_e32 v15, 32, v15
	s_delay_alu instid0(VALU_DEP_1) | instskip(SKIP_1) | instid1(VALU_DEP_2)
	v_subrev_nc_u32_e32 v16, 28, v15
	v_sub_nc_u32_e32 v15, 29, v15
	v_lshlrev_b32_e32 v16, v16, v11
	v_bfe_u32 v11, v11, 3, 4
	s_delay_alu instid0(VALU_DEP_1) | instskip(NEXT) | instid1(VALU_DEP_3)
	v_cmp_eq_u32_e32 vcc_lo, 0, v11
	v_dual_cndmask_b32 v11, v11, v15 :: v_dual_and_b32 v16, 7, v16
	s_delay_alu instid0(VALU_DEP_1) | instskip(NEXT) | instid1(VALU_DEP_2)
	v_cndmask_b32_e32 v14, v14, v16, vcc_lo
	v_lshl_add_u32 v11, v11, 23, 0x3b800000
	s_delay_alu instid0(VALU_DEP_2) | instskip(NEXT) | instid1(VALU_DEP_1)
	v_lshlrev_b32_e32 v14, 20, v14
	v_or3_b32 v11, v10, v11, v14
.LBB4_3296:                             ;   in Loop: Header=BB4_2983 Depth=2
	s_or_b32 exec_lo, exec_lo, s24
	s_delay_alu instid0(VALU_DEP_1) | instskip(SKIP_2) | instid1(VALU_DEP_2)
	v_mul_f32_e32 v10, s23, v11
	v_mov_b32_e32 v102, 0x80
	s_mov_b32 s24, exec_lo
	v_and_b32_e32 v11, 0x7f800000, v10
	s_delay_alu instid0(VALU_DEP_1)
	v_cmpx_ne_u32_e32 0x7f800000, v11
	s_cbranch_execz .LBB4_3304
; %bb.3297:                             ;   in Loop: Header=BB4_2983 Depth=2
	v_mov_b32_e32 v102, 0
	s_mov_b32 s25, exec_lo
	v_cmpx_ne_u32_e32 0, v10
	s_cbranch_execz .LBB4_3303
; %bb.3298:                             ;   in Loop: Header=BB4_2983 Depth=2
	v_bfe_u32 v11, v10, 23, 8
	s_delay_alu instid0(VALU_DEP_1) | instskip(SKIP_1) | instid1(VALU_DEP_2)
	v_sub_nc_u32_e32 v15, 0x78, v11
	v_cmp_gt_u32_e32 vcc_lo, 0x79, v11
	v_dual_cndmask_b32 v15, 0, v15 :: v_dual_and_b32 v14, 0x7fffff, v10
	s_delay_alu instid0(VALU_DEP_1) | instskip(SKIP_2) | instid1(VALU_DEP_4)
	v_or_b32_e32 v16, 0x800000, v14
	v_cmp_eq_u32_e32 vcc_lo, 0, v11
	v_add_nc_u32_e32 v11, 0xffffff89, v11
	v_cndmask_b32_e64 v15, v15, 0x77, vcc_lo
	s_delay_alu instid0(VALU_DEP_4) | instskip(NEXT) | instid1(VALU_DEP_3)
	v_cndmask_b32_e32 v14, v16, v14, vcc_lo
	v_cndmask_b32_e64 v11, v11, 0xffffff8a, vcc_lo
	s_delay_alu instid0(VALU_DEP_3) | instskip(NEXT) | instid1(VALU_DEP_3)
	v_lshl_add_u32 v16, 0x100000, v15, -1
	v_lshrrev_b32_e32 v17, v15, v14
	v_lshlrev_b32_e64 v97, v15, 0x80000
	s_delay_alu instid0(VALU_DEP_4) | instskip(NEXT) | instid1(VALU_DEP_4)
	v_add_nc_u32_e32 v15, v15, v11
	v_and_b32_e32 v14, v16, v14
	s_delay_alu instid0(VALU_DEP_4) | instskip(NEXT) | instid1(VALU_DEP_2)
	v_bfe_u32 v96, v17, 20, 1
	v_cmp_eq_u32_e64 s7, v14, v97
	s_delay_alu instid0(VALU_DEP_2) | instskip(NEXT) | instid1(VALU_DEP_1)
	v_add_nc_u32_e32 v16, -1, v96
	v_cndmask_b32_e64 v14, 0, v16, s7
	v_lshrrev_b32_e32 v16, 23, v17
	s_mov_b32 s7, exec_lo
	s_delay_alu instid0(VALU_DEP_2) | instskip(NEXT) | instid1(VALU_DEP_2)
	v_add_nc_u32_e32 v14, v14, v17
	v_xor_b32_e32 v16, 1, v16
	s_delay_alu instid0(VALU_DEP_2) | instskip(NEXT) | instid1(VALU_DEP_1)
	v_and_b32_e32 v11, 0xfffff, v14
	v_add_nc_u32_e32 v14, v11, v17
                                        ; implicit-def: $vgpr11
	s_delay_alu instid0(VALU_DEP_3)
	v_cmpx_ne_u32_e64 v15, v16
	s_xor_b32 s7, exec_lo, s7
; %bb.3299:                             ;   in Loop: Header=BB4_2983 Depth=2
	s_delay_alu instid0(VALU_DEP_2) | instskip(SKIP_2) | instid1(VALU_DEP_2)
	v_cmp_lt_u32_e32 vcc_lo, 0xffffff, v14
	v_sub_nc_u32_e32 v11, v15, v16
	v_cndmask_b32_e64 v15, 0, 1, vcc_lo
	v_add_co_ci_u32_e32 v11, vcc_lo, 0, v11, vcc_lo
	s_delay_alu instid0(VALU_DEP_2)
	v_lshrrev_b32_e32 v14, v15, v14
; %bb.3300:                             ;   in Loop: Header=BB4_2983 Depth=2
	s_and_not1_saveexec_b32 s7, s7
; %bb.3301:                             ;   in Loop: Header=BB4_2983 Depth=2
	s_delay_alu instid0(VALU_DEP_1)
	v_bfe_u32 v11, v14, 23, 1
; %bb.3302:                             ;   in Loop: Header=BB4_2983 Depth=2
	s_or_b32 exec_lo, exec_lo, s7
	v_lshrrev_b32_e32 v14, 20, v14
	s_delay_alu instid0(VALU_DEP_2) | instskip(SKIP_2) | instid1(VALU_DEP_4)
	v_cmp_gt_i32_e32 vcc_lo, 16, v11
	v_lshrrev_b32_e32 v10, 24, v10
	v_min_i32_e32 v15, 15, v11
	v_cndmask_b32_e32 v14, 7, v14, vcc_lo
	s_delay_alu instid0(VALU_DEP_3) | instskip(NEXT) | instid1(VALU_DEP_3)
	v_and_b32_e32 v10, 0x80, v10
	v_lshlrev_b32_e32 v15, 3, v15
	s_delay_alu instid0(VALU_DEP_3) | instskip(SKIP_1) | instid1(VALU_DEP_2)
	v_and_b32_e32 v16, 7, v14
	v_or_b32_e32 v11, v11, v14
	v_or3_b32 v10, v15, v10, v16
	s_delay_alu instid0(VALU_DEP_2) | instskip(NEXT) | instid1(VALU_DEP_2)
	v_cmp_ne_u32_e32 vcc_lo, 0, v11
	v_cndmask_b32_e32 v102, 0, v10, vcc_lo
.LBB4_3303:                             ;   in Loop: Header=BB4_2983 Depth=2
	s_or_b32 exec_lo, exec_lo, s25
.LBB4_3304:                             ;   in Loop: Header=BB4_2983 Depth=2
	s_delay_alu instid0(SALU_CYCLE_1) | instskip(SKIP_3) | instid1(VALU_DEP_1)
	s_or_b32 exec_lo, exec_lo, s24
	v_lshrrev_b32_e32 v10, 16, v12
	s_mov_b32 s7, 0
	s_mov_b32 s25, exec_lo
                                        ; implicit-def: $sgpr24
	v_and_b32_e32 v14, 0xff, v10
	s_delay_alu instid0(VALU_DEP_1)
	v_cmpx_lt_i16_e32 0x7f, v14
	s_xor_b32 s25, exec_lo, s25
	s_cbranch_execnz .LBB4_3990
; %bb.3305:                             ;   in Loop: Header=BB4_2983 Depth=2
	s_or_saveexec_b32 s25, s25
	v_mov_b32_e32 v11, s24
	s_xor_b32 exec_lo, exec_lo, s25
	s_cbranch_execnz .LBB4_3993
.LBB4_3306:                             ;   in Loop: Header=BB4_2983 Depth=2
	s_or_b32 exec_lo, exec_lo, s25
	s_and_saveexec_b32 s24, s7
	s_cbranch_execz .LBB4_3308
.LBB4_3307:                             ;   in Loop: Header=BB4_2983 Depth=2
	v_bfe_u32 v11, v12, 16, 3
	v_lshlrev_b32_e32 v16, 8, v12
	s_delay_alu instid0(VALU_DEP_2) | instskip(NEXT) | instid1(VALU_DEP_1)
	v_clz_i32_u32_e32 v14, v11
	v_min_u32_e32 v14, 32, v14
	s_delay_alu instid0(VALU_DEP_1) | instskip(SKIP_1) | instid1(VALU_DEP_2)
	v_subrev_nc_u32_e32 v15, 28, v14
	v_sub_nc_u32_e32 v14, 29, v14
	v_lshlrev_b32_e32 v10, v15, v10
	v_bfe_u32 v15, v12, 19, 4
	s_delay_alu instid0(VALU_DEP_2) | instskip(NEXT) | instid1(VALU_DEP_2)
	v_and_b32_e32 v10, 7, v10
	v_cmp_eq_u32_e32 vcc_lo, 0, v15
	v_cndmask_b32_e32 v14, v15, v14, vcc_lo
	s_delay_alu instid0(VALU_DEP_3) | instskip(NEXT) | instid1(VALU_DEP_2)
	v_dual_cndmask_b32 v10, v11, v10 :: v_dual_and_b32 v11, 0x80000000, v16
	v_lshl_add_u32 v14, v14, 23, 0x3b800000
	s_delay_alu instid0(VALU_DEP_2) | instskip(NEXT) | instid1(VALU_DEP_1)
	v_lshlrev_b32_e32 v10, 20, v10
	v_or3_b32 v11, v11, v14, v10
.LBB4_3308:                             ;   in Loop: Header=BB4_2983 Depth=2
	s_or_b32 exec_lo, exec_lo, s24
	s_delay_alu instid0(VALU_DEP_1) | instskip(SKIP_1) | instid1(VALU_DEP_1)
	v_dual_mul_f32 v10, s23, v11 :: v_dual_mov_b32 v101, 0x80
	s_mov_b32 s24, exec_lo
	v_and_b32_e32 v11, 0x7f800000, v10
	s_delay_alu instid0(VALU_DEP_1)
	v_cmpx_ne_u32_e32 0x7f800000, v11
	s_cbranch_execz .LBB4_3316
; %bb.3309:                             ;   in Loop: Header=BB4_2983 Depth=2
	v_mov_b32_e32 v101, 0
	s_mov_b32 s25, exec_lo
	v_cmpx_ne_u32_e32 0, v10
	s_cbranch_execz .LBB4_3315
; %bb.3310:                             ;   in Loop: Header=BB4_2983 Depth=2
	v_bfe_u32 v11, v10, 23, 8
	s_delay_alu instid0(VALU_DEP_1) | instskip(SKIP_1) | instid1(VALU_DEP_2)
	v_sub_nc_u32_e32 v15, 0x78, v11
	v_cmp_gt_u32_e32 vcc_lo, 0x79, v11
	v_dual_cndmask_b32 v15, 0, v15 :: v_dual_and_b32 v14, 0x7fffff, v10
	s_delay_alu instid0(VALU_DEP_1) | instskip(SKIP_2) | instid1(VALU_DEP_4)
	v_or_b32_e32 v16, 0x800000, v14
	v_cmp_eq_u32_e32 vcc_lo, 0, v11
	v_add_nc_u32_e32 v11, 0xffffff89, v11
	v_cndmask_b32_e64 v15, v15, 0x77, vcc_lo
	s_delay_alu instid0(VALU_DEP_4) | instskip(NEXT) | instid1(VALU_DEP_3)
	v_cndmask_b32_e32 v14, v16, v14, vcc_lo
	v_cndmask_b32_e64 v11, v11, 0xffffff8a, vcc_lo
	s_delay_alu instid0(VALU_DEP_3) | instskip(NEXT) | instid1(VALU_DEP_3)
	v_lshl_add_u32 v16, 0x100000, v15, -1
	v_lshrrev_b32_e32 v17, v15, v14
	v_lshlrev_b32_e64 v97, v15, 0x80000
	s_delay_alu instid0(VALU_DEP_4) | instskip(NEXT) | instid1(VALU_DEP_4)
	v_add_nc_u32_e32 v15, v15, v11
	v_and_b32_e32 v14, v16, v14
	s_delay_alu instid0(VALU_DEP_4) | instskip(NEXT) | instid1(VALU_DEP_2)
	v_bfe_u32 v96, v17, 20, 1
	v_cmp_eq_u32_e64 s7, v14, v97
	s_delay_alu instid0(VALU_DEP_2) | instskip(NEXT) | instid1(VALU_DEP_1)
	v_add_nc_u32_e32 v16, -1, v96
	v_cndmask_b32_e64 v14, 0, v16, s7
	v_lshrrev_b32_e32 v16, 23, v17
	s_mov_b32 s7, exec_lo
	s_delay_alu instid0(VALU_DEP_2) | instskip(NEXT) | instid1(VALU_DEP_2)
	v_add_nc_u32_e32 v14, v14, v17
	v_xor_b32_e32 v16, 1, v16
	s_delay_alu instid0(VALU_DEP_2) | instskip(NEXT) | instid1(VALU_DEP_1)
	v_and_b32_e32 v11, 0xfffff, v14
	v_add_nc_u32_e32 v14, v11, v17
                                        ; implicit-def: $vgpr11
	s_delay_alu instid0(VALU_DEP_3)
	v_cmpx_ne_u32_e64 v15, v16
	s_xor_b32 s7, exec_lo, s7
; %bb.3311:                             ;   in Loop: Header=BB4_2983 Depth=2
	s_delay_alu instid0(VALU_DEP_2) | instskip(SKIP_2) | instid1(VALU_DEP_2)
	v_cmp_lt_u32_e32 vcc_lo, 0xffffff, v14
	v_sub_nc_u32_e32 v11, v15, v16
	v_cndmask_b32_e64 v15, 0, 1, vcc_lo
	v_add_co_ci_u32_e32 v11, vcc_lo, 0, v11, vcc_lo
	s_delay_alu instid0(VALU_DEP_2)
	v_lshrrev_b32_e32 v14, v15, v14
; %bb.3312:                             ;   in Loop: Header=BB4_2983 Depth=2
	s_and_not1_saveexec_b32 s7, s7
; %bb.3313:                             ;   in Loop: Header=BB4_2983 Depth=2
	s_delay_alu instid0(VALU_DEP_1)
	v_bfe_u32 v11, v14, 23, 1
; %bb.3314:                             ;   in Loop: Header=BB4_2983 Depth=2
	s_or_b32 exec_lo, exec_lo, s7
	v_lshrrev_b32_e32 v14, 20, v14
	s_delay_alu instid0(VALU_DEP_2) | instskip(SKIP_2) | instid1(VALU_DEP_4)
	v_cmp_gt_i32_e32 vcc_lo, 16, v11
	v_lshrrev_b32_e32 v10, 24, v10
	v_min_i32_e32 v15, 15, v11
	v_cndmask_b32_e32 v14, 7, v14, vcc_lo
	s_delay_alu instid0(VALU_DEP_3) | instskip(NEXT) | instid1(VALU_DEP_3)
	v_and_b32_e32 v10, 0x80, v10
	v_lshlrev_b32_e32 v15, 3, v15
	s_delay_alu instid0(VALU_DEP_3) | instskip(SKIP_1) | instid1(VALU_DEP_2)
	v_and_b32_e32 v16, 7, v14
	v_or_b32_e32 v11, v11, v14
	v_or3_b32 v10, v15, v10, v16
	s_delay_alu instid0(VALU_DEP_2) | instskip(NEXT) | instid1(VALU_DEP_2)
	v_cmp_ne_u32_e32 vcc_lo, 0, v11
	v_cndmask_b32_e32 v101, 0, v10, vcc_lo
.LBB4_3315:                             ;   in Loop: Header=BB4_2983 Depth=2
	s_or_b32 exec_lo, exec_lo, s25
.LBB4_3316:                             ;   in Loop: Header=BB4_2983 Depth=2
	s_delay_alu instid0(SALU_CYCLE_1) | instskip(SKIP_3) | instid1(VALU_DEP_1)
	s_or_b32 exec_lo, exec_lo, s24
	v_lshrrev_b32_e32 v10, 24, v12
	s_mov_b32 s7, 0
	s_mov_b32 s25, exec_lo
                                        ; implicit-def: $sgpr24
	v_cmpx_lt_i16_e32 0x7f, v10
	s_xor_b32 s25, exec_lo, s25
	s_cbranch_execnz .LBB4_3994
; %bb.3317:                             ;   in Loop: Header=BB4_2983 Depth=2
	s_or_saveexec_b32 s25, s25
	v_mov_b32_e32 v11, s24
	s_xor_b32 exec_lo, exec_lo, s25
	s_cbranch_execnz .LBB4_3997
.LBB4_3318:                             ;   in Loop: Header=BB4_2983 Depth=2
	s_or_b32 exec_lo, exec_lo, s25
	s_and_saveexec_b32 s24, s7
	s_cbranch_execz .LBB4_3320
.LBB4_3319:                             ;   in Loop: Header=BB4_2983 Depth=2
	v_bfe_u32 v11, v12, 24, 3
	s_delay_alu instid0(VALU_DEP_1) | instskip(NEXT) | instid1(VALU_DEP_1)
	v_clz_i32_u32_e32 v14, v11
	v_min_u32_e32 v14, 32, v14
	s_delay_alu instid0(VALU_DEP_1) | instskip(SKIP_1) | instid1(VALU_DEP_2)
	v_subrev_nc_u32_e32 v15, 28, v14
	v_sub_nc_u32_e32 v14, 29, v14
	v_lshlrev_b32_e32 v10, v15, v10
	v_bfe_u32 v15, v12, 27, 4
	s_delay_alu instid0(VALU_DEP_2) | instskip(NEXT) | instid1(VALU_DEP_2)
	v_and_b32_e32 v10, 7, v10
	v_cmp_eq_u32_e32 vcc_lo, 0, v15
	v_cndmask_b32_e32 v14, v15, v14, vcc_lo
	s_delay_alu instid0(VALU_DEP_3) | instskip(NEXT) | instid1(VALU_DEP_2)
	v_dual_cndmask_b32 v10, v11, v10 :: v_dual_and_b32 v11, 0x80000000, v12
	v_lshl_add_u32 v12, v14, 23, 0x3b800000
	s_delay_alu instid0(VALU_DEP_2) | instskip(NEXT) | instid1(VALU_DEP_1)
	v_lshlrev_b32_e32 v10, 20, v10
	v_or3_b32 v11, v11, v12, v10
.LBB4_3320:                             ;   in Loop: Header=BB4_2983 Depth=2
	s_or_b32 exec_lo, exec_lo, s24
	s_delay_alu instid0(VALU_DEP_1) | instskip(SKIP_2) | instid1(VALU_DEP_2)
	v_mul_f32_e32 v10, s23, v11
	v_mov_b32_e32 v98, 0x80
	s_mov_b32 s24, exec_lo
	v_and_b32_e32 v11, 0x7f800000, v10
	s_delay_alu instid0(VALU_DEP_1)
	v_cmpx_ne_u32_e32 0x7f800000, v11
	s_cbranch_execz .LBB4_3328
; %bb.3321:                             ;   in Loop: Header=BB4_2983 Depth=2
	v_mov_b32_e32 v98, 0
	s_mov_b32 s25, exec_lo
	v_cmpx_ne_u32_e32 0, v10
	s_cbranch_execz .LBB4_3327
; %bb.3322:                             ;   in Loop: Header=BB4_2983 Depth=2
	v_bfe_u32 v11, v10, 23, 8
	v_and_b32_e32 v12, 0x7fffff, v10
	s_delay_alu instid0(VALU_DEP_2) | instskip(SKIP_1) | instid1(VALU_DEP_3)
	v_sub_nc_u32_e32 v14, 0x78, v11
	v_cmp_gt_u32_e32 vcc_lo, 0x79, v11
	v_or_b32_e32 v15, 0x800000, v12
	s_delay_alu instid0(VALU_DEP_3) | instskip(SKIP_2) | instid1(VALU_DEP_3)
	v_cndmask_b32_e32 v14, 0, v14, vcc_lo
	v_cmp_eq_u32_e32 vcc_lo, 0, v11
	v_add_nc_u32_e32 v11, 0xffffff89, v11
	v_cndmask_b32_e64 v14, v14, 0x77, vcc_lo
	v_cndmask_b32_e32 v12, v15, v12, vcc_lo
	s_delay_alu instid0(VALU_DEP_3) | instskip(NEXT) | instid1(VALU_DEP_3)
	v_cndmask_b32_e64 v11, v11, 0xffffff8a, vcc_lo
	v_lshl_add_u32 v15, 0x100000, v14, -1
	s_delay_alu instid0(VALU_DEP_3) | instskip(SKIP_1) | instid1(VALU_DEP_4)
	v_lshrrev_b32_e32 v16, v14, v12
	v_lshlrev_b32_e64 v96, v14, 0x80000
	v_add_nc_u32_e32 v14, v14, v11
	s_delay_alu instid0(VALU_DEP_4) | instskip(NEXT) | instid1(VALU_DEP_4)
	v_and_b32_e32 v12, v15, v12
	v_bfe_u32 v17, v16, 20, 1
	s_delay_alu instid0(VALU_DEP_2) | instskip(NEXT) | instid1(VALU_DEP_2)
	v_cmp_eq_u32_e64 s7, v12, v96
	v_add_nc_u32_e32 v15, -1, v17
	s_delay_alu instid0(VALU_DEP_1) | instskip(SKIP_2) | instid1(VALU_DEP_2)
	v_cndmask_b32_e64 v12, 0, v15, s7
	v_lshrrev_b32_e32 v15, 23, v16
	s_mov_b32 s7, exec_lo
	v_add_nc_u32_e32 v12, v12, v16
	s_delay_alu instid0(VALU_DEP_2) | instskip(NEXT) | instid1(VALU_DEP_2)
	v_xor_b32_e32 v15, 1, v15
	v_and_b32_e32 v11, 0xfffff, v12
	s_delay_alu instid0(VALU_DEP_1) | instskip(NEXT) | instid1(VALU_DEP_3)
	v_add_nc_u32_e32 v12, v11, v16
                                        ; implicit-def: $vgpr11
	v_cmpx_ne_u32_e64 v14, v15
	s_xor_b32 s7, exec_lo, s7
; %bb.3323:                             ;   in Loop: Header=BB4_2983 Depth=2
	s_delay_alu instid0(VALU_DEP_2) | instskip(SKIP_2) | instid1(VALU_DEP_2)
	v_cmp_lt_u32_e32 vcc_lo, 0xffffff, v12
	v_sub_nc_u32_e32 v11, v14, v15
	v_cndmask_b32_e64 v14, 0, 1, vcc_lo
	v_add_co_ci_u32_e32 v11, vcc_lo, 0, v11, vcc_lo
	s_delay_alu instid0(VALU_DEP_2)
	v_lshrrev_b32_e32 v12, v14, v12
; %bb.3324:                             ;   in Loop: Header=BB4_2983 Depth=2
	s_and_not1_saveexec_b32 s7, s7
; %bb.3325:                             ;   in Loop: Header=BB4_2983 Depth=2
	s_delay_alu instid0(VALU_DEP_1)
	v_bfe_u32 v11, v12, 23, 1
; %bb.3326:                             ;   in Loop: Header=BB4_2983 Depth=2
	s_or_b32 exec_lo, exec_lo, s7
	v_lshrrev_b32_e32 v12, 20, v12
	s_delay_alu instid0(VALU_DEP_2) | instskip(SKIP_2) | instid1(VALU_DEP_4)
	v_cmp_gt_i32_e32 vcc_lo, 16, v11
	v_lshrrev_b32_e32 v10, 24, v10
	v_min_i32_e32 v14, 15, v11
	v_cndmask_b32_e32 v12, 7, v12, vcc_lo
	s_delay_alu instid0(VALU_DEP_3) | instskip(NEXT) | instid1(VALU_DEP_3)
	v_and_b32_e32 v10, 0x80, v10
	v_lshlrev_b32_e32 v14, 3, v14
	s_delay_alu instid0(VALU_DEP_3) | instskip(NEXT) | instid1(VALU_DEP_1)
	v_or_b32_e32 v11, v11, v12
	v_cmp_ne_u32_e32 vcc_lo, 0, v11
	v_and_b32_e32 v15, 7, v12
	s_delay_alu instid0(VALU_DEP_1) | instskip(NEXT) | instid1(VALU_DEP_1)
	v_or3_b32 v10, v14, v10, v15
	v_cndmask_b32_e32 v98, 0, v10, vcc_lo
.LBB4_3327:                             ;   in Loop: Header=BB4_2983 Depth=2
	s_or_b32 exec_lo, exec_lo, s25
.LBB4_3328:                             ;   in Loop: Header=BB4_2983 Depth=2
	s_delay_alu instid0(SALU_CYCLE_1) | instskip(SKIP_3) | instid1(VALU_DEP_1)
	s_or_b32 exec_lo, exec_lo, s24
	v_and_b32_e32 v11, 0xff, v13
	s_mov_b32 s7, 0
	s_mov_b32 s25, exec_lo
                                        ; implicit-def: $sgpr24
	v_cmpx_lt_i16_e32 0x7f, v11
	s_xor_b32 s25, exec_lo, s25
	s_cbranch_execnz .LBB4_3998
; %bb.3329:                             ;   in Loop: Header=BB4_2983 Depth=2
	s_or_saveexec_b32 s25, s25
	v_mov_b32_e32 v10, s24
	s_xor_b32 exec_lo, exec_lo, s25
	s_cbranch_execnz .LBB4_4001
.LBB4_3330:                             ;   in Loop: Header=BB4_2983 Depth=2
	s_or_b32 exec_lo, exec_lo, s25
	s_and_saveexec_b32 s24, s7
	s_cbranch_execz .LBB4_3332
.LBB4_3331:                             ;   in Loop: Header=BB4_2983 Depth=2
	v_bfe_u32 v14, v13, 3, 4
	s_delay_alu instid0(VALU_DEP_1) | instskip(SKIP_1) | instid1(VALU_DEP_1)
	v_cmp_eq_u32_e32 vcc_lo, 0, v14
	v_and_b32_e32 v10, 7, v13
	v_clz_i32_u32_e32 v11, v10
	s_delay_alu instid0(VALU_DEP_1) | instskip(NEXT) | instid1(VALU_DEP_1)
	v_min_u32_e32 v11, 32, v11
	v_subrev_nc_u32_e32 v12, 28, v11
	v_sub_nc_u32_e32 v11, 29, v11
	s_delay_alu instid0(VALU_DEP_1) | instskip(NEXT) | instid1(VALU_DEP_1)
	v_dual_cndmask_b32 v11, v14, v11 :: v_dual_lshlrev_b32 v12, v12, v13
	v_and_b32_e32 v12, 7, v12
	v_lshlrev_b32_e32 v15, 24, v13
	s_delay_alu instid0(VALU_DEP_3) | instskip(NEXT) | instid1(VALU_DEP_3)
	v_lshl_add_u32 v11, v11, 23, 0x3b800000
	v_cndmask_b32_e32 v10, v10, v12, vcc_lo
	s_delay_alu instid0(VALU_DEP_3) | instskip(NEXT) | instid1(VALU_DEP_2)
	v_and_b32_e32 v12, 0x80000000, v15
	v_lshlrev_b32_e32 v10, 20, v10
	s_delay_alu instid0(VALU_DEP_1)
	v_or3_b32 v10, v12, v11, v10
.LBB4_3332:                             ;   in Loop: Header=BB4_2983 Depth=2
	s_or_b32 exec_lo, exec_lo, s24
	s_delay_alu instid0(VALU_DEP_1) | instskip(SKIP_1) | instid1(VALU_DEP_1)
	v_dual_mul_f32 v10, s23, v10 :: v_dual_mov_b32 v97, 0x80
	s_mov_b32 s24, exec_lo
	v_and_b32_e32 v11, 0x7f800000, v10
	s_delay_alu instid0(VALU_DEP_1)
	v_cmpx_ne_u32_e32 0x7f800000, v11
	s_cbranch_execz .LBB4_3340
; %bb.3333:                             ;   in Loop: Header=BB4_2983 Depth=2
	v_mov_b32_e32 v97, 0
	s_mov_b32 s25, exec_lo
	v_cmpx_ne_u32_e32 0, v10
	s_cbranch_execz .LBB4_3339
; %bb.3334:                             ;   in Loop: Header=BB4_2983 Depth=2
	v_bfe_u32 v11, v10, 23, 8
	v_and_b32_e32 v12, 0x7fffff, v10
	s_delay_alu instid0(VALU_DEP_2) | instskip(SKIP_1) | instid1(VALU_DEP_3)
	v_sub_nc_u32_e32 v14, 0x78, v11
	v_cmp_gt_u32_e32 vcc_lo, 0x79, v11
	v_or_b32_e32 v15, 0x800000, v12
	s_delay_alu instid0(VALU_DEP_3) | instskip(SKIP_2) | instid1(VALU_DEP_3)
	v_cndmask_b32_e32 v14, 0, v14, vcc_lo
	v_cmp_eq_u32_e32 vcc_lo, 0, v11
	v_add_nc_u32_e32 v11, 0xffffff89, v11
	v_cndmask_b32_e64 v14, v14, 0x77, vcc_lo
	v_cndmask_b32_e32 v12, v15, v12, vcc_lo
	s_delay_alu instid0(VALU_DEP_3) | instskip(NEXT) | instid1(VALU_DEP_3)
	v_cndmask_b32_e64 v11, v11, 0xffffff8a, vcc_lo
	v_lshl_add_u32 v15, 0x100000, v14, -1
	s_delay_alu instid0(VALU_DEP_3) | instskip(SKIP_1) | instid1(VALU_DEP_4)
	v_lshrrev_b32_e32 v16, v14, v12
	v_lshlrev_b32_e64 v96, v14, 0x80000
	v_add_nc_u32_e32 v14, v14, v11
	s_delay_alu instid0(VALU_DEP_4) | instskip(NEXT) | instid1(VALU_DEP_4)
	v_and_b32_e32 v12, v15, v12
	v_bfe_u32 v17, v16, 20, 1
	s_delay_alu instid0(VALU_DEP_2) | instskip(NEXT) | instid1(VALU_DEP_2)
	v_cmp_eq_u32_e64 s7, v12, v96
	v_add_nc_u32_e32 v15, -1, v17
	s_delay_alu instid0(VALU_DEP_1) | instskip(SKIP_2) | instid1(VALU_DEP_2)
	v_cndmask_b32_e64 v12, 0, v15, s7
	v_lshrrev_b32_e32 v15, 23, v16
	s_mov_b32 s7, exec_lo
	v_add_nc_u32_e32 v12, v12, v16
	s_delay_alu instid0(VALU_DEP_2) | instskip(NEXT) | instid1(VALU_DEP_2)
	v_xor_b32_e32 v15, 1, v15
	v_and_b32_e32 v11, 0xfffff, v12
	s_delay_alu instid0(VALU_DEP_1) | instskip(NEXT) | instid1(VALU_DEP_3)
	v_add_nc_u32_e32 v12, v11, v16
                                        ; implicit-def: $vgpr11
	v_cmpx_ne_u32_e64 v14, v15
	s_xor_b32 s7, exec_lo, s7
; %bb.3335:                             ;   in Loop: Header=BB4_2983 Depth=2
	s_delay_alu instid0(VALU_DEP_2) | instskip(SKIP_2) | instid1(VALU_DEP_2)
	v_cmp_lt_u32_e32 vcc_lo, 0xffffff, v12
	v_sub_nc_u32_e32 v11, v14, v15
	v_cndmask_b32_e64 v14, 0, 1, vcc_lo
	v_add_co_ci_u32_e32 v11, vcc_lo, 0, v11, vcc_lo
	s_delay_alu instid0(VALU_DEP_2)
	v_lshrrev_b32_e32 v12, v14, v12
; %bb.3336:                             ;   in Loop: Header=BB4_2983 Depth=2
	s_and_not1_saveexec_b32 s7, s7
; %bb.3337:                             ;   in Loop: Header=BB4_2983 Depth=2
	s_delay_alu instid0(VALU_DEP_1)
	v_bfe_u32 v11, v12, 23, 1
; %bb.3338:                             ;   in Loop: Header=BB4_2983 Depth=2
	s_or_b32 exec_lo, exec_lo, s7
	v_lshrrev_b32_e32 v12, 20, v12
	s_delay_alu instid0(VALU_DEP_2) | instskip(SKIP_2) | instid1(VALU_DEP_3)
	v_min_i32_e32 v14, 15, v11
	v_cmp_gt_i32_e32 vcc_lo, 16, v11
	v_lshrrev_b32_e32 v10, 24, v10
	v_lshlrev_b32_e32 v14, 3, v14
	v_cndmask_b32_e32 v12, 7, v12, vcc_lo
	s_delay_alu instid0(VALU_DEP_3) | instskip(NEXT) | instid1(VALU_DEP_3)
	v_and_b32_e32 v10, 0x80, v10
	v_and_b32_e32 v14, 0xf8, v14
	s_delay_alu instid0(VALU_DEP_3) | instskip(SKIP_1) | instid1(VALU_DEP_2)
	v_and_b32_e32 v15, 7, v12
	v_or_b32_e32 v11, v11, v12
	v_or3_b32 v10, v14, v10, v15
	s_delay_alu instid0(VALU_DEP_2) | instskip(NEXT) | instid1(VALU_DEP_2)
	v_cmp_ne_u32_e32 vcc_lo, 0, v11
	v_cndmask_b32_e32 v97, 0, v10, vcc_lo
.LBB4_3339:                             ;   in Loop: Header=BB4_2983 Depth=2
	s_or_b32 exec_lo, exec_lo, s25
.LBB4_3340:                             ;   in Loop: Header=BB4_2983 Depth=2
	s_delay_alu instid0(SALU_CYCLE_1) | instskip(SKIP_3) | instid1(VALU_DEP_1)
	s_or_b32 exec_lo, exec_lo, s24
	v_lshrrev_b16 v10, 8, v13
	s_mov_b32 s7, 0
	s_mov_b32 s25, exec_lo
                                        ; implicit-def: $sgpr24
	v_cmpx_lt_i16_e32 0x7f, v10
	s_xor_b32 s25, exec_lo, s25
	s_cbranch_execnz .LBB4_4002
; %bb.3341:                             ;   in Loop: Header=BB4_2983 Depth=2
	s_or_saveexec_b32 s25, s25
	v_mov_b32_e32 v11, s24
	s_xor_b32 exec_lo, exec_lo, s25
	s_cbranch_execnz .LBB4_4005
.LBB4_3342:                             ;   in Loop: Header=BB4_2983 Depth=2
	s_or_b32 exec_lo, exec_lo, s25
	s_and_saveexec_b32 s24, s7
	s_cbranch_execz .LBB4_3344
.LBB4_3343:                             ;   in Loop: Header=BB4_2983 Depth=2
	v_and_b32_e32 v11, 0xffff, v10
	v_lshlrev_b32_e32 v10, 24, v10
	s_delay_alu instid0(VALU_DEP_2) | instskip(NEXT) | instid1(VALU_DEP_2)
	v_and_b32_e32 v12, 7, v11
	v_and_b32_e32 v10, 0x80000000, v10
	s_delay_alu instid0(VALU_DEP_2) | instskip(NEXT) | instid1(VALU_DEP_1)
	v_clz_i32_u32_e32 v14, v12
	v_min_u32_e32 v14, 32, v14
	s_delay_alu instid0(VALU_DEP_1) | instskip(SKIP_1) | instid1(VALU_DEP_2)
	v_subrev_nc_u32_e32 v15, 28, v14
	v_sub_nc_u32_e32 v14, 29, v14
	v_lshlrev_b32_e32 v15, v15, v11
	v_bfe_u32 v11, v11, 3, 4
	s_delay_alu instid0(VALU_DEP_2) | instskip(NEXT) | instid1(VALU_DEP_2)
	v_and_b32_e32 v15, 7, v15
	v_cmp_eq_u32_e32 vcc_lo, 0, v11
	s_delay_alu instid0(VALU_DEP_2) | instskip(NEXT) | instid1(VALU_DEP_1)
	v_dual_cndmask_b32 v11, v11, v14 :: v_dual_cndmask_b32 v12, v12, v15
	v_lshl_add_u32 v11, v11, 23, 0x3b800000
	s_delay_alu instid0(VALU_DEP_2) | instskip(NEXT) | instid1(VALU_DEP_1)
	v_lshlrev_b32_e32 v12, 20, v12
	v_or3_b32 v11, v10, v11, v12
.LBB4_3344:                             ;   in Loop: Header=BB4_2983 Depth=2
	s_or_b32 exec_lo, exec_lo, s24
	s_delay_alu instid0(VALU_DEP_1) | instskip(SKIP_1) | instid1(VALU_DEP_1)
	v_dual_mul_f32 v10, s23, v11 :: v_dual_mov_b32 v103, 0x8000
	s_mov_b32 s24, exec_lo
	v_and_b32_e32 v11, 0x7f800000, v10
	s_delay_alu instid0(VALU_DEP_1)
	v_cmpx_ne_u32_e32 0x7f800000, v11
	s_cbranch_execz .LBB4_3352
; %bb.3345:                             ;   in Loop: Header=BB4_2983 Depth=2
	v_mov_b32_e32 v103, 0
	s_mov_b32 s25, exec_lo
	v_cmpx_ne_u32_e32 0, v10
	s_cbranch_execz .LBB4_3351
; %bb.3346:                             ;   in Loop: Header=BB4_2983 Depth=2
	v_bfe_u32 v11, v10, 23, 8
	v_and_b32_e32 v12, 0x7fffff, v10
	s_delay_alu instid0(VALU_DEP_2) | instskip(SKIP_1) | instid1(VALU_DEP_3)
	v_sub_nc_u32_e32 v14, 0x78, v11
	v_cmp_gt_u32_e32 vcc_lo, 0x79, v11
	v_or_b32_e32 v15, 0x800000, v12
	s_delay_alu instid0(VALU_DEP_3) | instskip(SKIP_2) | instid1(VALU_DEP_3)
	v_cndmask_b32_e32 v14, 0, v14, vcc_lo
	v_cmp_eq_u32_e32 vcc_lo, 0, v11
	v_add_nc_u32_e32 v11, 0xffffff89, v11
	v_cndmask_b32_e64 v14, v14, 0x77, vcc_lo
	v_cndmask_b32_e32 v12, v15, v12, vcc_lo
	s_delay_alu instid0(VALU_DEP_3) | instskip(NEXT) | instid1(VALU_DEP_3)
	v_cndmask_b32_e64 v11, v11, 0xffffff8a, vcc_lo
	v_lshl_add_u32 v15, 0x100000, v14, -1
	s_delay_alu instid0(VALU_DEP_3) | instskip(SKIP_1) | instid1(VALU_DEP_4)
	v_lshrrev_b32_e32 v16, v14, v12
	v_lshlrev_b32_e64 v96, v14, 0x80000
	v_add_nc_u32_e32 v14, v14, v11
	s_delay_alu instid0(VALU_DEP_4) | instskip(NEXT) | instid1(VALU_DEP_4)
	v_and_b32_e32 v12, v15, v12
	v_bfe_u32 v17, v16, 20, 1
	s_delay_alu instid0(VALU_DEP_2) | instskip(NEXT) | instid1(VALU_DEP_2)
	v_cmp_eq_u32_e64 s7, v12, v96
	v_add_nc_u32_e32 v15, -1, v17
	s_delay_alu instid0(VALU_DEP_1) | instskip(SKIP_2) | instid1(VALU_DEP_2)
	v_cndmask_b32_e64 v12, 0, v15, s7
	v_lshrrev_b32_e32 v15, 23, v16
	s_mov_b32 s7, exec_lo
	v_add_nc_u32_e32 v12, v12, v16
	s_delay_alu instid0(VALU_DEP_2) | instskip(NEXT) | instid1(VALU_DEP_2)
	v_xor_b32_e32 v15, 1, v15
	v_and_b32_e32 v11, 0xfffff, v12
	s_delay_alu instid0(VALU_DEP_1) | instskip(NEXT) | instid1(VALU_DEP_3)
	v_add_nc_u32_e32 v12, v11, v16
                                        ; implicit-def: $vgpr11
	v_cmpx_ne_u32_e64 v14, v15
	s_xor_b32 s7, exec_lo, s7
; %bb.3347:                             ;   in Loop: Header=BB4_2983 Depth=2
	s_delay_alu instid0(VALU_DEP_2) | instskip(SKIP_2) | instid1(VALU_DEP_2)
	v_cmp_lt_u32_e32 vcc_lo, 0xffffff, v12
	v_sub_nc_u32_e32 v11, v14, v15
	v_cndmask_b32_e64 v14, 0, 1, vcc_lo
	v_add_co_ci_u32_e32 v11, vcc_lo, 0, v11, vcc_lo
	s_delay_alu instid0(VALU_DEP_2)
	v_lshrrev_b32_e32 v12, v14, v12
; %bb.3348:                             ;   in Loop: Header=BB4_2983 Depth=2
	s_and_not1_saveexec_b32 s7, s7
; %bb.3349:                             ;   in Loop: Header=BB4_2983 Depth=2
	s_delay_alu instid0(VALU_DEP_1)
	v_bfe_u32 v11, v12, 23, 1
; %bb.3350:                             ;   in Loop: Header=BB4_2983 Depth=2
	s_or_b32 exec_lo, exec_lo, s7
	v_lshrrev_b32_e32 v12, 20, v12
	s_delay_alu instid0(VALU_DEP_2) | instskip(SKIP_2) | instid1(VALU_DEP_3)
	v_min_i32_e32 v14, 15, v11
	v_cmp_gt_i32_e32 vcc_lo, 16, v11
	v_lshrrev_b32_e32 v10, 24, v10
	v_lshlrev_b32_e32 v14, 3, v14
	v_cndmask_b32_e32 v12, 7, v12, vcc_lo
	s_delay_alu instid0(VALU_DEP_3) | instskip(NEXT) | instid1(VALU_DEP_3)
	v_and_b32_e32 v10, 0x80, v10
	v_and_b32_e32 v14, 0xf8, v14
	s_delay_alu instid0(VALU_DEP_3) | instskip(SKIP_1) | instid1(VALU_DEP_2)
	v_and_b32_e32 v15, 7, v12
	v_or_b32_e32 v11, v11, v12
	v_or3_b32 v10, v10, v14, v15
	s_delay_alu instid0(VALU_DEP_2) | instskip(NEXT) | instid1(VALU_DEP_2)
	v_cmp_ne_u32_e32 vcc_lo, 0, v11
	v_lshlrev_b32_e32 v10, 8, v10
	s_delay_alu instid0(VALU_DEP_1)
	v_cndmask_b32_e32 v103, 0, v10, vcc_lo
.LBB4_3351:                             ;   in Loop: Header=BB4_2983 Depth=2
	s_or_b32 exec_lo, exec_lo, s25
.LBB4_3352:                             ;   in Loop: Header=BB4_2983 Depth=2
	s_delay_alu instid0(SALU_CYCLE_1) | instskip(SKIP_3) | instid1(VALU_DEP_1)
	s_or_b32 exec_lo, exec_lo, s24
	v_lshrrev_b32_e32 v10, 16, v13
	s_mov_b32 s7, 0
	s_mov_b32 s25, exec_lo
                                        ; implicit-def: $sgpr24
	v_and_b32_e32 v12, 0xff, v10
	s_delay_alu instid0(VALU_DEP_1)
	v_cmpx_lt_i16_e32 0x7f, v12
	s_xor_b32 s25, exec_lo, s25
	s_cbranch_execnz .LBB4_4006
; %bb.3353:                             ;   in Loop: Header=BB4_2983 Depth=2
	s_or_saveexec_b32 s25, s25
	v_mov_b32_e32 v11, s24
	s_xor_b32 exec_lo, exec_lo, s25
	s_cbranch_execnz .LBB4_4009
.LBB4_3354:                             ;   in Loop: Header=BB4_2983 Depth=2
	s_or_b32 exec_lo, exec_lo, s25
	s_and_saveexec_b32 s24, s7
	s_cbranch_execz .LBB4_3356
.LBB4_3355:                             ;   in Loop: Header=BB4_2983 Depth=2
	v_bfe_u32 v11, v13, 16, 3
	s_delay_alu instid0(VALU_DEP_1) | instskip(NEXT) | instid1(VALU_DEP_1)
	v_clz_i32_u32_e32 v12, v11
	v_min_u32_e32 v12, 32, v12
	s_delay_alu instid0(VALU_DEP_1) | instskip(SKIP_1) | instid1(VALU_DEP_2)
	v_subrev_nc_u32_e32 v14, 28, v12
	v_sub_nc_u32_e32 v12, 29, v12
	v_lshlrev_b32_e32 v10, v14, v10
	v_bfe_u32 v14, v13, 19, 4
	s_delay_alu instid0(VALU_DEP_2) | instskip(NEXT) | instid1(VALU_DEP_2)
	v_and_b32_e32 v10, 7, v10
	v_cmp_eq_u32_e32 vcc_lo, 0, v14
	v_dual_cndmask_b32 v12, v14, v12 :: v_dual_lshlrev_b32 v15, 8, v13
	s_delay_alu instid0(VALU_DEP_1) | instskip(NEXT) | instid1(VALU_DEP_2)
	v_dual_cndmask_b32 v10, v11, v10 :: v_dual_and_b32 v11, 0x80000000, v15
	v_lshl_add_u32 v12, v12, 23, 0x3b800000
	s_delay_alu instid0(VALU_DEP_2) | instskip(NEXT) | instid1(VALU_DEP_1)
	v_lshlrev_b32_e32 v10, 20, v10
	v_or3_b32 v11, v11, v12, v10
.LBB4_3356:                             ;   in Loop: Header=BB4_2983 Depth=2
	s_or_b32 exec_lo, exec_lo, s24
	s_delay_alu instid0(VALU_DEP_1) | instskip(SKIP_2) | instid1(VALU_DEP_2)
	v_mul_f32_e32 v10, s23, v11
	v_mov_b32_e32 v96, 0x80
	s_mov_b32 s24, exec_lo
	v_and_b32_e32 v11, 0x7f800000, v10
	s_delay_alu instid0(VALU_DEP_1)
	v_cmpx_ne_u32_e32 0x7f800000, v11
	s_cbranch_execz .LBB4_3364
; %bb.3357:                             ;   in Loop: Header=BB4_2983 Depth=2
	v_mov_b32_e32 v96, 0
	s_mov_b32 s25, exec_lo
	v_cmpx_ne_u32_e32 0, v10
	s_cbranch_execz .LBB4_3363
; %bb.3358:                             ;   in Loop: Header=BB4_2983 Depth=2
	v_bfe_u32 v11, v10, 23, 8
	v_and_b32_e32 v12, 0x7fffff, v10
	s_delay_alu instid0(VALU_DEP_2) | instskip(SKIP_1) | instid1(VALU_DEP_3)
	v_sub_nc_u32_e32 v14, 0x78, v11
	v_cmp_gt_u32_e32 vcc_lo, 0x79, v11
	v_or_b32_e32 v15, 0x800000, v12
	s_delay_alu instid0(VALU_DEP_3) | instskip(SKIP_2) | instid1(VALU_DEP_3)
	v_cndmask_b32_e32 v14, 0, v14, vcc_lo
	v_cmp_eq_u32_e32 vcc_lo, 0, v11
	v_add_nc_u32_e32 v11, 0xffffff89, v11
	v_cndmask_b32_e64 v14, v14, 0x77, vcc_lo
	v_cndmask_b32_e32 v12, v15, v12, vcc_lo
	s_delay_alu instid0(VALU_DEP_3) | instskip(NEXT) | instid1(VALU_DEP_3)
	v_cndmask_b32_e64 v11, v11, 0xffffff8a, vcc_lo
	v_lshl_add_u32 v15, 0x100000, v14, -1
	s_delay_alu instid0(VALU_DEP_3) | instskip(SKIP_1) | instid1(VALU_DEP_4)
	v_lshrrev_b32_e32 v16, v14, v12
	v_lshlrev_b32_e64 v96, v14, 0x80000
	v_add_nc_u32_e32 v14, v14, v11
	s_delay_alu instid0(VALU_DEP_4) | instskip(NEXT) | instid1(VALU_DEP_4)
	v_and_b32_e32 v12, v15, v12
	v_bfe_u32 v17, v16, 20, 1
	s_delay_alu instid0(VALU_DEP_2) | instskip(NEXT) | instid1(VALU_DEP_2)
	v_cmp_eq_u32_e64 s7, v12, v96
	v_add_nc_u32_e32 v15, -1, v17
	s_delay_alu instid0(VALU_DEP_1) | instskip(SKIP_2) | instid1(VALU_DEP_2)
	v_cndmask_b32_e64 v12, 0, v15, s7
	v_lshrrev_b32_e32 v15, 23, v16
	s_mov_b32 s7, exec_lo
	v_add_nc_u32_e32 v12, v12, v16
	s_delay_alu instid0(VALU_DEP_2) | instskip(NEXT) | instid1(VALU_DEP_2)
	v_xor_b32_e32 v15, 1, v15
	v_and_b32_e32 v11, 0xfffff, v12
	s_delay_alu instid0(VALU_DEP_1) | instskip(NEXT) | instid1(VALU_DEP_3)
	v_add_nc_u32_e32 v12, v11, v16
                                        ; implicit-def: $vgpr11
	v_cmpx_ne_u32_e64 v14, v15
	s_xor_b32 s7, exec_lo, s7
; %bb.3359:                             ;   in Loop: Header=BB4_2983 Depth=2
	s_delay_alu instid0(VALU_DEP_2) | instskip(SKIP_2) | instid1(VALU_DEP_2)
	v_cmp_lt_u32_e32 vcc_lo, 0xffffff, v12
	v_sub_nc_u32_e32 v11, v14, v15
	v_cndmask_b32_e64 v14, 0, 1, vcc_lo
	v_add_co_ci_u32_e32 v11, vcc_lo, 0, v11, vcc_lo
	s_delay_alu instid0(VALU_DEP_2)
	v_lshrrev_b32_e32 v12, v14, v12
; %bb.3360:                             ;   in Loop: Header=BB4_2983 Depth=2
	s_and_not1_saveexec_b32 s7, s7
; %bb.3361:                             ;   in Loop: Header=BB4_2983 Depth=2
	s_delay_alu instid0(VALU_DEP_1)
	v_bfe_u32 v11, v12, 23, 1
; %bb.3362:                             ;   in Loop: Header=BB4_2983 Depth=2
	s_or_b32 exec_lo, exec_lo, s7
	v_lshrrev_b32_e32 v12, 20, v12
	s_delay_alu instid0(VALU_DEP_2) | instskip(SKIP_2) | instid1(VALU_DEP_4)
	v_cmp_gt_i32_e32 vcc_lo, 16, v11
	v_min_i32_e32 v14, 15, v11
	v_lshrrev_b32_e32 v10, 24, v10
	v_cndmask_b32_e32 v12, 7, v12, vcc_lo
	s_delay_alu instid0(VALU_DEP_3) | instskip(NEXT) | instid1(VALU_DEP_3)
	v_lshlrev_b32_e32 v14, 3, v14
	v_and_b32_e32 v10, 0x80, v10
	s_delay_alu instid0(VALU_DEP_3) | instskip(NEXT) | instid1(VALU_DEP_3)
	v_or_b32_e32 v11, v11, v12
	v_and_b32_e32 v14, 0xf8, v14
	s_delay_alu instid0(VALU_DEP_2) | instskip(SKIP_1) | instid1(VALU_DEP_1)
	v_cmp_ne_u32_e32 vcc_lo, 0, v11
	v_and_b32_e32 v15, 7, v12
	v_or3_b32 v10, v14, v10, v15
	s_delay_alu instid0(VALU_DEP_1)
	v_cndmask_b32_e32 v96, 0, v10, vcc_lo
.LBB4_3363:                             ;   in Loop: Header=BB4_2983 Depth=2
	s_or_b32 exec_lo, exec_lo, s25
.LBB4_3364:                             ;   in Loop: Header=BB4_2983 Depth=2
	s_delay_alu instid0(SALU_CYCLE_1) | instskip(SKIP_3) | instid1(VALU_DEP_1)
	s_or_b32 exec_lo, exec_lo, s24
	v_lshrrev_b32_e32 v10, 24, v13
	s_mov_b32 s7, 0
	s_mov_b32 s25, exec_lo
                                        ; implicit-def: $sgpr24
	v_cmpx_lt_i16_e32 0x7f, v10
	s_xor_b32 s25, exec_lo, s25
	s_cbranch_execnz .LBB4_4010
; %bb.3365:                             ;   in Loop: Header=BB4_2983 Depth=2
	s_or_saveexec_b32 s25, s25
	v_mov_b32_e32 v11, s24
	s_xor_b32 exec_lo, exec_lo, s25
	s_cbranch_execnz .LBB4_4013
.LBB4_3366:                             ;   in Loop: Header=BB4_2983 Depth=2
	s_or_b32 exec_lo, exec_lo, s25
	s_and_saveexec_b32 s24, s7
	s_cbranch_execz .LBB4_3368
.LBB4_3367:                             ;   in Loop: Header=BB4_2983 Depth=2
	v_bfe_u32 v11, v13, 24, 3
	s_delay_alu instid0(VALU_DEP_1) | instskip(NEXT) | instid1(VALU_DEP_1)
	v_clz_i32_u32_e32 v12, v11
	v_min_u32_e32 v12, 32, v12
	s_delay_alu instid0(VALU_DEP_1) | instskip(SKIP_1) | instid1(VALU_DEP_2)
	v_subrev_nc_u32_e32 v14, 28, v12
	v_sub_nc_u32_e32 v12, 29, v12
	v_lshlrev_b32_e32 v10, v14, v10
	v_bfe_u32 v14, v13, 27, 4
	s_delay_alu instid0(VALU_DEP_2) | instskip(NEXT) | instid1(VALU_DEP_2)
	v_and_b32_e32 v10, 7, v10
	v_cmp_eq_u32_e32 vcc_lo, 0, v14
	v_cndmask_b32_e32 v12, v14, v12, vcc_lo
	s_delay_alu instid0(VALU_DEP_3) | instskip(NEXT) | instid1(VALU_DEP_2)
	v_dual_cndmask_b32 v10, v11, v10 :: v_dual_and_b32 v11, 0x80000000, v13
	v_lshl_add_u32 v12, v12, 23, 0x3b800000
	s_delay_alu instid0(VALU_DEP_2) | instskip(NEXT) | instid1(VALU_DEP_1)
	v_lshlrev_b32_e32 v10, 20, v10
	v_or3_b32 v11, v11, v12, v10
.LBB4_3368:                             ;   in Loop: Header=BB4_2983 Depth=2
	s_or_b32 exec_lo, exec_lo, s24
	s_delay_alu instid0(VALU_DEP_1) | instskip(SKIP_2) | instid1(VALU_DEP_2)
	v_mul_f32_e32 v10, s23, v11
	v_mov_b32_e32 v100, 0x8000
	s_mov_b32 s23, exec_lo
	v_and_b32_e32 v11, 0x7f800000, v10
	s_delay_alu instid0(VALU_DEP_1)
	v_cmpx_ne_u32_e32 0x7f800000, v11
	s_cbranch_execz .LBB4_3376
; %bb.3369:                             ;   in Loop: Header=BB4_2983 Depth=2
	v_mov_b32_e32 v100, 0
	s_mov_b32 s24, exec_lo
	v_cmpx_ne_u32_e32 0, v10
	s_cbranch_execz .LBB4_3375
; %bb.3370:                             ;   in Loop: Header=BB4_2983 Depth=2
	v_bfe_u32 v11, v10, 23, 8
	s_delay_alu instid0(VALU_DEP_1) | instskip(SKIP_1) | instid1(VALU_DEP_2)
	v_sub_nc_u32_e32 v13, 0x78, v11
	v_cmp_gt_u32_e32 vcc_lo, 0x79, v11
	v_dual_cndmask_b32 v13, 0, v13 :: v_dual_and_b32 v12, 0x7fffff, v10
	s_delay_alu instid0(VALU_DEP_1) | instskip(SKIP_2) | instid1(VALU_DEP_4)
	v_or_b32_e32 v14, 0x800000, v12
	v_cmp_eq_u32_e32 vcc_lo, 0, v11
	v_add_nc_u32_e32 v11, 0xffffff89, v11
	v_cndmask_b32_e64 v13, v13, 0x77, vcc_lo
	s_delay_alu instid0(VALU_DEP_4) | instskip(NEXT) | instid1(VALU_DEP_3)
	v_cndmask_b32_e32 v12, v14, v12, vcc_lo
	v_cndmask_b32_e64 v11, v11, 0xffffff8a, vcc_lo
	s_delay_alu instid0(VALU_DEP_3) | instskip(NEXT) | instid1(VALU_DEP_3)
	v_lshl_add_u32 v14, 0x100000, v13, -1
	v_lshrrev_b32_e32 v15, v13, v12
	v_lshlrev_b32_e64 v17, v13, 0x80000
	s_delay_alu instid0(VALU_DEP_4) | instskip(NEXT) | instid1(VALU_DEP_4)
	v_add_nc_u32_e32 v13, v13, v11
	v_and_b32_e32 v12, v14, v12
	s_delay_alu instid0(VALU_DEP_4) | instskip(NEXT) | instid1(VALU_DEP_2)
	v_bfe_u32 v16, v15, 20, 1
	v_cmp_eq_u32_e64 s7, v12, v17
	s_delay_alu instid0(VALU_DEP_2) | instskip(NEXT) | instid1(VALU_DEP_1)
	v_add_nc_u32_e32 v14, -1, v16
	v_cndmask_b32_e64 v12, 0, v14, s7
	v_lshrrev_b32_e32 v14, 23, v15
	s_mov_b32 s7, exec_lo
	s_delay_alu instid0(VALU_DEP_2) | instskip(NEXT) | instid1(VALU_DEP_2)
	v_add_nc_u32_e32 v12, v12, v15
	v_xor_b32_e32 v14, 1, v14
	s_delay_alu instid0(VALU_DEP_2) | instskip(NEXT) | instid1(VALU_DEP_1)
	v_and_b32_e32 v11, 0xfffff, v12
	v_add_nc_u32_e32 v12, v11, v15
                                        ; implicit-def: $vgpr11
	s_delay_alu instid0(VALU_DEP_3)
	v_cmpx_ne_u32_e64 v13, v14
	s_xor_b32 s7, exec_lo, s7
; %bb.3371:                             ;   in Loop: Header=BB4_2983 Depth=2
	s_delay_alu instid0(VALU_DEP_2) | instskip(SKIP_2) | instid1(VALU_DEP_2)
	v_cmp_lt_u32_e32 vcc_lo, 0xffffff, v12
	v_sub_nc_u32_e32 v11, v13, v14
	v_cndmask_b32_e64 v13, 0, 1, vcc_lo
	v_add_co_ci_u32_e32 v11, vcc_lo, 0, v11, vcc_lo
	s_delay_alu instid0(VALU_DEP_2)
	v_lshrrev_b32_e32 v12, v13, v12
; %bb.3372:                             ;   in Loop: Header=BB4_2983 Depth=2
	s_and_not1_saveexec_b32 s7, s7
; %bb.3373:                             ;   in Loop: Header=BB4_2983 Depth=2
	s_delay_alu instid0(VALU_DEP_1)
	v_bfe_u32 v11, v12, 23, 1
; %bb.3374:                             ;   in Loop: Header=BB4_2983 Depth=2
	s_or_b32 exec_lo, exec_lo, s7
	v_lshrrev_b32_e32 v12, 20, v12
	s_delay_alu instid0(VALU_DEP_2) | instskip(SKIP_2) | instid1(VALU_DEP_2)
	v_cmp_gt_i32_e32 vcc_lo, 16, v11
	v_min_i32_e32 v13, 15, v11
	v_lshrrev_b32_e32 v10, 24, v10
	v_dual_cndmask_b32 v12, 7, v12 :: v_dual_lshlrev_b32 v13, 3, v13
	s_delay_alu instid0(VALU_DEP_2) | instskip(NEXT) | instid1(VALU_DEP_2)
	v_and_b32_e32 v10, 0x80, v10
	v_or_b32_e32 v11, v11, v12
	v_and_b32_e32 v14, 7, v12
	s_delay_alu instid0(VALU_DEP_2) | instskip(SKIP_1) | instid1(VALU_DEP_1)
	v_cmp_ne_u32_e32 vcc_lo, 0, v11
	v_and_b32_e32 v13, 0xf8, v13
	v_or3_b32 v10, v10, v13, v14
	s_delay_alu instid0(VALU_DEP_1) | instskip(NEXT) | instid1(VALU_DEP_1)
	v_lshlrev_b32_e32 v10, 8, v10
	v_cndmask_b32_e32 v100, 0, v10, vcc_lo
.LBB4_3375:                             ;   in Loop: Header=BB4_2983 Depth=2
	s_or_b32 exec_lo, exec_lo, s24
.LBB4_3376:                             ;   in Loop: Header=BB4_2983 Depth=2
	s_delay_alu instid0(SALU_CYCLE_1)
	s_or_b32 exec_lo, exec_lo, s23
	s_clause 0x1
	global_load_b128 v[14:17], v[50:51], off slc dlc
	global_load_b128 v[10:13], v[50:51], off offset:512 slc dlc
	v_and_b32_e32 v160, 0xff, v87
	s_mov_b32 s7, 0
	s_mov_b32 s24, exec_lo
                                        ; implicit-def: $sgpr23
	s_delay_alu instid0(VALU_DEP_1)
	v_cmpx_lt_i16_e64 0x7f, v160
	s_xor_b32 s24, exec_lo, s24
	s_cbranch_execnz .LBB4_4014
; %bb.3377:                             ;   in Loop: Header=BB4_2983 Depth=2
	s_or_saveexec_b32 s24, s24
	v_mov_b32_e32 v151, s23
	s_xor_b32 exec_lo, exec_lo, s24
	s_cbranch_execnz .LBB4_4017
.LBB4_3378:                             ;   in Loop: Header=BB4_2983 Depth=2
	s_or_b32 exec_lo, exec_lo, s24
	s_and_saveexec_b32 s23, s7
	s_cbranch_execz .LBB4_3380
.LBB4_3379:                             ;   in Loop: Header=BB4_2983 Depth=2
	v_bfe_u32 v162, v87, 3, 4
	s_delay_alu instid0(VALU_DEP_1) | instskip(SKIP_1) | instid1(VALU_DEP_1)
	v_cmp_eq_u32_e32 vcc_lo, 0, v162
	v_and_b32_e32 v151, 7, v87
	v_clz_i32_u32_e32 v160, v151
	s_delay_alu instid0(VALU_DEP_1) | instskip(NEXT) | instid1(VALU_DEP_1)
	v_min_u32_e32 v160, 32, v160
	v_subrev_nc_u32_e32 v161, 28, v160
	v_sub_nc_u32_e32 v160, 29, v160
	s_delay_alu instid0(VALU_DEP_1) | instskip(SKIP_1) | instid1(VALU_DEP_2)
	v_dual_cndmask_b32 v160, v162, v160 :: v_dual_lshlrev_b32 v161, v161, v87
	v_lshlrev_b32_e32 v87, 24, v87
	v_and_b32_e32 v161, 7, v161
	s_delay_alu instid0(VALU_DEP_3) | instskip(NEXT) | instid1(VALU_DEP_3)
	v_lshl_add_u32 v160, v160, 23, 0x3b800000
	v_and_b32_e32 v87, 0x80000000, v87
	s_delay_alu instid0(VALU_DEP_3) | instskip(NEXT) | instid1(VALU_DEP_1)
	v_cndmask_b32_e32 v151, v151, v161, vcc_lo
	v_lshlrev_b32_e32 v151, 20, v151
	s_delay_alu instid0(VALU_DEP_1)
	v_or3_b32 v151, v87, v160, v151
.LBB4_3380:                             ;   in Loop: Header=BB4_2983 Depth=2
	s_or_b32 exec_lo, exec_lo, s23
	s_waitcnt vmcnt(1)
	v_and_b32_e32 v160, 0xff, v14
	s_mov_b32 s7, 0
	s_mov_b32 s24, exec_lo
                                        ; implicit-def: $sgpr23
	s_delay_alu instid0(VALU_DEP_1)
	v_cmpx_lt_i16_e64 0x7f, v160
	s_xor_b32 s24, exec_lo, s24
	s_cbranch_execnz .LBB4_4018
; %bb.3381:                             ;   in Loop: Header=BB4_2983 Depth=2
	s_or_saveexec_b32 s24, s24
	v_mov_b32_e32 v87, s23
	s_xor_b32 exec_lo, exec_lo, s24
	s_cbranch_execnz .LBB4_4021
.LBB4_3382:                             ;   in Loop: Header=BB4_2983 Depth=2
	s_or_b32 exec_lo, exec_lo, s24
	s_and_saveexec_b32 s23, s7
	s_cbranch_execz .LBB4_3384
.LBB4_3383:                             ;   in Loop: Header=BB4_2983 Depth=2
	v_bfe_u32 v162, v14, 3, 4
	v_lshlrev_b32_e32 v163, 24, v14
	s_delay_alu instid0(VALU_DEP_2) | instskip(SKIP_1) | instid1(VALU_DEP_1)
	v_cmp_eq_u32_e32 vcc_lo, 0, v162
	v_and_b32_e32 v87, 7, v14
	v_clz_i32_u32_e32 v160, v87
	s_delay_alu instid0(VALU_DEP_1) | instskip(NEXT) | instid1(VALU_DEP_1)
	v_min_u32_e32 v160, 32, v160
	v_subrev_nc_u32_e32 v161, 28, v160
	v_sub_nc_u32_e32 v160, 29, v160
	s_delay_alu instid0(VALU_DEP_1) | instskip(NEXT) | instid1(VALU_DEP_1)
	v_dual_cndmask_b32 v160, v162, v160 :: v_dual_lshlrev_b32 v161, v161, v14
	v_and_b32_e32 v161, 7, v161
	s_delay_alu instid0(VALU_DEP_2) | instskip(NEXT) | instid1(VALU_DEP_2)
	v_lshl_add_u32 v160, v160, 23, 0x3b800000
	v_cndmask_b32_e32 v87, v87, v161, vcc_lo
	v_and_b32_e32 v161, 0x80000000, v163
	s_delay_alu instid0(VALU_DEP_2) | instskip(NEXT) | instid1(VALU_DEP_1)
	v_lshlrev_b32_e32 v87, 20, v87
	v_or3_b32 v87, v161, v160, v87
.LBB4_3384:                             ;   in Loop: Header=BB4_2983 Depth=2
	s_or_b32 exec_lo, exec_lo, s23
	s_delay_alu instid0(VALU_DEP_1) | instskip(NEXT) | instid1(VALU_DEP_1)
	v_add_f32_e32 v151, v151, v87
	v_and_b32_e32 v87, 0x7f800000, v151
	s_delay_alu instid0(VALU_DEP_1)
	v_cmp_ne_u32_e32 vcc_lo, 0x7f800000, v87
	v_mov_b32_e32 v87, 0x80
	s_and_saveexec_b32 s23, vcc_lo
	s_cbranch_execz .LBB4_3392
; %bb.3385:                             ;   in Loop: Header=BB4_2983 Depth=2
	v_mov_b32_e32 v87, 0
	s_mov_b32 s24, exec_lo
	v_cmpx_ne_u32_e32 0, v151
	s_cbranch_execz .LBB4_3391
; %bb.3386:                             ;   in Loop: Header=BB4_2983 Depth=2
	v_bfe_u32 v87, v151, 23, 8
	s_delay_alu instid0(VALU_DEP_1) | instskip(SKIP_1) | instid1(VALU_DEP_2)
	v_sub_nc_u32_e32 v161, 0x78, v87
	v_cmp_gt_u32_e32 vcc_lo, 0x79, v87
	v_dual_cndmask_b32 v161, 0, v161 :: v_dual_and_b32 v160, 0x7fffff, v151
	s_delay_alu instid0(VALU_DEP_1) | instskip(SKIP_2) | instid1(VALU_DEP_4)
	v_or_b32_e32 v162, 0x800000, v160
	v_cmp_eq_u32_e32 vcc_lo, 0, v87
	v_add_nc_u32_e32 v87, 0xffffff89, v87
	v_cndmask_b32_e64 v161, v161, 0x77, vcc_lo
	s_delay_alu instid0(VALU_DEP_4) | instskip(NEXT) | instid1(VALU_DEP_3)
	v_cndmask_b32_e32 v160, v162, v160, vcc_lo
	v_cndmask_b32_e64 v87, v87, 0xffffff8a, vcc_lo
	s_delay_alu instid0(VALU_DEP_3) | instskip(NEXT) | instid1(VALU_DEP_3)
	v_lshl_add_u32 v162, 0x100000, v161, -1
	v_lshrrev_b32_e32 v163, v161, v160
	v_lshlrev_b32_e64 v165, v161, 0x80000
	s_delay_alu instid0(VALU_DEP_4) | instskip(NEXT) | instid1(VALU_DEP_4)
	v_add_nc_u32_e32 v161, v161, v87
	v_and_b32_e32 v160, v162, v160
	s_delay_alu instid0(VALU_DEP_4) | instskip(NEXT) | instid1(VALU_DEP_2)
	v_bfe_u32 v164, v163, 20, 1
	v_cmp_eq_u32_e64 s7, v160, v165
	s_delay_alu instid0(VALU_DEP_2) | instskip(NEXT) | instid1(VALU_DEP_1)
	v_add_nc_u32_e32 v162, -1, v164
	v_cndmask_b32_e64 v160, 0, v162, s7
	v_lshrrev_b32_e32 v162, 23, v163
	s_mov_b32 s7, exec_lo
	s_delay_alu instid0(VALU_DEP_2) | instskip(NEXT) | instid1(VALU_DEP_2)
	v_add_nc_u32_e32 v160, v160, v163
	v_xor_b32_e32 v162, 1, v162
	s_delay_alu instid0(VALU_DEP_2) | instskip(NEXT) | instid1(VALU_DEP_1)
	v_and_b32_e32 v87, 0xfffff, v160
	v_add_nc_u32_e32 v160, v87, v163
                                        ; implicit-def: $vgpr87
	s_delay_alu instid0(VALU_DEP_3)
	v_cmpx_ne_u32_e64 v161, v162
	s_xor_b32 s7, exec_lo, s7
; %bb.3387:                             ;   in Loop: Header=BB4_2983 Depth=2
	s_delay_alu instid0(VALU_DEP_2) | instskip(SKIP_2) | instid1(VALU_DEP_2)
	v_cmp_lt_u32_e32 vcc_lo, 0xffffff, v160
	v_sub_nc_u32_e32 v87, v161, v162
	v_cndmask_b32_e64 v161, 0, 1, vcc_lo
	v_add_co_ci_u32_e32 v87, vcc_lo, 0, v87, vcc_lo
	s_delay_alu instid0(VALU_DEP_2)
	v_lshrrev_b32_e32 v160, v161, v160
; %bb.3388:                             ;   in Loop: Header=BB4_2983 Depth=2
	s_and_not1_saveexec_b32 s7, s7
; %bb.3389:                             ;   in Loop: Header=BB4_2983 Depth=2
	s_delay_alu instid0(VALU_DEP_1)
	v_bfe_u32 v87, v160, 23, 1
; %bb.3390:                             ;   in Loop: Header=BB4_2983 Depth=2
	s_or_b32 exec_lo, exec_lo, s7
	v_lshrrev_b32_e32 v160, 20, v160
	s_delay_alu instid0(VALU_DEP_2) | instskip(SKIP_2) | instid1(VALU_DEP_2)
	v_cmp_gt_i32_e32 vcc_lo, 16, v87
	v_lshrrev_b32_e32 v151, 24, v151
	v_min_i32_e32 v161, 15, v87
	v_dual_cndmask_b32 v160, 7, v160 :: v_dual_and_b32 v151, 0x80, v151
	s_delay_alu instid0(VALU_DEP_2) | instskip(NEXT) | instid1(VALU_DEP_2)
	v_lshlrev_b32_e32 v161, 3, v161
	v_or_b32_e32 v87, v87, v160
	s_delay_alu instid0(VALU_DEP_1) | instskip(SKIP_1) | instid1(VALU_DEP_1)
	v_cmp_ne_u32_e32 vcc_lo, 0, v87
	v_and_b32_e32 v162, 7, v160
	v_or3_b32 v151, v161, v151, v162
	s_delay_alu instid0(VALU_DEP_1)
	v_cndmask_b32_e32 v87, 0, v151, vcc_lo
.LBB4_3391:                             ;   in Loop: Header=BB4_2983 Depth=2
	s_or_b32 exec_lo, exec_lo, s24
.LBB4_3392:                             ;   in Loop: Header=BB4_2983 Depth=2
	s_delay_alu instid0(SALU_CYCLE_1) | instskip(SKIP_3) | instid1(VALU_DEP_1)
	s_or_b32 exec_lo, exec_lo, s23
	v_and_b32_e32 v160, 0xff, v99
	s_mov_b32 s7, 0
	s_mov_b32 s24, exec_lo
                                        ; implicit-def: $sgpr23
	v_cmpx_lt_i16_e64 0x7f, v160
	s_xor_b32 s24, exec_lo, s24
	s_cbranch_execnz .LBB4_4022
; %bb.3393:                             ;   in Loop: Header=BB4_2983 Depth=2
	s_or_saveexec_b32 s24, s24
	v_mov_b32_e32 v151, s23
	s_xor_b32 exec_lo, exec_lo, s24
	s_cbranch_execnz .LBB4_4025
.LBB4_3394:                             ;   in Loop: Header=BB4_2983 Depth=2
	s_or_b32 exec_lo, exec_lo, s24
	s_and_saveexec_b32 s23, s7
	s_cbranch_execz .LBB4_3396
.LBB4_3395:                             ;   in Loop: Header=BB4_2983 Depth=2
	v_bfe_u32 v162, v99, 3, 4
	s_delay_alu instid0(VALU_DEP_1) | instskip(SKIP_1) | instid1(VALU_DEP_1)
	v_cmp_eq_u32_e32 vcc_lo, 0, v162
	v_and_b32_e32 v151, 7, v99
	v_clz_i32_u32_e32 v160, v151
	s_delay_alu instid0(VALU_DEP_1) | instskip(NEXT) | instid1(VALU_DEP_1)
	v_min_u32_e32 v160, 32, v160
	v_subrev_nc_u32_e32 v161, 28, v160
	v_sub_nc_u32_e32 v160, 29, v160
	s_delay_alu instid0(VALU_DEP_1) | instskip(SKIP_1) | instid1(VALU_DEP_2)
	v_dual_cndmask_b32 v160, v162, v160 :: v_dual_lshlrev_b32 v161, v161, v99
	v_lshlrev_b32_e32 v99, 24, v99
	v_and_b32_e32 v161, 7, v161
	s_delay_alu instid0(VALU_DEP_3) | instskip(NEXT) | instid1(VALU_DEP_3)
	v_lshl_add_u32 v160, v160, 23, 0x3b800000
	v_and_b32_e32 v99, 0x80000000, v99
	s_delay_alu instid0(VALU_DEP_3) | instskip(NEXT) | instid1(VALU_DEP_1)
	v_cndmask_b32_e32 v151, v151, v161, vcc_lo
	v_lshlrev_b32_e32 v151, 20, v151
	s_delay_alu instid0(VALU_DEP_1)
	v_or3_b32 v151, v99, v160, v151
.LBB4_3396:                             ;   in Loop: Header=BB4_2983 Depth=2
	s_or_b32 exec_lo, exec_lo, s23
	v_lshrrev_b16 v99, 8, v14
	s_mov_b32 s7, 0
	s_mov_b32 s24, exec_lo
                                        ; implicit-def: $sgpr23
	s_delay_alu instid0(VALU_DEP_1)
	v_cmpx_lt_i16_e32 0x7f, v99
	s_xor_b32 s24, exec_lo, s24
	s_cbranch_execnz .LBB4_4026
; %bb.3397:                             ;   in Loop: Header=BB4_2983 Depth=2
	s_or_saveexec_b32 s24, s24
	v_mov_b32_e32 v160, s23
	s_xor_b32 exec_lo, exec_lo, s24
	s_cbranch_execnz .LBB4_4029
.LBB4_3398:                             ;   in Loop: Header=BB4_2983 Depth=2
	s_or_b32 exec_lo, exec_lo, s24
	s_and_saveexec_b32 s23, s7
	s_cbranch_execz .LBB4_3400
.LBB4_3399:                             ;   in Loop: Header=BB4_2983 Depth=2
	v_and_b32_e32 v160, 0xffff, v99
	v_lshlrev_b32_e32 v99, 24, v99
	s_delay_alu instid0(VALU_DEP_2) | instskip(NEXT) | instid1(VALU_DEP_2)
	v_and_b32_e32 v161, 7, v160
	v_and_b32_e32 v99, 0x80000000, v99
	s_delay_alu instid0(VALU_DEP_2) | instskip(NEXT) | instid1(VALU_DEP_1)
	v_clz_i32_u32_e32 v162, v161
	v_min_u32_e32 v162, 32, v162
	s_delay_alu instid0(VALU_DEP_1) | instskip(SKIP_1) | instid1(VALU_DEP_2)
	v_subrev_nc_u32_e32 v163, 28, v162
	v_sub_nc_u32_e32 v162, 29, v162
	v_lshlrev_b32_e32 v163, v163, v160
	v_bfe_u32 v160, v160, 3, 4
	s_delay_alu instid0(VALU_DEP_2) | instskip(NEXT) | instid1(VALU_DEP_2)
	v_and_b32_e32 v163, 7, v163
	v_cmp_eq_u32_e32 vcc_lo, 0, v160
	s_delay_alu instid0(VALU_DEP_2) | instskip(NEXT) | instid1(VALU_DEP_1)
	v_dual_cndmask_b32 v160, v160, v162 :: v_dual_cndmask_b32 v161, v161, v163
	v_lshl_add_u32 v160, v160, 23, 0x3b800000
	s_delay_alu instid0(VALU_DEP_2) | instskip(NEXT) | instid1(VALU_DEP_1)
	v_lshlrev_b32_e32 v161, 20, v161
	v_or3_b32 v160, v99, v160, v161
.LBB4_3400:                             ;   in Loop: Header=BB4_2983 Depth=2
	s_or_b32 exec_lo, exec_lo, s23
	s_delay_alu instid0(VALU_DEP_1) | instskip(NEXT) | instid1(VALU_DEP_1)
	v_add_f32_e32 v151, v151, v160
	v_and_b32_e32 v99, 0x7f800000, v151
	s_delay_alu instid0(VALU_DEP_1)
	v_cmp_ne_u32_e32 vcc_lo, 0x7f800000, v99
	v_mov_b32_e32 v99, 0x80
	s_and_saveexec_b32 s23, vcc_lo
	s_cbranch_execz .LBB4_3408
; %bb.3401:                             ;   in Loop: Header=BB4_2983 Depth=2
	v_mov_b32_e32 v99, 0
	s_mov_b32 s24, exec_lo
	v_cmpx_ne_u32_e32 0, v151
	s_cbranch_execz .LBB4_3407
; %bb.3402:                             ;   in Loop: Header=BB4_2983 Depth=2
	v_bfe_u32 v99, v151, 23, 8
	s_delay_alu instid0(VALU_DEP_1) | instskip(SKIP_1) | instid1(VALU_DEP_2)
	v_sub_nc_u32_e32 v161, 0x78, v99
	v_cmp_gt_u32_e32 vcc_lo, 0x79, v99
	v_dual_cndmask_b32 v161, 0, v161 :: v_dual_and_b32 v160, 0x7fffff, v151
	s_delay_alu instid0(VALU_DEP_1) | instskip(SKIP_2) | instid1(VALU_DEP_4)
	v_or_b32_e32 v162, 0x800000, v160
	v_cmp_eq_u32_e32 vcc_lo, 0, v99
	v_add_nc_u32_e32 v99, 0xffffff89, v99
	v_cndmask_b32_e64 v161, v161, 0x77, vcc_lo
	s_delay_alu instid0(VALU_DEP_4) | instskip(NEXT) | instid1(VALU_DEP_3)
	v_cndmask_b32_e32 v160, v162, v160, vcc_lo
	v_cndmask_b32_e64 v99, v99, 0xffffff8a, vcc_lo
	s_delay_alu instid0(VALU_DEP_3) | instskip(NEXT) | instid1(VALU_DEP_3)
	v_lshl_add_u32 v162, 0x100000, v161, -1
	v_lshrrev_b32_e32 v163, v161, v160
	v_lshlrev_b32_e64 v165, v161, 0x80000
	s_delay_alu instid0(VALU_DEP_4) | instskip(NEXT) | instid1(VALU_DEP_4)
	v_add_nc_u32_e32 v161, v161, v99
	v_and_b32_e32 v160, v162, v160
	s_delay_alu instid0(VALU_DEP_4) | instskip(NEXT) | instid1(VALU_DEP_2)
	v_bfe_u32 v164, v163, 20, 1
	v_cmp_eq_u32_e64 s7, v160, v165
	s_delay_alu instid0(VALU_DEP_2) | instskip(NEXT) | instid1(VALU_DEP_1)
	v_add_nc_u32_e32 v162, -1, v164
	v_cndmask_b32_e64 v160, 0, v162, s7
	v_lshrrev_b32_e32 v162, 23, v163
	s_mov_b32 s7, exec_lo
	s_delay_alu instid0(VALU_DEP_2) | instskip(NEXT) | instid1(VALU_DEP_2)
	v_add_nc_u32_e32 v160, v160, v163
	v_xor_b32_e32 v162, 1, v162
	s_delay_alu instid0(VALU_DEP_2) | instskip(NEXT) | instid1(VALU_DEP_1)
	v_and_b32_e32 v99, 0xfffff, v160
	v_add_nc_u32_e32 v160, v99, v163
                                        ; implicit-def: $vgpr99
	s_delay_alu instid0(VALU_DEP_3)
	v_cmpx_ne_u32_e64 v161, v162
	s_xor_b32 s7, exec_lo, s7
; %bb.3403:                             ;   in Loop: Header=BB4_2983 Depth=2
	s_delay_alu instid0(VALU_DEP_2) | instskip(SKIP_2) | instid1(VALU_DEP_2)
	v_cmp_lt_u32_e32 vcc_lo, 0xffffff, v160
	v_sub_nc_u32_e32 v99, v161, v162
	v_cndmask_b32_e64 v161, 0, 1, vcc_lo
	v_add_co_ci_u32_e32 v99, vcc_lo, 0, v99, vcc_lo
	s_delay_alu instid0(VALU_DEP_2)
	v_lshrrev_b32_e32 v160, v161, v160
; %bb.3404:                             ;   in Loop: Header=BB4_2983 Depth=2
	s_and_not1_saveexec_b32 s7, s7
; %bb.3405:                             ;   in Loop: Header=BB4_2983 Depth=2
	s_delay_alu instid0(VALU_DEP_1)
	v_bfe_u32 v99, v160, 23, 1
; %bb.3406:                             ;   in Loop: Header=BB4_2983 Depth=2
	s_or_b32 exec_lo, exec_lo, s7
	v_lshrrev_b32_e32 v160, 20, v160
	s_delay_alu instid0(VALU_DEP_2) | instskip(SKIP_2) | instid1(VALU_DEP_2)
	v_cmp_gt_i32_e32 vcc_lo, 16, v99
	v_lshrrev_b32_e32 v151, 24, v151
	v_min_i32_e32 v161, 15, v99
	v_dual_cndmask_b32 v160, 7, v160 :: v_dual_and_b32 v151, 0x80, v151
	s_delay_alu instid0(VALU_DEP_2) | instskip(NEXT) | instid1(VALU_DEP_2)
	v_lshlrev_b32_e32 v161, 3, v161
	v_or_b32_e32 v99, v99, v160
	s_delay_alu instid0(VALU_DEP_1) | instskip(SKIP_1) | instid1(VALU_DEP_1)
	v_cmp_ne_u32_e32 vcc_lo, 0, v99
	v_and_b32_e32 v162, 7, v160
	v_or3_b32 v151, v161, v151, v162
	s_delay_alu instid0(VALU_DEP_1)
	v_cndmask_b32_e32 v99, 0, v151, vcc_lo
.LBB4_3407:                             ;   in Loop: Header=BB4_2983 Depth=2
	s_or_b32 exec_lo, exec_lo, s24
.LBB4_3408:                             ;   in Loop: Header=BB4_2983 Depth=2
	s_delay_alu instid0(SALU_CYCLE_1) | instskip(SKIP_3) | instid1(VALU_DEP_1)
	s_or_b32 exec_lo, exec_lo, s23
	v_and_b32_e32 v160, 0xff, v113
	s_mov_b32 s7, 0
	s_mov_b32 s24, exec_lo
                                        ; implicit-def: $sgpr23
	v_cmpx_lt_i16_e64 0x7f, v160
	s_xor_b32 s24, exec_lo, s24
	s_cbranch_execnz .LBB4_4030
; %bb.3409:                             ;   in Loop: Header=BB4_2983 Depth=2
	s_or_saveexec_b32 s24, s24
	v_mov_b32_e32 v151, s23
	s_xor_b32 exec_lo, exec_lo, s24
	s_cbranch_execnz .LBB4_4033
.LBB4_3410:                             ;   in Loop: Header=BB4_2983 Depth=2
	s_or_b32 exec_lo, exec_lo, s24
	s_and_saveexec_b32 s23, s7
	s_cbranch_execz .LBB4_3412
.LBB4_3411:                             ;   in Loop: Header=BB4_2983 Depth=2
	v_bfe_u32 v162, v113, 3, 4
	s_delay_alu instid0(VALU_DEP_1) | instskip(SKIP_1) | instid1(VALU_DEP_1)
	v_cmp_eq_u32_e32 vcc_lo, 0, v162
	v_and_b32_e32 v151, 7, v113
	v_clz_i32_u32_e32 v160, v151
	s_delay_alu instid0(VALU_DEP_1) | instskip(NEXT) | instid1(VALU_DEP_1)
	v_min_u32_e32 v160, 32, v160
	v_subrev_nc_u32_e32 v161, 28, v160
	v_sub_nc_u32_e32 v160, 29, v160
	s_delay_alu instid0(VALU_DEP_1) | instskip(SKIP_1) | instid1(VALU_DEP_2)
	v_dual_cndmask_b32 v160, v162, v160 :: v_dual_lshlrev_b32 v161, v161, v113
	v_lshlrev_b32_e32 v113, 24, v113
	v_and_b32_e32 v161, 7, v161
	s_delay_alu instid0(VALU_DEP_3) | instskip(NEXT) | instid1(VALU_DEP_3)
	v_lshl_add_u32 v160, v160, 23, 0x3b800000
	v_and_b32_e32 v113, 0x80000000, v113
	s_delay_alu instid0(VALU_DEP_3) | instskip(NEXT) | instid1(VALU_DEP_1)
	v_cndmask_b32_e32 v151, v151, v161, vcc_lo
	v_lshlrev_b32_e32 v151, 20, v151
	s_delay_alu instid0(VALU_DEP_1)
	v_or3_b32 v151, v113, v160, v151
.LBB4_3412:                             ;   in Loop: Header=BB4_2983 Depth=2
	s_or_b32 exec_lo, exec_lo, s23
	v_lshrrev_b32_e32 v113, 16, v14
	s_mov_b32 s7, 0
	s_mov_b32 s24, exec_lo
                                        ; implicit-def: $sgpr23
	s_delay_alu instid0(VALU_DEP_1) | instskip(NEXT) | instid1(VALU_DEP_1)
	v_and_b32_e32 v161, 0xff, v113
	v_cmpx_lt_i16_e64 0x7f, v161
	s_xor_b32 s24, exec_lo, s24
	s_cbranch_execnz .LBB4_4034
; %bb.3413:                             ;   in Loop: Header=BB4_2983 Depth=2
	s_or_saveexec_b32 s24, s24
	v_mov_b32_e32 v160, s23
	s_xor_b32 exec_lo, exec_lo, s24
	s_cbranch_execnz .LBB4_4037
.LBB4_3414:                             ;   in Loop: Header=BB4_2983 Depth=2
	s_or_b32 exec_lo, exec_lo, s24
	s_and_saveexec_b32 s23, s7
	s_cbranch_execz .LBB4_3416
.LBB4_3415:                             ;   in Loop: Header=BB4_2983 Depth=2
	v_bfe_u32 v160, v14, 16, 3
	v_lshlrev_b32_e32 v163, 8, v14
	s_delay_alu instid0(VALU_DEP_2) | instskip(NEXT) | instid1(VALU_DEP_1)
	v_clz_i32_u32_e32 v161, v160
	v_min_u32_e32 v161, 32, v161
	s_delay_alu instid0(VALU_DEP_1) | instskip(SKIP_1) | instid1(VALU_DEP_2)
	v_subrev_nc_u32_e32 v162, 28, v161
	v_sub_nc_u32_e32 v161, 29, v161
	v_lshlrev_b32_e32 v113, v162, v113
	v_bfe_u32 v162, v14, 19, 4
	s_delay_alu instid0(VALU_DEP_2) | instskip(NEXT) | instid1(VALU_DEP_2)
	v_and_b32_e32 v113, 7, v113
	v_cmp_eq_u32_e32 vcc_lo, 0, v162
	v_cndmask_b32_e32 v161, v162, v161, vcc_lo
	s_delay_alu instid0(VALU_DEP_3) | instskip(NEXT) | instid1(VALU_DEP_2)
	v_dual_cndmask_b32 v113, v160, v113 :: v_dual_and_b32 v160, 0x80000000, v163
	v_lshl_add_u32 v161, v161, 23, 0x3b800000
	s_delay_alu instid0(VALU_DEP_2) | instskip(NEXT) | instid1(VALU_DEP_1)
	v_lshlrev_b32_e32 v113, 20, v113
	v_or3_b32 v160, v160, v161, v113
.LBB4_3416:                             ;   in Loop: Header=BB4_2983 Depth=2
	s_or_b32 exec_lo, exec_lo, s23
	s_delay_alu instid0(VALU_DEP_1) | instskip(NEXT) | instid1(VALU_DEP_1)
	v_add_f32_e32 v151, v151, v160
	v_and_b32_e32 v113, 0x7f800000, v151
	s_delay_alu instid0(VALU_DEP_1)
	v_cmp_ne_u32_e32 vcc_lo, 0x7f800000, v113
	v_mov_b32_e32 v113, 0x80
	s_and_saveexec_b32 s23, vcc_lo
	s_cbranch_execz .LBB4_3424
; %bb.3417:                             ;   in Loop: Header=BB4_2983 Depth=2
	v_mov_b32_e32 v113, 0
	s_mov_b32 s24, exec_lo
	v_cmpx_ne_u32_e32 0, v151
	s_cbranch_execz .LBB4_3423
; %bb.3418:                             ;   in Loop: Header=BB4_2983 Depth=2
	v_bfe_u32 v113, v151, 23, 8
	s_delay_alu instid0(VALU_DEP_1) | instskip(SKIP_1) | instid1(VALU_DEP_2)
	v_sub_nc_u32_e32 v161, 0x78, v113
	v_cmp_gt_u32_e32 vcc_lo, 0x79, v113
	v_dual_cndmask_b32 v161, 0, v161 :: v_dual_and_b32 v160, 0x7fffff, v151
	s_delay_alu instid0(VALU_DEP_1) | instskip(SKIP_2) | instid1(VALU_DEP_4)
	v_or_b32_e32 v162, 0x800000, v160
	v_cmp_eq_u32_e32 vcc_lo, 0, v113
	v_add_nc_u32_e32 v113, 0xffffff89, v113
	v_cndmask_b32_e64 v161, v161, 0x77, vcc_lo
	s_delay_alu instid0(VALU_DEP_4) | instskip(NEXT) | instid1(VALU_DEP_3)
	v_cndmask_b32_e32 v160, v162, v160, vcc_lo
	v_cndmask_b32_e64 v113, v113, 0xffffff8a, vcc_lo
	s_delay_alu instid0(VALU_DEP_3) | instskip(NEXT) | instid1(VALU_DEP_3)
	v_lshl_add_u32 v162, 0x100000, v161, -1
	v_lshrrev_b32_e32 v163, v161, v160
	v_lshlrev_b32_e64 v165, v161, 0x80000
	s_delay_alu instid0(VALU_DEP_4) | instskip(NEXT) | instid1(VALU_DEP_4)
	v_add_nc_u32_e32 v161, v161, v113
	v_and_b32_e32 v160, v162, v160
	s_delay_alu instid0(VALU_DEP_4) | instskip(NEXT) | instid1(VALU_DEP_2)
	v_bfe_u32 v164, v163, 20, 1
	v_cmp_eq_u32_e64 s7, v160, v165
	s_delay_alu instid0(VALU_DEP_2) | instskip(NEXT) | instid1(VALU_DEP_1)
	v_add_nc_u32_e32 v162, -1, v164
	v_cndmask_b32_e64 v160, 0, v162, s7
	v_lshrrev_b32_e32 v162, 23, v163
	s_mov_b32 s7, exec_lo
	s_delay_alu instid0(VALU_DEP_2) | instskip(NEXT) | instid1(VALU_DEP_2)
	v_add_nc_u32_e32 v160, v160, v163
	v_xor_b32_e32 v162, 1, v162
	s_delay_alu instid0(VALU_DEP_2) | instskip(NEXT) | instid1(VALU_DEP_1)
	v_and_b32_e32 v113, 0xfffff, v160
	v_add_nc_u32_e32 v160, v113, v163
                                        ; implicit-def: $vgpr113
	s_delay_alu instid0(VALU_DEP_3)
	v_cmpx_ne_u32_e64 v161, v162
	s_xor_b32 s7, exec_lo, s7
; %bb.3419:                             ;   in Loop: Header=BB4_2983 Depth=2
	s_delay_alu instid0(VALU_DEP_2) | instskip(SKIP_2) | instid1(VALU_DEP_2)
	v_cmp_lt_u32_e32 vcc_lo, 0xffffff, v160
	v_sub_nc_u32_e32 v113, v161, v162
	v_cndmask_b32_e64 v161, 0, 1, vcc_lo
	v_add_co_ci_u32_e32 v113, vcc_lo, 0, v113, vcc_lo
	s_delay_alu instid0(VALU_DEP_2)
	v_lshrrev_b32_e32 v160, v161, v160
; %bb.3420:                             ;   in Loop: Header=BB4_2983 Depth=2
	s_and_not1_saveexec_b32 s7, s7
; %bb.3421:                             ;   in Loop: Header=BB4_2983 Depth=2
	s_delay_alu instid0(VALU_DEP_1)
	v_bfe_u32 v113, v160, 23, 1
; %bb.3422:                             ;   in Loop: Header=BB4_2983 Depth=2
	s_or_b32 exec_lo, exec_lo, s7
	v_lshrrev_b32_e32 v160, 20, v160
	s_delay_alu instid0(VALU_DEP_2) | instskip(SKIP_2) | instid1(VALU_DEP_2)
	v_cmp_gt_i32_e32 vcc_lo, 16, v113
	v_lshrrev_b32_e32 v151, 24, v151
	v_min_i32_e32 v161, 15, v113
	v_dual_cndmask_b32 v160, 7, v160 :: v_dual_and_b32 v151, 0x80, v151
	s_delay_alu instid0(VALU_DEP_2) | instskip(NEXT) | instid1(VALU_DEP_2)
	v_lshlrev_b32_e32 v161, 3, v161
	v_or_b32_e32 v113, v113, v160
	s_delay_alu instid0(VALU_DEP_1) | instskip(SKIP_1) | instid1(VALU_DEP_1)
	v_cmp_ne_u32_e32 vcc_lo, 0, v113
	v_and_b32_e32 v162, 7, v160
	v_or3_b32 v151, v161, v151, v162
	s_delay_alu instid0(VALU_DEP_1)
	v_cndmask_b32_e32 v113, 0, v151, vcc_lo
.LBB4_3423:                             ;   in Loop: Header=BB4_2983 Depth=2
	s_or_b32 exec_lo, exec_lo, s24
.LBB4_3424:                             ;   in Loop: Header=BB4_2983 Depth=2
	s_delay_alu instid0(SALU_CYCLE_1) | instskip(SKIP_3) | instid1(VALU_DEP_1)
	s_or_b32 exec_lo, exec_lo, s23
	v_and_b32_e32 v160, 0xff, v131
	s_mov_b32 s7, 0
	s_mov_b32 s24, exec_lo
                                        ; implicit-def: $sgpr23
	v_cmpx_lt_i16_e64 0x7f, v160
	s_xor_b32 s24, exec_lo, s24
	s_cbranch_execnz .LBB4_4038
; %bb.3425:                             ;   in Loop: Header=BB4_2983 Depth=2
	s_or_saveexec_b32 s24, s24
	v_mov_b32_e32 v151, s23
	s_xor_b32 exec_lo, exec_lo, s24
	s_cbranch_execnz .LBB4_4041
.LBB4_3426:                             ;   in Loop: Header=BB4_2983 Depth=2
	s_or_b32 exec_lo, exec_lo, s24
	s_and_saveexec_b32 s23, s7
	s_cbranch_execz .LBB4_3428
.LBB4_3427:                             ;   in Loop: Header=BB4_2983 Depth=2
	v_lshlrev_b32_e32 v131, 8, v131
	s_delay_alu instid0(VALU_DEP_1) | instskip(SKIP_1) | instid1(VALU_DEP_2)
	v_and_b32_e32 v151, 0xff00, v131
	v_bfe_u32 v131, v131, 11, 4
	v_bfe_u32 v161, v151, 8, 3
	s_delay_alu instid0(VALU_DEP_2) | instskip(SKIP_1) | instid1(VALU_DEP_3)
	v_cmp_eq_u32_e32 vcc_lo, 0, v131
	v_lshlrev_b32_e32 v151, 16, v151
	v_clz_i32_u32_e32 v162, v161
	s_delay_alu instid0(VALU_DEP_2) | instskip(NEXT) | instid1(VALU_DEP_2)
	v_and_b32_e32 v151, 0x80000000, v151
	v_min_u32_e32 v162, 32, v162
	s_delay_alu instid0(VALU_DEP_1) | instskip(SKIP_1) | instid1(VALU_DEP_2)
	v_subrev_nc_u32_e32 v163, 28, v162
	v_sub_nc_u32_e32 v162, 29, v162
	v_lshlrev_b32_e32 v160, v163, v160
	s_delay_alu instid0(VALU_DEP_1) | instskip(NEXT) | instid1(VALU_DEP_1)
	v_dual_cndmask_b32 v131, v131, v162 :: v_dual_and_b32 v160, 7, v160
	v_lshl_add_u32 v131, v131, 23, 0x3b800000
	s_delay_alu instid0(VALU_DEP_2) | instskip(NEXT) | instid1(VALU_DEP_1)
	v_cndmask_b32_e32 v160, v161, v160, vcc_lo
	v_lshlrev_b32_e32 v160, 20, v160
	s_delay_alu instid0(VALU_DEP_1)
	v_or3_b32 v151, v151, v131, v160
.LBB4_3428:                             ;   in Loop: Header=BB4_2983 Depth=2
	s_or_b32 exec_lo, exec_lo, s23
	v_lshrrev_b32_e32 v131, 24, v14
	s_mov_b32 s7, 0
	s_mov_b32 s24, exec_lo
                                        ; implicit-def: $sgpr23
	s_delay_alu instid0(VALU_DEP_1)
	v_cmpx_lt_i16_e64 0x7f, v131
	s_xor_b32 s24, exec_lo, s24
	s_cbranch_execnz .LBB4_4042
; %bb.3429:                             ;   in Loop: Header=BB4_2983 Depth=2
	s_or_saveexec_b32 s24, s24
	v_mov_b32_e32 v160, s23
	s_xor_b32 exec_lo, exec_lo, s24
	s_cbranch_execnz .LBB4_4045
.LBB4_3430:                             ;   in Loop: Header=BB4_2983 Depth=2
	s_or_b32 exec_lo, exec_lo, s24
	s_and_saveexec_b32 s23, s7
	s_cbranch_execz .LBB4_3432
.LBB4_3431:                             ;   in Loop: Header=BB4_2983 Depth=2
	v_bfe_u32 v160, v14, 24, 3
	s_delay_alu instid0(VALU_DEP_1) | instskip(NEXT) | instid1(VALU_DEP_1)
	v_clz_i32_u32_e32 v161, v160
	v_min_u32_e32 v161, 32, v161
	s_delay_alu instid0(VALU_DEP_1) | instskip(SKIP_1) | instid1(VALU_DEP_2)
	v_subrev_nc_u32_e32 v162, 28, v161
	v_sub_nc_u32_e32 v161, 29, v161
	v_lshlrev_b32_e32 v131, v162, v131
	v_bfe_u32 v162, v14, 27, 4
	v_and_b32_e32 v14, 0x80000000, v14
	s_delay_alu instid0(VALU_DEP_3) | instskip(NEXT) | instid1(VALU_DEP_3)
	v_and_b32_e32 v131, 7, v131
	v_cmp_eq_u32_e32 vcc_lo, 0, v162
	v_cndmask_b32_e32 v161, v162, v161, vcc_lo
	s_delay_alu instid0(VALU_DEP_3) | instskip(NEXT) | instid1(VALU_DEP_2)
	v_cndmask_b32_e32 v131, v160, v131, vcc_lo
	v_lshl_add_u32 v160, v161, 23, 0x3b800000
	s_delay_alu instid0(VALU_DEP_2) | instskip(NEXT) | instid1(VALU_DEP_1)
	v_lshlrev_b32_e32 v131, 20, v131
	v_or3_b32 v160, v14, v160, v131
.LBB4_3432:                             ;   in Loop: Header=BB4_2983 Depth=2
	s_or_b32 exec_lo, exec_lo, s23
	s_delay_alu instid0(VALU_DEP_1) | instskip(NEXT) | instid1(VALU_DEP_1)
	v_add_f32_e32 v131, v151, v160
	v_and_b32_e32 v14, 0x7f800000, v131
	s_delay_alu instid0(VALU_DEP_1)
	v_cmp_ne_u32_e32 vcc_lo, 0x7f800000, v14
	v_mov_b32_e32 v14, 0x80
	s_and_saveexec_b32 s23, vcc_lo
	s_cbranch_execz .LBB4_3440
; %bb.3433:                             ;   in Loop: Header=BB4_2983 Depth=2
	v_mov_b32_e32 v14, 0
	s_mov_b32 s24, exec_lo
	v_cmpx_ne_u32_e32 0, v131
	s_cbranch_execz .LBB4_3439
; %bb.3434:                             ;   in Loop: Header=BB4_2983 Depth=2
	v_bfe_u32 v14, v131, 23, 8
	s_delay_alu instid0(VALU_DEP_1) | instskip(SKIP_1) | instid1(VALU_DEP_2)
	v_sub_nc_u32_e32 v160, 0x78, v14
	v_cmp_gt_u32_e32 vcc_lo, 0x79, v14
	v_dual_cndmask_b32 v160, 0, v160 :: v_dual_and_b32 v151, 0x7fffff, v131
	s_delay_alu instid0(VALU_DEP_1) | instskip(SKIP_2) | instid1(VALU_DEP_4)
	v_or_b32_e32 v161, 0x800000, v151
	v_cmp_eq_u32_e32 vcc_lo, 0, v14
	v_add_nc_u32_e32 v14, 0xffffff89, v14
	v_cndmask_b32_e64 v160, v160, 0x77, vcc_lo
	s_delay_alu instid0(VALU_DEP_4) | instskip(NEXT) | instid1(VALU_DEP_3)
	v_cndmask_b32_e32 v151, v161, v151, vcc_lo
	v_cndmask_b32_e64 v14, v14, 0xffffff8a, vcc_lo
	s_delay_alu instid0(VALU_DEP_3) | instskip(NEXT) | instid1(VALU_DEP_3)
	v_lshl_add_u32 v161, 0x100000, v160, -1
	v_lshrrev_b32_e32 v162, v160, v151
	v_lshlrev_b32_e64 v164, v160, 0x80000
	s_delay_alu instid0(VALU_DEP_4) | instskip(NEXT) | instid1(VALU_DEP_4)
	v_add_nc_u32_e32 v160, v160, v14
	v_and_b32_e32 v151, v161, v151
	s_delay_alu instid0(VALU_DEP_4) | instskip(NEXT) | instid1(VALU_DEP_2)
	v_bfe_u32 v163, v162, 20, 1
	v_cmp_eq_u32_e64 s7, v151, v164
	s_delay_alu instid0(VALU_DEP_2) | instskip(NEXT) | instid1(VALU_DEP_1)
	v_add_nc_u32_e32 v161, -1, v163
	v_cndmask_b32_e64 v151, 0, v161, s7
	v_lshrrev_b32_e32 v161, 23, v162
	s_mov_b32 s7, exec_lo
	s_delay_alu instid0(VALU_DEP_2) | instskip(NEXT) | instid1(VALU_DEP_2)
	v_add_nc_u32_e32 v151, v151, v162
	v_xor_b32_e32 v161, 1, v161
	s_delay_alu instid0(VALU_DEP_2) | instskip(NEXT) | instid1(VALU_DEP_1)
	v_and_b32_e32 v14, 0xfffff, v151
	v_add_nc_u32_e32 v151, v14, v162
                                        ; implicit-def: $vgpr14
	s_delay_alu instid0(VALU_DEP_3)
	v_cmpx_ne_u32_e64 v160, v161
	s_xor_b32 s7, exec_lo, s7
; %bb.3435:                             ;   in Loop: Header=BB4_2983 Depth=2
	s_delay_alu instid0(VALU_DEP_2) | instskip(SKIP_2) | instid1(VALU_DEP_2)
	v_cmp_lt_u32_e32 vcc_lo, 0xffffff, v151
	v_sub_nc_u32_e32 v14, v160, v161
	v_cndmask_b32_e64 v160, 0, 1, vcc_lo
	v_add_co_ci_u32_e32 v14, vcc_lo, 0, v14, vcc_lo
	s_delay_alu instid0(VALU_DEP_2)
	v_lshrrev_b32_e32 v151, v160, v151
; %bb.3436:                             ;   in Loop: Header=BB4_2983 Depth=2
	s_and_not1_saveexec_b32 s7, s7
; %bb.3437:                             ;   in Loop: Header=BB4_2983 Depth=2
	s_delay_alu instid0(VALU_DEP_1)
	v_bfe_u32 v14, v151, 23, 1
; %bb.3438:                             ;   in Loop: Header=BB4_2983 Depth=2
	s_or_b32 exec_lo, exec_lo, s7
	v_lshrrev_b32_e32 v151, 20, v151
	s_delay_alu instid0(VALU_DEP_2) | instskip(SKIP_2) | instid1(VALU_DEP_4)
	v_cmp_gt_i32_e32 vcc_lo, 16, v14
	v_lshrrev_b32_e32 v131, 24, v131
	v_min_i32_e32 v160, 15, v14
	v_cndmask_b32_e32 v151, 7, v151, vcc_lo
	s_delay_alu instid0(VALU_DEP_3) | instskip(NEXT) | instid1(VALU_DEP_3)
	v_and_b32_e32 v131, 0x80, v131
	v_lshlrev_b32_e32 v160, 3, v160
	s_delay_alu instid0(VALU_DEP_3) | instskip(SKIP_1) | instid1(VALU_DEP_2)
	v_and_b32_e32 v161, 7, v151
	v_or_b32_e32 v14, v14, v151
	v_or3_b32 v131, v160, v131, v161
	s_delay_alu instid0(VALU_DEP_2) | instskip(NEXT) | instid1(VALU_DEP_2)
	v_cmp_ne_u32_e32 vcc_lo, 0, v14
	v_cndmask_b32_e32 v14, 0, v131, vcc_lo
.LBB4_3439:                             ;   in Loop: Header=BB4_2983 Depth=2
	s_or_b32 exec_lo, exec_lo, s24
.LBB4_3440:                             ;   in Loop: Header=BB4_2983 Depth=2
	s_delay_alu instid0(SALU_CYCLE_1) | instskip(SKIP_3) | instid1(VALU_DEP_1)
	s_or_b32 exec_lo, exec_lo, s23
	v_or_b32_e32 v150, v150, v128
	s_mov_b32 s7, 0
	s_mov_b32 s24, exec_lo
                                        ; implicit-def: $sgpr23
	v_and_b32_e32 v131, 0xff, v150
	s_delay_alu instid0(VALU_DEP_1)
	v_cmpx_lt_i16_e64 0x7f, v131
	s_xor_b32 s24, exec_lo, s24
	s_cbranch_execnz .LBB4_4046
; %bb.3441:                             ;   in Loop: Header=BB4_2983 Depth=2
	s_or_saveexec_b32 s24, s24
	v_mov_b32_e32 v128, s23
	s_xor_b32 exec_lo, exec_lo, s24
	s_cbranch_execnz .LBB4_4049
.LBB4_3442:                             ;   in Loop: Header=BB4_2983 Depth=2
	s_or_b32 exec_lo, exec_lo, s24
	s_and_saveexec_b32 s23, s7
	s_cbranch_execz .LBB4_3444
.LBB4_3443:                             ;   in Loop: Header=BB4_2983 Depth=2
	v_bfe_u32 v160, v150, 3, 4
	s_delay_alu instid0(VALU_DEP_1) | instskip(SKIP_1) | instid1(VALU_DEP_1)
	v_cmp_eq_u32_e32 vcc_lo, 0, v160
	v_and_b32_e32 v128, 7, v150
	v_clz_i32_u32_e32 v131, v128
	s_delay_alu instid0(VALU_DEP_1) | instskip(NEXT) | instid1(VALU_DEP_1)
	v_min_u32_e32 v131, 32, v131
	v_subrev_nc_u32_e32 v151, 28, v131
	v_sub_nc_u32_e32 v131, 29, v131
	s_delay_alu instid0(VALU_DEP_2) | instskip(NEXT) | instid1(VALU_DEP_2)
	v_lshlrev_b32_e32 v151, v151, v150
	v_cndmask_b32_e32 v131, v160, v131, vcc_lo
	s_delay_alu instid0(VALU_DEP_2) | instskip(SKIP_1) | instid1(VALU_DEP_3)
	v_and_b32_e32 v151, 7, v151
	v_lshlrev_b32_e32 v161, 24, v150
	v_lshl_add_u32 v131, v131, 23, 0x3b800000
	s_delay_alu instid0(VALU_DEP_2) | instskip(NEXT) | instid1(VALU_DEP_1)
	v_dual_cndmask_b32 v128, v128, v151 :: v_dual_and_b32 v151, 0x80000000, v161
	v_lshlrev_b32_e32 v128, 20, v128
	s_delay_alu instid0(VALU_DEP_1)
	v_or3_b32 v128, v151, v131, v128
.LBB4_3444:                             ;   in Loop: Header=BB4_2983 Depth=2
	s_or_b32 exec_lo, exec_lo, s23
	v_and_b32_e32 v151, 0xff, v15
	s_mov_b32 s7, 0
	s_mov_b32 s24, exec_lo
                                        ; implicit-def: $sgpr23
	s_delay_alu instid0(VALU_DEP_1)
	v_cmpx_lt_i16_e64 0x7f, v151
	s_xor_b32 s24, exec_lo, s24
	s_cbranch_execnz .LBB4_4050
; %bb.3445:                             ;   in Loop: Header=BB4_2983 Depth=2
	s_or_saveexec_b32 s24, s24
	v_mov_b32_e32 v131, s23
	s_xor_b32 exec_lo, exec_lo, s24
	s_cbranch_execnz .LBB4_4053
.LBB4_3446:                             ;   in Loop: Header=BB4_2983 Depth=2
	s_or_b32 exec_lo, exec_lo, s24
	s_and_saveexec_b32 s23, s7
	s_cbranch_execz .LBB4_3448
.LBB4_3447:                             ;   in Loop: Header=BB4_2983 Depth=2
	v_and_b32_e32 v131, 7, v15
	v_bfe_u32 v161, v15, 3, 4
	s_delay_alu instid0(VALU_DEP_2) | instskip(NEXT) | instid1(VALU_DEP_2)
	v_clz_i32_u32_e32 v151, v131
	v_cmp_eq_u32_e32 vcc_lo, 0, v161
	s_delay_alu instid0(VALU_DEP_2) | instskip(NEXT) | instid1(VALU_DEP_1)
	v_min_u32_e32 v151, 32, v151
	v_subrev_nc_u32_e32 v160, 28, v151
	v_sub_nc_u32_e32 v151, 29, v151
	s_delay_alu instid0(VALU_DEP_2) | instskip(NEXT) | instid1(VALU_DEP_1)
	v_lshlrev_b32_e32 v160, v160, v15
	v_dual_cndmask_b32 v151, v161, v151 :: v_dual_and_b32 v160, 7, v160
	v_lshlrev_b32_e32 v162, 24, v15
	s_delay_alu instid0(VALU_DEP_2) | instskip(NEXT) | instid1(VALU_DEP_2)
	v_lshl_add_u32 v151, v151, 23, 0x3b800000
	v_dual_cndmask_b32 v131, v131, v160 :: v_dual_and_b32 v160, 0x80000000, v162
	s_delay_alu instid0(VALU_DEP_1) | instskip(NEXT) | instid1(VALU_DEP_1)
	v_lshlrev_b32_e32 v131, 20, v131
	v_or3_b32 v131, v160, v151, v131
.LBB4_3448:                             ;   in Loop: Header=BB4_2983 Depth=2
	s_or_b32 exec_lo, exec_lo, s23
	s_delay_alu instid0(VALU_DEP_1) | instskip(NEXT) | instid1(VALU_DEP_1)
	v_add_f32_e32 v131, v128, v131
	v_and_b32_e32 v128, 0x7f800000, v131
	s_delay_alu instid0(VALU_DEP_1)
	v_cmp_ne_u32_e32 vcc_lo, 0x7f800000, v128
	v_mov_b32_e32 v128, 0x80
	s_and_saveexec_b32 s23, vcc_lo
	s_cbranch_execz .LBB4_3456
; %bb.3449:                             ;   in Loop: Header=BB4_2983 Depth=2
	v_mov_b32_e32 v128, 0
	s_mov_b32 s24, exec_lo
	v_cmpx_ne_u32_e32 0, v131
	s_cbranch_execz .LBB4_3455
; %bb.3450:                             ;   in Loop: Header=BB4_2983 Depth=2
	v_bfe_u32 v128, v131, 23, 8
	s_delay_alu instid0(VALU_DEP_1) | instskip(SKIP_1) | instid1(VALU_DEP_2)
	v_sub_nc_u32_e32 v160, 0x78, v128
	v_cmp_gt_u32_e32 vcc_lo, 0x79, v128
	v_dual_cndmask_b32 v160, 0, v160 :: v_dual_and_b32 v151, 0x7fffff, v131
	s_delay_alu instid0(VALU_DEP_1) | instskip(SKIP_2) | instid1(VALU_DEP_4)
	v_or_b32_e32 v161, 0x800000, v151
	v_cmp_eq_u32_e32 vcc_lo, 0, v128
	v_add_nc_u32_e32 v128, 0xffffff89, v128
	v_cndmask_b32_e64 v160, v160, 0x77, vcc_lo
	s_delay_alu instid0(VALU_DEP_4) | instskip(NEXT) | instid1(VALU_DEP_3)
	v_cndmask_b32_e32 v151, v161, v151, vcc_lo
	v_cndmask_b32_e64 v128, v128, 0xffffff8a, vcc_lo
	s_delay_alu instid0(VALU_DEP_3) | instskip(NEXT) | instid1(VALU_DEP_3)
	v_lshl_add_u32 v161, 0x100000, v160, -1
	v_lshrrev_b32_e32 v162, v160, v151
	v_lshlrev_b32_e64 v164, v160, 0x80000
	s_delay_alu instid0(VALU_DEP_4) | instskip(NEXT) | instid1(VALU_DEP_4)
	v_add_nc_u32_e32 v160, v160, v128
	v_and_b32_e32 v151, v161, v151
	s_delay_alu instid0(VALU_DEP_4) | instskip(NEXT) | instid1(VALU_DEP_2)
	v_bfe_u32 v163, v162, 20, 1
	v_cmp_eq_u32_e64 s7, v151, v164
	s_delay_alu instid0(VALU_DEP_2) | instskip(NEXT) | instid1(VALU_DEP_1)
	v_add_nc_u32_e32 v161, -1, v163
	v_cndmask_b32_e64 v151, 0, v161, s7
	v_lshrrev_b32_e32 v161, 23, v162
	s_mov_b32 s7, exec_lo
	s_delay_alu instid0(VALU_DEP_2) | instskip(NEXT) | instid1(VALU_DEP_2)
	v_add_nc_u32_e32 v151, v151, v162
	v_xor_b32_e32 v161, 1, v161
	s_delay_alu instid0(VALU_DEP_2) | instskip(NEXT) | instid1(VALU_DEP_1)
	v_and_b32_e32 v128, 0xfffff, v151
	v_add_nc_u32_e32 v151, v128, v162
                                        ; implicit-def: $vgpr128
	s_delay_alu instid0(VALU_DEP_3)
	v_cmpx_ne_u32_e64 v160, v161
	s_xor_b32 s7, exec_lo, s7
; %bb.3451:                             ;   in Loop: Header=BB4_2983 Depth=2
	s_delay_alu instid0(VALU_DEP_2) | instskip(SKIP_2) | instid1(VALU_DEP_2)
	v_cmp_lt_u32_e32 vcc_lo, 0xffffff, v151
	v_sub_nc_u32_e32 v128, v160, v161
	v_cndmask_b32_e64 v160, 0, 1, vcc_lo
	v_add_co_ci_u32_e32 v128, vcc_lo, 0, v128, vcc_lo
	s_delay_alu instid0(VALU_DEP_2)
	v_lshrrev_b32_e32 v151, v160, v151
; %bb.3452:                             ;   in Loop: Header=BB4_2983 Depth=2
	s_and_not1_saveexec_b32 s7, s7
; %bb.3453:                             ;   in Loop: Header=BB4_2983 Depth=2
	s_delay_alu instid0(VALU_DEP_1)
	v_bfe_u32 v128, v151, 23, 1
; %bb.3454:                             ;   in Loop: Header=BB4_2983 Depth=2
	s_or_b32 exec_lo, exec_lo, s7
	v_lshrrev_b32_e32 v151, 20, v151
	s_delay_alu instid0(VALU_DEP_2) | instskip(SKIP_2) | instid1(VALU_DEP_4)
	v_cmp_gt_i32_e32 vcc_lo, 16, v128
	v_lshrrev_b32_e32 v131, 24, v131
	v_min_i32_e32 v160, 15, v128
	v_cndmask_b32_e32 v151, 7, v151, vcc_lo
	s_delay_alu instid0(VALU_DEP_3) | instskip(NEXT) | instid1(VALU_DEP_3)
	v_and_b32_e32 v131, 0x80, v131
	v_lshlrev_b32_e32 v160, 3, v160
	s_delay_alu instid0(VALU_DEP_3) | instskip(SKIP_1) | instid1(VALU_DEP_2)
	v_and_b32_e32 v161, 7, v151
	v_or_b32_e32 v128, v128, v151
	v_or3_b32 v131, v160, v131, v161
	s_delay_alu instid0(VALU_DEP_2) | instskip(NEXT) | instid1(VALU_DEP_2)
	v_cmp_ne_u32_e32 vcc_lo, 0, v128
	v_cndmask_b32_e32 v128, 0, v131, vcc_lo
.LBB4_3455:                             ;   in Loop: Header=BB4_2983 Depth=2
	s_or_b32 exec_lo, exec_lo, s24
.LBB4_3456:                             ;   in Loop: Header=BB4_2983 Depth=2
	s_delay_alu instid0(SALU_CYCLE_1) | instskip(SKIP_3) | instid1(VALU_DEP_1)
	s_or_b32 exec_lo, exec_lo, s23
	v_lshrrev_b16 v151, 8, v150
	s_mov_b32 s7, 0
	s_mov_b32 s24, exec_lo
                                        ; implicit-def: $sgpr23
	v_cmpx_lt_i16_e64 0x7f, v151
	s_xor_b32 s24, exec_lo, s24
	s_cbranch_execnz .LBB4_4054
; %bb.3457:                             ;   in Loop: Header=BB4_2983 Depth=2
	s_or_saveexec_b32 s24, s24
	v_mov_b32_e32 v131, s23
	s_xor_b32 exec_lo, exec_lo, s24
	s_cbranch_execnz .LBB4_4057
.LBB4_3458:                             ;   in Loop: Header=BB4_2983 Depth=2
	s_or_b32 exec_lo, exec_lo, s24
	s_and_saveexec_b32 s23, s7
	s_cbranch_execz .LBB4_3460
.LBB4_3459:                             ;   in Loop: Header=BB4_2983 Depth=2
	v_and_b32_e32 v131, 0xffff, v151
	v_lshlrev_b32_e32 v151, 24, v151
	s_delay_alu instid0(VALU_DEP_2) | instskip(NEXT) | instid1(VALU_DEP_2)
	v_and_b32_e32 v160, 7, v131
	v_and_b32_e32 v151, 0x80000000, v151
	s_delay_alu instid0(VALU_DEP_2) | instskip(NEXT) | instid1(VALU_DEP_1)
	v_clz_i32_u32_e32 v161, v160
	v_min_u32_e32 v161, 32, v161
	s_delay_alu instid0(VALU_DEP_1) | instskip(SKIP_1) | instid1(VALU_DEP_2)
	v_subrev_nc_u32_e32 v162, 28, v161
	v_sub_nc_u32_e32 v161, 29, v161
	v_lshlrev_b32_e32 v162, v162, v131
	v_bfe_u32 v131, v131, 3, 4
	s_delay_alu instid0(VALU_DEP_2) | instskip(NEXT) | instid1(VALU_DEP_2)
	v_and_b32_e32 v162, 7, v162
	v_cmp_eq_u32_e32 vcc_lo, 0, v131
	s_delay_alu instid0(VALU_DEP_2) | instskip(NEXT) | instid1(VALU_DEP_1)
	v_dual_cndmask_b32 v131, v131, v161 :: v_dual_cndmask_b32 v160, v160, v162
	v_lshl_add_u32 v131, v131, 23, 0x3b800000
	s_delay_alu instid0(VALU_DEP_2) | instskip(NEXT) | instid1(VALU_DEP_1)
	v_lshlrev_b32_e32 v160, 20, v160
	v_or3_b32 v131, v151, v131, v160
.LBB4_3460:                             ;   in Loop: Header=BB4_2983 Depth=2
	s_or_b32 exec_lo, exec_lo, s23
	v_lshrrev_b16 v151, 8, v15
	s_mov_b32 s7, 0
	s_mov_b32 s24, exec_lo
                                        ; implicit-def: $sgpr23
	s_delay_alu instid0(VALU_DEP_1)
	v_cmpx_lt_i16_e64 0x7f, v151
	s_xor_b32 s24, exec_lo, s24
	s_cbranch_execnz .LBB4_4058
; %bb.3461:                             ;   in Loop: Header=BB4_2983 Depth=2
	s_or_saveexec_b32 s24, s24
	v_mov_b32_e32 v160, s23
	s_xor_b32 exec_lo, exec_lo, s24
	s_cbranch_execnz .LBB4_4061
.LBB4_3462:                             ;   in Loop: Header=BB4_2983 Depth=2
	s_or_b32 exec_lo, exec_lo, s24
	s_and_saveexec_b32 s23, s7
	s_cbranch_execz .LBB4_3464
.LBB4_3463:                             ;   in Loop: Header=BB4_2983 Depth=2
	v_and_b32_e32 v160, 0xffff, v151
	v_lshlrev_b32_e32 v151, 24, v151
	s_delay_alu instid0(VALU_DEP_2) | instskip(NEXT) | instid1(VALU_DEP_2)
	v_and_b32_e32 v161, 7, v160
	v_and_b32_e32 v151, 0x80000000, v151
	s_delay_alu instid0(VALU_DEP_2) | instskip(NEXT) | instid1(VALU_DEP_1)
	v_clz_i32_u32_e32 v162, v161
	v_min_u32_e32 v162, 32, v162
	s_delay_alu instid0(VALU_DEP_1) | instskip(SKIP_1) | instid1(VALU_DEP_2)
	v_subrev_nc_u32_e32 v163, 28, v162
	v_sub_nc_u32_e32 v162, 29, v162
	v_lshlrev_b32_e32 v163, v163, v160
	v_bfe_u32 v160, v160, 3, 4
	s_delay_alu instid0(VALU_DEP_2) | instskip(NEXT) | instid1(VALU_DEP_2)
	v_and_b32_e32 v163, 7, v163
	v_cmp_eq_u32_e32 vcc_lo, 0, v160
	s_delay_alu instid0(VALU_DEP_2) | instskip(NEXT) | instid1(VALU_DEP_1)
	v_dual_cndmask_b32 v160, v160, v162 :: v_dual_cndmask_b32 v161, v161, v163
	v_lshl_add_u32 v160, v160, 23, 0x3b800000
	s_delay_alu instid0(VALU_DEP_2) | instskip(NEXT) | instid1(VALU_DEP_1)
	v_lshlrev_b32_e32 v161, 20, v161
	v_or3_b32 v160, v151, v160, v161
.LBB4_3464:                             ;   in Loop: Header=BB4_2983 Depth=2
	s_or_b32 exec_lo, exec_lo, s23
	s_delay_alu instid0(VALU_DEP_1) | instskip(NEXT) | instid1(VALU_DEP_1)
	v_add_f32_e32 v151, v131, v160
	v_and_b32_e32 v131, 0x7f800000, v151
	s_delay_alu instid0(VALU_DEP_1)
	v_cmp_ne_u32_e32 vcc_lo, 0x7f800000, v131
	v_mov_b32_e32 v131, 0x8000
	s_and_saveexec_b32 s23, vcc_lo
	s_cbranch_execz .LBB4_3472
; %bb.3465:                             ;   in Loop: Header=BB4_2983 Depth=2
	v_mov_b32_e32 v131, 0
	s_mov_b32 s24, exec_lo
	v_cmpx_ne_u32_e32 0, v151
	s_cbranch_execz .LBB4_3471
; %bb.3466:                             ;   in Loop: Header=BB4_2983 Depth=2
	v_bfe_u32 v131, v151, 23, 8
	s_delay_alu instid0(VALU_DEP_1) | instskip(SKIP_1) | instid1(VALU_DEP_2)
	v_sub_nc_u32_e32 v161, 0x78, v131
	v_cmp_gt_u32_e32 vcc_lo, 0x79, v131
	v_dual_cndmask_b32 v161, 0, v161 :: v_dual_and_b32 v160, 0x7fffff, v151
	s_delay_alu instid0(VALU_DEP_1) | instskip(SKIP_2) | instid1(VALU_DEP_4)
	v_or_b32_e32 v162, 0x800000, v160
	v_cmp_eq_u32_e32 vcc_lo, 0, v131
	v_add_nc_u32_e32 v131, 0xffffff89, v131
	v_cndmask_b32_e64 v161, v161, 0x77, vcc_lo
	s_delay_alu instid0(VALU_DEP_4) | instskip(NEXT) | instid1(VALU_DEP_3)
	v_cndmask_b32_e32 v160, v162, v160, vcc_lo
	v_cndmask_b32_e64 v131, v131, 0xffffff8a, vcc_lo
	s_delay_alu instid0(VALU_DEP_3) | instskip(NEXT) | instid1(VALU_DEP_3)
	v_lshl_add_u32 v162, 0x100000, v161, -1
	v_lshrrev_b32_e32 v163, v161, v160
	v_lshlrev_b32_e64 v165, v161, 0x80000
	s_delay_alu instid0(VALU_DEP_4) | instskip(NEXT) | instid1(VALU_DEP_4)
	v_add_nc_u32_e32 v161, v161, v131
	v_and_b32_e32 v160, v162, v160
	s_delay_alu instid0(VALU_DEP_4) | instskip(NEXT) | instid1(VALU_DEP_2)
	v_bfe_u32 v164, v163, 20, 1
	v_cmp_eq_u32_e64 s7, v160, v165
	s_delay_alu instid0(VALU_DEP_2) | instskip(NEXT) | instid1(VALU_DEP_1)
	v_add_nc_u32_e32 v162, -1, v164
	v_cndmask_b32_e64 v160, 0, v162, s7
	v_lshrrev_b32_e32 v162, 23, v163
	s_mov_b32 s7, exec_lo
	s_delay_alu instid0(VALU_DEP_2) | instskip(NEXT) | instid1(VALU_DEP_2)
	v_add_nc_u32_e32 v160, v160, v163
	v_xor_b32_e32 v162, 1, v162
	s_delay_alu instid0(VALU_DEP_2) | instskip(NEXT) | instid1(VALU_DEP_1)
	v_and_b32_e32 v131, 0xfffff, v160
	v_add_nc_u32_e32 v160, v131, v163
                                        ; implicit-def: $vgpr131
	s_delay_alu instid0(VALU_DEP_3)
	v_cmpx_ne_u32_e64 v161, v162
	s_xor_b32 s7, exec_lo, s7
; %bb.3467:                             ;   in Loop: Header=BB4_2983 Depth=2
	s_delay_alu instid0(VALU_DEP_2) | instskip(SKIP_2) | instid1(VALU_DEP_2)
	v_cmp_lt_u32_e32 vcc_lo, 0xffffff, v160
	v_sub_nc_u32_e32 v131, v161, v162
	v_cndmask_b32_e64 v161, 0, 1, vcc_lo
	v_add_co_ci_u32_e32 v131, vcc_lo, 0, v131, vcc_lo
	s_delay_alu instid0(VALU_DEP_2)
	v_lshrrev_b32_e32 v160, v161, v160
; %bb.3468:                             ;   in Loop: Header=BB4_2983 Depth=2
	s_and_not1_saveexec_b32 s7, s7
; %bb.3469:                             ;   in Loop: Header=BB4_2983 Depth=2
	s_delay_alu instid0(VALU_DEP_1)
	v_bfe_u32 v131, v160, 23, 1
; %bb.3470:                             ;   in Loop: Header=BB4_2983 Depth=2
	s_or_b32 exec_lo, exec_lo, s7
	v_lshrrev_b32_e32 v160, 20, v160
	s_delay_alu instid0(VALU_DEP_2) | instskip(SKIP_2) | instid1(VALU_DEP_2)
	v_cmp_gt_i32_e32 vcc_lo, 16, v131
	v_min_i32_e32 v161, 15, v131
	v_lshrrev_b32_e32 v151, 24, v151
	v_dual_cndmask_b32 v160, 7, v160 :: v_dual_lshlrev_b32 v161, 3, v161
	s_delay_alu instid0(VALU_DEP_2) | instskip(NEXT) | instid1(VALU_DEP_2)
	v_and_b32_e32 v151, 0x80, v151
	v_or_b32_e32 v131, v131, v160
	s_delay_alu instid0(VALU_DEP_3) | instskip(NEXT) | instid1(VALU_DEP_2)
	v_and_b32_e32 v161, 0xf8, v161
	v_cmp_ne_u32_e32 vcc_lo, 0, v131
	v_and_b32_e32 v162, 7, v160
	s_delay_alu instid0(VALU_DEP_1) | instskip(NEXT) | instid1(VALU_DEP_1)
	v_or3_b32 v151, v151, v161, v162
	v_lshlrev_b32_e32 v151, 8, v151
	s_delay_alu instid0(VALU_DEP_1)
	v_cndmask_b32_e32 v131, 0, v151, vcc_lo
.LBB4_3471:                             ;   in Loop: Header=BB4_2983 Depth=2
	s_or_b32 exec_lo, exec_lo, s24
.LBB4_3472:                             ;   in Loop: Header=BB4_2983 Depth=2
	s_delay_alu instid0(SALU_CYCLE_1) | instskip(SKIP_3) | instid1(VALU_DEP_1)
	s_or_b32 exec_lo, exec_lo, s23
	v_or_b32_e32 v149, v149, v144
	s_mov_b32 s7, 0
	s_mov_b32 s24, exec_lo
                                        ; implicit-def: $sgpr23
	v_and_b32_e32 v151, 0xff, v149
	s_delay_alu instid0(VALU_DEP_1)
	v_cmpx_lt_i16_e64 0x7f, v151
	s_xor_b32 s24, exec_lo, s24
	s_cbranch_execnz .LBB4_4062
; %bb.3473:                             ;   in Loop: Header=BB4_2983 Depth=2
	s_or_saveexec_b32 s24, s24
	v_mov_b32_e32 v144, s23
	s_xor_b32 exec_lo, exec_lo, s24
	s_cbranch_execnz .LBB4_4065
.LBB4_3474:                             ;   in Loop: Header=BB4_2983 Depth=2
	s_or_b32 exec_lo, exec_lo, s24
	v_lshl_or_b32 v149, v149, 16, v150
	s_and_saveexec_b32 s23, s7
	s_cbranch_execz .LBB4_3476
.LBB4_3475:                             ;   in Loop: Header=BB4_2983 Depth=2
	s_delay_alu instid0(VALU_DEP_1) | instskip(SKIP_1) | instid1(VALU_DEP_2)
	v_bfe_u32 v144, v149, 16, 3
	v_lshrrev_b32_e32 v151, 16, v149
	v_clz_i32_u32_e32 v150, v144
	s_delay_alu instid0(VALU_DEP_1) | instskip(NEXT) | instid1(VALU_DEP_1)
	v_min_u32_e32 v150, 32, v150
	v_subrev_nc_u32_e32 v160, 28, v150
	v_sub_nc_u32_e32 v150, 29, v150
	s_delay_alu instid0(VALU_DEP_2) | instskip(SKIP_1) | instid1(VALU_DEP_1)
	v_lshlrev_b32_e32 v151, v160, v151
	v_bfe_u32 v160, v149, 19, 4
	v_cmp_eq_u32_e32 vcc_lo, 0, v160
	s_delay_alu instid0(VALU_DEP_3) | instskip(NEXT) | instid1(VALU_DEP_1)
	v_dual_cndmask_b32 v150, v160, v150 :: v_dual_and_b32 v151, 7, v151
	v_dual_cndmask_b32 v144, v144, v151 :: v_dual_lshlrev_b32 v161, 8, v149
	s_delay_alu instid0(VALU_DEP_2) | instskip(NEXT) | instid1(VALU_DEP_2)
	v_lshl_add_u32 v150, v150, 23, 0x3b800000
	v_and_b32_e32 v151, 0x80000000, v161
	s_delay_alu instid0(VALU_DEP_3) | instskip(NEXT) | instid1(VALU_DEP_1)
	v_lshlrev_b32_e32 v144, 20, v144
	v_or3_b32 v144, v151, v150, v144
.LBB4_3476:                             ;   in Loop: Header=BB4_2983 Depth=2
	s_or_b32 exec_lo, exec_lo, s23
	v_lshrrev_b32_e32 v150, 16, v15
	s_mov_b32 s7, 0
	s_mov_b32 s24, exec_lo
                                        ; implicit-def: $sgpr23
	s_delay_alu instid0(VALU_DEP_1) | instskip(NEXT) | instid1(VALU_DEP_1)
	v_and_b32_e32 v160, 0xff, v150
	v_cmpx_lt_i16_e64 0x7f, v160
	s_xor_b32 s24, exec_lo, s24
	s_cbranch_execnz .LBB4_4066
; %bb.3477:                             ;   in Loop: Header=BB4_2983 Depth=2
	s_or_saveexec_b32 s24, s24
	v_mov_b32_e32 v151, s23
	s_xor_b32 exec_lo, exec_lo, s24
	s_cbranch_execnz .LBB4_4069
.LBB4_3478:                             ;   in Loop: Header=BB4_2983 Depth=2
	s_or_b32 exec_lo, exec_lo, s24
	s_and_saveexec_b32 s23, s7
	s_cbranch_execz .LBB4_3480
.LBB4_3479:                             ;   in Loop: Header=BB4_2983 Depth=2
	v_bfe_u32 v151, v15, 16, 3
	v_lshlrev_b32_e32 v162, 8, v15
	s_delay_alu instid0(VALU_DEP_2) | instskip(NEXT) | instid1(VALU_DEP_1)
	v_clz_i32_u32_e32 v160, v151
	v_min_u32_e32 v160, 32, v160
	s_delay_alu instid0(VALU_DEP_1) | instskip(SKIP_1) | instid1(VALU_DEP_2)
	v_subrev_nc_u32_e32 v161, 28, v160
	v_sub_nc_u32_e32 v160, 29, v160
	v_lshlrev_b32_e32 v150, v161, v150
	v_bfe_u32 v161, v15, 19, 4
	s_delay_alu instid0(VALU_DEP_2) | instskip(NEXT) | instid1(VALU_DEP_2)
	v_and_b32_e32 v150, 7, v150
	v_cmp_eq_u32_e32 vcc_lo, 0, v161
	v_cndmask_b32_e32 v160, v161, v160, vcc_lo
	s_delay_alu instid0(VALU_DEP_3) | instskip(SKIP_1) | instid1(VALU_DEP_3)
	v_cndmask_b32_e32 v150, v151, v150, vcc_lo
	v_and_b32_e32 v151, 0x80000000, v162
	v_lshl_add_u32 v160, v160, 23, 0x3b800000
	s_delay_alu instid0(VALU_DEP_3) | instskip(NEXT) | instid1(VALU_DEP_1)
	v_lshlrev_b32_e32 v150, 20, v150
	v_or3_b32 v151, v151, v160, v150
.LBB4_3480:                             ;   in Loop: Header=BB4_2983 Depth=2
	s_or_b32 exec_lo, exec_lo, s23
	s_delay_alu instid0(VALU_DEP_1) | instskip(NEXT) | instid1(VALU_DEP_1)
	v_add_f32_e32 v150, v144, v151
	v_and_b32_e32 v144, 0x7f800000, v150
	s_delay_alu instid0(VALU_DEP_1)
	v_cmp_ne_u32_e32 vcc_lo, 0x7f800000, v144
	v_mov_b32_e32 v144, 0x80
	s_and_saveexec_b32 s23, vcc_lo
	s_cbranch_execz .LBB4_3488
; %bb.3481:                             ;   in Loop: Header=BB4_2983 Depth=2
	v_mov_b32_e32 v144, 0
	s_mov_b32 s24, exec_lo
	v_cmpx_ne_u32_e32 0, v150
	s_cbranch_execz .LBB4_3487
; %bb.3482:                             ;   in Loop: Header=BB4_2983 Depth=2
	v_bfe_u32 v144, v150, 23, 8
	s_delay_alu instid0(VALU_DEP_1) | instskip(SKIP_1) | instid1(VALU_DEP_2)
	v_sub_nc_u32_e32 v160, 0x78, v144
	v_cmp_gt_u32_e32 vcc_lo, 0x79, v144
	v_dual_cndmask_b32 v160, 0, v160 :: v_dual_and_b32 v151, 0x7fffff, v150
	s_delay_alu instid0(VALU_DEP_1) | instskip(SKIP_2) | instid1(VALU_DEP_4)
	v_or_b32_e32 v161, 0x800000, v151
	v_cmp_eq_u32_e32 vcc_lo, 0, v144
	v_add_nc_u32_e32 v144, 0xffffff89, v144
	v_cndmask_b32_e64 v160, v160, 0x77, vcc_lo
	s_delay_alu instid0(VALU_DEP_4) | instskip(NEXT) | instid1(VALU_DEP_3)
	v_cndmask_b32_e32 v151, v161, v151, vcc_lo
	v_cndmask_b32_e64 v144, v144, 0xffffff8a, vcc_lo
	s_delay_alu instid0(VALU_DEP_3) | instskip(NEXT) | instid1(VALU_DEP_3)
	v_lshl_add_u32 v161, 0x100000, v160, -1
	v_lshrrev_b32_e32 v162, v160, v151
	v_lshlrev_b32_e64 v164, v160, 0x80000
	s_delay_alu instid0(VALU_DEP_4) | instskip(NEXT) | instid1(VALU_DEP_4)
	v_add_nc_u32_e32 v160, v160, v144
	v_and_b32_e32 v151, v161, v151
	s_delay_alu instid0(VALU_DEP_4) | instskip(NEXT) | instid1(VALU_DEP_2)
	v_bfe_u32 v163, v162, 20, 1
	v_cmp_eq_u32_e64 s7, v151, v164
	s_delay_alu instid0(VALU_DEP_2) | instskip(NEXT) | instid1(VALU_DEP_1)
	v_add_nc_u32_e32 v161, -1, v163
	v_cndmask_b32_e64 v151, 0, v161, s7
	v_lshrrev_b32_e32 v161, 23, v162
	s_mov_b32 s7, exec_lo
	s_delay_alu instid0(VALU_DEP_2) | instskip(NEXT) | instid1(VALU_DEP_2)
	v_add_nc_u32_e32 v151, v151, v162
	v_xor_b32_e32 v161, 1, v161
	s_delay_alu instid0(VALU_DEP_2) | instskip(NEXT) | instid1(VALU_DEP_1)
	v_and_b32_e32 v144, 0xfffff, v151
	v_add_nc_u32_e32 v151, v144, v162
                                        ; implicit-def: $vgpr144
	s_delay_alu instid0(VALU_DEP_3)
	v_cmpx_ne_u32_e64 v160, v161
	s_xor_b32 s7, exec_lo, s7
; %bb.3483:                             ;   in Loop: Header=BB4_2983 Depth=2
	s_delay_alu instid0(VALU_DEP_2) | instskip(SKIP_2) | instid1(VALU_DEP_2)
	v_cmp_lt_u32_e32 vcc_lo, 0xffffff, v151
	v_sub_nc_u32_e32 v144, v160, v161
	v_cndmask_b32_e64 v160, 0, 1, vcc_lo
	v_add_co_ci_u32_e32 v144, vcc_lo, 0, v144, vcc_lo
	s_delay_alu instid0(VALU_DEP_2)
	v_lshrrev_b32_e32 v151, v160, v151
; %bb.3484:                             ;   in Loop: Header=BB4_2983 Depth=2
	s_and_not1_saveexec_b32 s7, s7
; %bb.3485:                             ;   in Loop: Header=BB4_2983 Depth=2
	s_delay_alu instid0(VALU_DEP_1)
	v_bfe_u32 v144, v151, 23, 1
; %bb.3486:                             ;   in Loop: Header=BB4_2983 Depth=2
	s_or_b32 exec_lo, exec_lo, s7
	v_lshrrev_b32_e32 v151, 20, v151
	s_delay_alu instid0(VALU_DEP_2) | instskip(SKIP_2) | instid1(VALU_DEP_2)
	v_cmp_gt_i32_e32 vcc_lo, 16, v144
	v_min_i32_e32 v160, 15, v144
	v_lshrrev_b32_e32 v150, 24, v150
	v_dual_cndmask_b32 v151, 7, v151 :: v_dual_lshlrev_b32 v160, 3, v160
	s_delay_alu instid0(VALU_DEP_2) | instskip(NEXT) | instid1(VALU_DEP_2)
	v_and_b32_e32 v150, 0x80, v150
	v_or_b32_e32 v144, v144, v151
	s_delay_alu instid0(VALU_DEP_3) | instskip(NEXT) | instid1(VALU_DEP_2)
	v_and_b32_e32 v160, 0xf8, v160
	v_cmp_ne_u32_e32 vcc_lo, 0, v144
	v_and_b32_e32 v161, 7, v151
	s_delay_alu instid0(VALU_DEP_1) | instskip(NEXT) | instid1(VALU_DEP_1)
	v_or3_b32 v150, v160, v150, v161
	v_cndmask_b32_e32 v144, 0, v150, vcc_lo
.LBB4_3487:                             ;   in Loop: Header=BB4_2983 Depth=2
	s_or_b32 exec_lo, exec_lo, s24
.LBB4_3488:                             ;   in Loop: Header=BB4_2983 Depth=2
	s_delay_alu instid0(SALU_CYCLE_1) | instskip(SKIP_3) | instid1(VALU_DEP_1)
	s_or_b32 exec_lo, exec_lo, s23
	v_lshrrev_b32_e32 v151, 24, v149
	s_mov_b32 s7, 0
	s_mov_b32 s24, exec_lo
                                        ; implicit-def: $sgpr23
	v_cmpx_lt_i16_e64 0x7f, v151
	s_xor_b32 s24, exec_lo, s24
	s_cbranch_execnz .LBB4_4070
; %bb.3489:                             ;   in Loop: Header=BB4_2983 Depth=2
	s_or_saveexec_b32 s24, s24
	v_mov_b32_e32 v150, s23
	s_xor_b32 exec_lo, exec_lo, s24
	s_cbranch_execnz .LBB4_4073
.LBB4_3490:                             ;   in Loop: Header=BB4_2983 Depth=2
	s_or_b32 exec_lo, exec_lo, s24
	s_and_saveexec_b32 s23, s7
	s_cbranch_execz .LBB4_3492
.LBB4_3491:                             ;   in Loop: Header=BB4_2983 Depth=2
	v_bfe_u32 v150, v149, 24, 3
	s_delay_alu instid0(VALU_DEP_1) | instskip(NEXT) | instid1(VALU_DEP_1)
	v_clz_i32_u32_e32 v160, v150
	v_min_u32_e32 v160, 32, v160
	s_delay_alu instid0(VALU_DEP_1) | instskip(SKIP_1) | instid1(VALU_DEP_2)
	v_subrev_nc_u32_e32 v161, 28, v160
	v_sub_nc_u32_e32 v160, 29, v160
	v_lshlrev_b32_e32 v151, v161, v151
	v_bfe_u32 v161, v149, 27, 4
	v_and_b32_e32 v149, 0x80000000, v149
	s_delay_alu instid0(VALU_DEP_2) | instskip(NEXT) | instid1(VALU_DEP_4)
	v_cmp_eq_u32_e32 vcc_lo, 0, v161
	v_dual_cndmask_b32 v160, v161, v160 :: v_dual_and_b32 v151, 7, v151
	s_delay_alu instid0(VALU_DEP_1) | instskip(NEXT) | instid1(VALU_DEP_2)
	v_cndmask_b32_e32 v150, v150, v151, vcc_lo
	v_lshl_add_u32 v151, v160, 23, 0x3b800000
	s_delay_alu instid0(VALU_DEP_2) | instskip(NEXT) | instid1(VALU_DEP_1)
	v_lshlrev_b32_e32 v150, 20, v150
	v_or3_b32 v150, v149, v151, v150
.LBB4_3492:                             ;   in Loop: Header=BB4_2983 Depth=2
	s_or_b32 exec_lo, exec_lo, s23
	v_lshrrev_b32_e32 v149, 24, v15
	s_mov_b32 s7, 0
	s_mov_b32 s24, exec_lo
                                        ; implicit-def: $sgpr23
	s_delay_alu instid0(VALU_DEP_1)
	v_cmpx_lt_i16_e64 0x7f, v149
	s_xor_b32 s24, exec_lo, s24
	s_cbranch_execnz .LBB4_4074
; %bb.3493:                             ;   in Loop: Header=BB4_2983 Depth=2
	s_or_saveexec_b32 s24, s24
	v_mov_b32_e32 v151, s23
	s_xor_b32 exec_lo, exec_lo, s24
	s_cbranch_execnz .LBB4_4077
.LBB4_3494:                             ;   in Loop: Header=BB4_2983 Depth=2
	s_or_b32 exec_lo, exec_lo, s24
	s_and_saveexec_b32 s23, s7
	s_cbranch_execz .LBB4_3496
.LBB4_3495:                             ;   in Loop: Header=BB4_2983 Depth=2
	v_bfe_u32 v151, v15, 24, 3
	s_delay_alu instid0(VALU_DEP_1) | instskip(NEXT) | instid1(VALU_DEP_1)
	v_clz_i32_u32_e32 v160, v151
	v_min_u32_e32 v160, 32, v160
	s_delay_alu instid0(VALU_DEP_1) | instskip(SKIP_1) | instid1(VALU_DEP_2)
	v_subrev_nc_u32_e32 v161, 28, v160
	v_sub_nc_u32_e32 v160, 29, v160
	v_lshlrev_b32_e32 v149, v161, v149
	v_bfe_u32 v161, v15, 27, 4
	v_and_b32_e32 v15, 0x80000000, v15
	s_delay_alu instid0(VALU_DEP_2) | instskip(NEXT) | instid1(VALU_DEP_4)
	v_cmp_eq_u32_e32 vcc_lo, 0, v161
	v_dual_cndmask_b32 v160, v161, v160 :: v_dual_and_b32 v149, 7, v149
	s_delay_alu instid0(VALU_DEP_1) | instskip(NEXT) | instid1(VALU_DEP_2)
	v_cndmask_b32_e32 v149, v151, v149, vcc_lo
	v_lshl_add_u32 v151, v160, 23, 0x3b800000
	s_delay_alu instid0(VALU_DEP_2) | instskip(NEXT) | instid1(VALU_DEP_1)
	v_lshlrev_b32_e32 v149, 20, v149
	v_or3_b32 v151, v15, v151, v149
.LBB4_3496:                             ;   in Loop: Header=BB4_2983 Depth=2
	s_or_b32 exec_lo, exec_lo, s23
	s_delay_alu instid0(VALU_DEP_1) | instskip(NEXT) | instid1(VALU_DEP_1)
	v_add_f32_e32 v149, v150, v151
	v_and_b32_e32 v15, 0x7f800000, v149
	s_delay_alu instid0(VALU_DEP_1)
	v_cmp_ne_u32_e32 vcc_lo, 0x7f800000, v15
	v_mov_b32_e32 v15, 0x8000
	s_and_saveexec_b32 s23, vcc_lo
	s_cbranch_execz .LBB4_3504
; %bb.3497:                             ;   in Loop: Header=BB4_2983 Depth=2
	v_mov_b32_e32 v15, 0
	s_mov_b32 s24, exec_lo
	v_cmpx_ne_u32_e32 0, v149
	s_cbranch_execz .LBB4_3503
; %bb.3498:                             ;   in Loop: Header=BB4_2983 Depth=2
	v_bfe_u32 v15, v149, 23, 8
	s_delay_alu instid0(VALU_DEP_1) | instskip(SKIP_1) | instid1(VALU_DEP_2)
	v_sub_nc_u32_e32 v151, 0x78, v15
	v_cmp_gt_u32_e32 vcc_lo, 0x79, v15
	v_dual_cndmask_b32 v151, 0, v151 :: v_dual_and_b32 v150, 0x7fffff, v149
	s_delay_alu instid0(VALU_DEP_1) | instskip(SKIP_2) | instid1(VALU_DEP_4)
	v_or_b32_e32 v160, 0x800000, v150
	v_cmp_eq_u32_e32 vcc_lo, 0, v15
	v_add_nc_u32_e32 v15, 0xffffff89, v15
	v_cndmask_b32_e64 v151, v151, 0x77, vcc_lo
	s_delay_alu instid0(VALU_DEP_4) | instskip(NEXT) | instid1(VALU_DEP_3)
	v_cndmask_b32_e32 v150, v160, v150, vcc_lo
	v_cndmask_b32_e64 v15, v15, 0xffffff8a, vcc_lo
	s_delay_alu instid0(VALU_DEP_3) | instskip(NEXT) | instid1(VALU_DEP_3)
	v_lshl_add_u32 v160, 0x100000, v151, -1
	v_lshrrev_b32_e32 v161, v151, v150
	v_lshlrev_b32_e64 v163, v151, 0x80000
	s_delay_alu instid0(VALU_DEP_4) | instskip(NEXT) | instid1(VALU_DEP_4)
	v_add_nc_u32_e32 v151, v151, v15
	v_and_b32_e32 v150, v160, v150
	s_delay_alu instid0(VALU_DEP_4) | instskip(NEXT) | instid1(VALU_DEP_2)
	v_bfe_u32 v162, v161, 20, 1
	v_cmp_eq_u32_e64 s7, v150, v163
	s_delay_alu instid0(VALU_DEP_2) | instskip(NEXT) | instid1(VALU_DEP_1)
	v_add_nc_u32_e32 v160, -1, v162
	v_cndmask_b32_e64 v150, 0, v160, s7
	v_lshrrev_b32_e32 v160, 23, v161
	s_mov_b32 s7, exec_lo
	s_delay_alu instid0(VALU_DEP_2) | instskip(NEXT) | instid1(VALU_DEP_2)
	v_add_nc_u32_e32 v150, v150, v161
	v_xor_b32_e32 v160, 1, v160
	s_delay_alu instid0(VALU_DEP_2) | instskip(NEXT) | instid1(VALU_DEP_1)
	v_and_b32_e32 v15, 0xfffff, v150
	v_add_nc_u32_e32 v150, v15, v161
                                        ; implicit-def: $vgpr15
	s_delay_alu instid0(VALU_DEP_3)
	v_cmpx_ne_u32_e64 v151, v160
	s_xor_b32 s7, exec_lo, s7
; %bb.3499:                             ;   in Loop: Header=BB4_2983 Depth=2
	s_delay_alu instid0(VALU_DEP_2) | instskip(SKIP_2) | instid1(VALU_DEP_2)
	v_cmp_lt_u32_e32 vcc_lo, 0xffffff, v150
	v_sub_nc_u32_e32 v15, v151, v160
	v_cndmask_b32_e64 v151, 0, 1, vcc_lo
	v_add_co_ci_u32_e32 v15, vcc_lo, 0, v15, vcc_lo
	s_delay_alu instid0(VALU_DEP_2)
	v_lshrrev_b32_e32 v150, v151, v150
; %bb.3500:                             ;   in Loop: Header=BB4_2983 Depth=2
	s_and_not1_saveexec_b32 s7, s7
; %bb.3501:                             ;   in Loop: Header=BB4_2983 Depth=2
	s_delay_alu instid0(VALU_DEP_1)
	v_bfe_u32 v15, v150, 23, 1
; %bb.3502:                             ;   in Loop: Header=BB4_2983 Depth=2
	s_or_b32 exec_lo, exec_lo, s7
	v_lshrrev_b32_e32 v150, 20, v150
	s_delay_alu instid0(VALU_DEP_2) | instskip(SKIP_2) | instid1(VALU_DEP_2)
	v_cmp_gt_i32_e32 vcc_lo, 16, v15
	v_min_i32_e32 v151, 15, v15
	v_lshrrev_b32_e32 v149, 24, v149
	v_dual_cndmask_b32 v150, 7, v150 :: v_dual_lshlrev_b32 v151, 3, v151
	s_delay_alu instid0(VALU_DEP_2) | instskip(NEXT) | instid1(VALU_DEP_2)
	v_and_b32_e32 v149, 0x80, v149
	v_or_b32_e32 v15, v15, v150
	s_delay_alu instid0(VALU_DEP_3) | instskip(NEXT) | instid1(VALU_DEP_2)
	v_and_b32_e32 v151, 0xf8, v151
	v_cmp_ne_u32_e32 vcc_lo, 0, v15
	v_and_b32_e32 v160, 7, v150
	s_delay_alu instid0(VALU_DEP_1) | instskip(NEXT) | instid1(VALU_DEP_1)
	v_or3_b32 v149, v149, v151, v160
	v_lshlrev_b32_e32 v149, 8, v149
	s_delay_alu instid0(VALU_DEP_1)
	v_cndmask_b32_e32 v15, 0, v149, vcc_lo
.LBB4_3503:                             ;   in Loop: Header=BB4_2983 Depth=2
	s_or_b32 exec_lo, exec_lo, s24
.LBB4_3504:                             ;   in Loop: Header=BB4_2983 Depth=2
	s_delay_alu instid0(SALU_CYCLE_1) | instskip(SKIP_3) | instid1(VALU_DEP_1)
	s_or_b32 exec_lo, exec_lo, s23
	v_and_b32_e32 v150, 0xff, v148
	s_mov_b32 s7, 0
	s_mov_b32 s24, exec_lo
                                        ; implicit-def: $sgpr23
	v_cmpx_lt_i16_e64 0x7f, v150
	s_xor_b32 s24, exec_lo, s24
	s_cbranch_execnz .LBB4_4078
; %bb.3505:                             ;   in Loop: Header=BB4_2983 Depth=2
	s_or_saveexec_b32 s24, s24
	v_mov_b32_e32 v149, s23
	s_xor_b32 exec_lo, exec_lo, s24
	s_cbranch_execnz .LBB4_4081
.LBB4_3506:                             ;   in Loop: Header=BB4_2983 Depth=2
	s_or_b32 exec_lo, exec_lo, s24
	s_and_saveexec_b32 s23, s7
	s_cbranch_execz .LBB4_3508
.LBB4_3507:                             ;   in Loop: Header=BB4_2983 Depth=2
	v_bfe_u32 v160, v148, 3, 4
	s_delay_alu instid0(VALU_DEP_1) | instskip(SKIP_1) | instid1(VALU_DEP_1)
	v_cmp_eq_u32_e32 vcc_lo, 0, v160
	v_and_b32_e32 v149, 7, v148
	v_clz_i32_u32_e32 v150, v149
	s_delay_alu instid0(VALU_DEP_1) | instskip(NEXT) | instid1(VALU_DEP_1)
	v_min_u32_e32 v150, 32, v150
	v_subrev_nc_u32_e32 v151, 28, v150
	v_sub_nc_u32_e32 v150, 29, v150
	s_delay_alu instid0(VALU_DEP_1) | instskip(NEXT) | instid1(VALU_DEP_1)
	v_dual_cndmask_b32 v150, v160, v150 :: v_dual_lshlrev_b32 v151, v151, v148
	v_and_b32_e32 v151, 7, v151
	v_lshlrev_b32_e32 v148, 24, v148
	s_delay_alu instid0(VALU_DEP_3) | instskip(NEXT) | instid1(VALU_DEP_2)
	v_lshl_add_u32 v150, v150, 23, 0x3b800000
	v_dual_cndmask_b32 v149, v149, v151 :: v_dual_and_b32 v148, 0x80000000, v148
	s_delay_alu instid0(VALU_DEP_1) | instskip(NEXT) | instid1(VALU_DEP_1)
	v_lshlrev_b32_e32 v149, 20, v149
	v_or3_b32 v149, v148, v150, v149
.LBB4_3508:                             ;   in Loop: Header=BB4_2983 Depth=2
	s_or_b32 exec_lo, exec_lo, s23
	v_and_b32_e32 v150, 0xff, v16
	s_mov_b32 s7, 0
	s_mov_b32 s24, exec_lo
                                        ; implicit-def: $sgpr23
	s_delay_alu instid0(VALU_DEP_1)
	v_cmpx_lt_i16_e64 0x7f, v150
	s_xor_b32 s24, exec_lo, s24
	s_cbranch_execnz .LBB4_4082
; %bb.3509:                             ;   in Loop: Header=BB4_2983 Depth=2
	s_or_saveexec_b32 s24, s24
	v_mov_b32_e32 v148, s23
	s_xor_b32 exec_lo, exec_lo, s24
	s_cbranch_execnz .LBB4_4085
.LBB4_3510:                             ;   in Loop: Header=BB4_2983 Depth=2
	s_or_b32 exec_lo, exec_lo, s24
	s_and_saveexec_b32 s23, s7
	s_cbranch_execz .LBB4_3512
.LBB4_3511:                             ;   in Loop: Header=BB4_2983 Depth=2
	v_and_b32_e32 v148, 7, v16
	v_bfe_u32 v160, v16, 3, 4
	s_delay_alu instid0(VALU_DEP_2) | instskip(NEXT) | instid1(VALU_DEP_2)
	v_clz_i32_u32_e32 v150, v148
	v_cmp_eq_u32_e32 vcc_lo, 0, v160
	s_delay_alu instid0(VALU_DEP_2) | instskip(NEXT) | instid1(VALU_DEP_1)
	v_min_u32_e32 v150, 32, v150
	v_subrev_nc_u32_e32 v151, 28, v150
	v_sub_nc_u32_e32 v150, 29, v150
	s_delay_alu instid0(VALU_DEP_1) | instskip(NEXT) | instid1(VALU_DEP_1)
	v_dual_cndmask_b32 v150, v160, v150 :: v_dual_lshlrev_b32 v151, v151, v16
	v_and_b32_e32 v151, 7, v151
	v_lshlrev_b32_e32 v161, 24, v16
	s_delay_alu instid0(VALU_DEP_3) | instskip(NEXT) | instid1(VALU_DEP_2)
	v_lshl_add_u32 v150, v150, 23, 0x3b800000
	v_dual_cndmask_b32 v148, v148, v151 :: v_dual_and_b32 v151, 0x80000000, v161
	s_delay_alu instid0(VALU_DEP_1) | instskip(NEXT) | instid1(VALU_DEP_1)
	v_lshlrev_b32_e32 v148, 20, v148
	v_or3_b32 v148, v151, v150, v148
.LBB4_3512:                             ;   in Loop: Header=BB4_2983 Depth=2
	s_or_b32 exec_lo, exec_lo, s23
	s_delay_alu instid0(VALU_DEP_1) | instskip(NEXT) | instid1(VALU_DEP_1)
	v_add_f32_e32 v149, v149, v148
	v_and_b32_e32 v148, 0x7f800000, v149
	s_delay_alu instid0(VALU_DEP_1)
	v_cmp_ne_u32_e32 vcc_lo, 0x7f800000, v148
	v_mov_b32_e32 v148, 0x80
	s_and_saveexec_b32 s23, vcc_lo
	s_cbranch_execz .LBB4_3520
; %bb.3513:                             ;   in Loop: Header=BB4_2983 Depth=2
	v_mov_b32_e32 v148, 0
	s_mov_b32 s24, exec_lo
	v_cmpx_ne_u32_e32 0, v149
	s_cbranch_execz .LBB4_3519
; %bb.3514:                             ;   in Loop: Header=BB4_2983 Depth=2
	v_bfe_u32 v148, v149, 23, 8
	s_delay_alu instid0(VALU_DEP_1) | instskip(SKIP_1) | instid1(VALU_DEP_2)
	v_sub_nc_u32_e32 v151, 0x78, v148
	v_cmp_gt_u32_e32 vcc_lo, 0x79, v148
	v_dual_cndmask_b32 v151, 0, v151 :: v_dual_and_b32 v150, 0x7fffff, v149
	s_delay_alu instid0(VALU_DEP_1) | instskip(SKIP_2) | instid1(VALU_DEP_4)
	v_or_b32_e32 v160, 0x800000, v150
	v_cmp_eq_u32_e32 vcc_lo, 0, v148
	v_add_nc_u32_e32 v148, 0xffffff89, v148
	v_cndmask_b32_e64 v151, v151, 0x77, vcc_lo
	s_delay_alu instid0(VALU_DEP_2) | instskip(SKIP_1) | instid1(VALU_DEP_3)
	v_cndmask_b32_e64 v148, v148, 0xffffff8a, vcc_lo
	v_cndmask_b32_e32 v150, v160, v150, vcc_lo
	v_lshl_add_u32 v160, 0x100000, v151, -1
	v_lshlrev_b32_e64 v163, v151, 0x80000
	s_delay_alu instid0(VALU_DEP_3) | instskip(SKIP_1) | instid1(VALU_DEP_4)
	v_lshrrev_b32_e32 v161, v151, v150
	v_add_nc_u32_e32 v151, v151, v148
	v_and_b32_e32 v150, v160, v150
	s_delay_alu instid0(VALU_DEP_3) | instskip(NEXT) | instid1(VALU_DEP_2)
	v_bfe_u32 v162, v161, 20, 1
	v_cmp_eq_u32_e64 s7, v150, v163
	s_delay_alu instid0(VALU_DEP_2) | instskip(NEXT) | instid1(VALU_DEP_1)
	v_add_nc_u32_e32 v160, -1, v162
	v_cndmask_b32_e64 v150, 0, v160, s7
	v_lshrrev_b32_e32 v160, 23, v161
	s_mov_b32 s7, exec_lo
	s_delay_alu instid0(VALU_DEP_2) | instskip(NEXT) | instid1(VALU_DEP_2)
	v_add_nc_u32_e32 v150, v150, v161
	v_xor_b32_e32 v160, 1, v160
	s_delay_alu instid0(VALU_DEP_2) | instskip(NEXT) | instid1(VALU_DEP_1)
	v_and_b32_e32 v148, 0xfffff, v150
	v_add_nc_u32_e32 v150, v148, v161
                                        ; implicit-def: $vgpr148
	s_delay_alu instid0(VALU_DEP_3)
	v_cmpx_ne_u32_e64 v151, v160
	s_xor_b32 s7, exec_lo, s7
; %bb.3515:                             ;   in Loop: Header=BB4_2983 Depth=2
	s_delay_alu instid0(VALU_DEP_2) | instskip(SKIP_2) | instid1(VALU_DEP_2)
	v_cmp_lt_u32_e32 vcc_lo, 0xffffff, v150
	v_sub_nc_u32_e32 v148, v151, v160
	v_cndmask_b32_e64 v151, 0, 1, vcc_lo
	v_add_co_ci_u32_e32 v148, vcc_lo, 0, v148, vcc_lo
	s_delay_alu instid0(VALU_DEP_2)
	v_lshrrev_b32_e32 v150, v151, v150
; %bb.3516:                             ;   in Loop: Header=BB4_2983 Depth=2
	s_and_not1_saveexec_b32 s7, s7
; %bb.3517:                             ;   in Loop: Header=BB4_2983 Depth=2
	s_delay_alu instid0(VALU_DEP_1)
	v_bfe_u32 v148, v150, 23, 1
; %bb.3518:                             ;   in Loop: Header=BB4_2983 Depth=2
	s_or_b32 exec_lo, exec_lo, s7
	v_lshrrev_b32_e32 v150, 20, v150
	s_delay_alu instid0(VALU_DEP_2) | instskip(SKIP_2) | instid1(VALU_DEP_2)
	v_cmp_gt_i32_e32 vcc_lo, 16, v148
	v_lshrrev_b32_e32 v149, 24, v149
	v_min_i32_e32 v151, 15, v148
	v_dual_cndmask_b32 v150, 7, v150 :: v_dual_and_b32 v149, 0x80, v149
	s_delay_alu instid0(VALU_DEP_1) | instskip(SKIP_1) | instid1(VALU_DEP_2)
	v_or_b32_e32 v148, v148, v150
	v_and_b32_e32 v160, 7, v150
	v_cmp_ne_u32_e32 vcc_lo, 0, v148
	v_lshlrev_b32_e32 v151, 3, v151
	s_delay_alu instid0(VALU_DEP_1) | instskip(NEXT) | instid1(VALU_DEP_1)
	v_or3_b32 v149, v151, v149, v160
	v_cndmask_b32_e32 v148, 0, v149, vcc_lo
.LBB4_3519:                             ;   in Loop: Header=BB4_2983 Depth=2
	s_or_b32 exec_lo, exec_lo, s24
.LBB4_3520:                             ;   in Loop: Header=BB4_2983 Depth=2
	s_delay_alu instid0(SALU_CYCLE_1) | instskip(SKIP_3) | instid1(VALU_DEP_1)
	s_or_b32 exec_lo, exec_lo, s23
	v_and_b32_e32 v150, 0xff, v146
	s_mov_b32 s7, 0
	s_mov_b32 s24, exec_lo
                                        ; implicit-def: $sgpr23
	v_cmpx_lt_i16_e64 0x7f, v150
	s_xor_b32 s24, exec_lo, s24
	s_cbranch_execnz .LBB4_4086
; %bb.3521:                             ;   in Loop: Header=BB4_2983 Depth=2
	s_or_saveexec_b32 s24, s24
	v_mov_b32_e32 v149, s23
	s_xor_b32 exec_lo, exec_lo, s24
	s_cbranch_execnz .LBB4_4089
.LBB4_3522:                             ;   in Loop: Header=BB4_2983 Depth=2
	s_or_b32 exec_lo, exec_lo, s24
	s_and_saveexec_b32 s23, s7
	s_cbranch_execz .LBB4_3524
.LBB4_3523:                             ;   in Loop: Header=BB4_2983 Depth=2
	v_and_b32_e32 v149, 7, v146
	v_bfe_u32 v160, v146, 3, 4
	s_delay_alu instid0(VALU_DEP_2) | instskip(NEXT) | instid1(VALU_DEP_2)
	v_clz_i32_u32_e32 v150, v149
	v_cmp_eq_u32_e32 vcc_lo, 0, v160
	s_delay_alu instid0(VALU_DEP_2) | instskip(NEXT) | instid1(VALU_DEP_1)
	v_min_u32_e32 v150, 32, v150
	v_subrev_nc_u32_e32 v151, 28, v150
	v_sub_nc_u32_e32 v150, 29, v150
	s_delay_alu instid0(VALU_DEP_2) | instskip(NEXT) | instid1(VALU_DEP_1)
	v_lshlrev_b32_e32 v151, v151, v146
	v_dual_cndmask_b32 v150, v160, v150 :: v_dual_and_b32 v151, 7, v151
	v_lshlrev_b32_e32 v146, 24, v146
	s_delay_alu instid0(VALU_DEP_2) | instskip(NEXT) | instid1(VALU_DEP_2)
	v_lshl_add_u32 v150, v150, 23, 0x3b800000
	v_dual_cndmask_b32 v149, v149, v151 :: v_dual_and_b32 v146, 0x80000000, v146
	s_delay_alu instid0(VALU_DEP_1) | instskip(NEXT) | instid1(VALU_DEP_1)
	v_lshlrev_b32_e32 v149, 20, v149
	v_or3_b32 v149, v146, v150, v149
.LBB4_3524:                             ;   in Loop: Header=BB4_2983 Depth=2
	s_or_b32 exec_lo, exec_lo, s23
	v_lshrrev_b16 v146, 8, v16
	s_mov_b32 s7, 0
	s_mov_b32 s24, exec_lo
                                        ; implicit-def: $sgpr23
	s_delay_alu instid0(VALU_DEP_1)
	v_cmpx_lt_i16_e64 0x7f, v146
	s_xor_b32 s24, exec_lo, s24
	s_cbranch_execnz .LBB4_4090
; %bb.3525:                             ;   in Loop: Header=BB4_2983 Depth=2
	s_or_saveexec_b32 s24, s24
	v_mov_b32_e32 v150, s23
	s_xor_b32 exec_lo, exec_lo, s24
	s_cbranch_execnz .LBB4_4093
.LBB4_3526:                             ;   in Loop: Header=BB4_2983 Depth=2
	s_or_b32 exec_lo, exec_lo, s24
	s_and_saveexec_b32 s23, s7
	s_cbranch_execz .LBB4_3528
.LBB4_3527:                             ;   in Loop: Header=BB4_2983 Depth=2
	v_and_b32_e32 v150, 0xffff, v146
	v_lshlrev_b32_e32 v146, 24, v146
	s_delay_alu instid0(VALU_DEP_2) | instskip(NEXT) | instid1(VALU_DEP_2)
	v_and_b32_e32 v151, 7, v150
	v_and_b32_e32 v146, 0x80000000, v146
	s_delay_alu instid0(VALU_DEP_2) | instskip(NEXT) | instid1(VALU_DEP_1)
	v_clz_i32_u32_e32 v160, v151
	v_min_u32_e32 v160, 32, v160
	s_delay_alu instid0(VALU_DEP_1) | instskip(SKIP_1) | instid1(VALU_DEP_2)
	v_subrev_nc_u32_e32 v161, 28, v160
	v_sub_nc_u32_e32 v160, 29, v160
	v_lshlrev_b32_e32 v161, v161, v150
	v_bfe_u32 v150, v150, 3, 4
	s_delay_alu instid0(VALU_DEP_2) | instskip(NEXT) | instid1(VALU_DEP_2)
	v_and_b32_e32 v161, 7, v161
	v_cmp_eq_u32_e32 vcc_lo, 0, v150
	s_delay_alu instid0(VALU_DEP_2) | instskip(NEXT) | instid1(VALU_DEP_1)
	v_dual_cndmask_b32 v150, v150, v160 :: v_dual_cndmask_b32 v151, v151, v161
	v_lshl_add_u32 v150, v150, 23, 0x3b800000
	s_delay_alu instid0(VALU_DEP_2) | instskip(NEXT) | instid1(VALU_DEP_1)
	v_lshlrev_b32_e32 v151, 20, v151
	v_or3_b32 v150, v146, v150, v151
.LBB4_3528:                             ;   in Loop: Header=BB4_2983 Depth=2
	s_or_b32 exec_lo, exec_lo, s23
	s_delay_alu instid0(VALU_DEP_1) | instskip(NEXT) | instid1(VALU_DEP_1)
	v_add_f32_e32 v149, v149, v150
	v_and_b32_e32 v146, 0x7f800000, v149
	s_delay_alu instid0(VALU_DEP_1)
	v_cmp_ne_u32_e32 vcc_lo, 0x7f800000, v146
	v_mov_b32_e32 v146, 0x80
	s_and_saveexec_b32 s23, vcc_lo
	s_cbranch_execz .LBB4_3536
; %bb.3529:                             ;   in Loop: Header=BB4_2983 Depth=2
	v_mov_b32_e32 v146, 0
	s_mov_b32 s24, exec_lo
	v_cmpx_ne_u32_e32 0, v149
	s_cbranch_execz .LBB4_3535
; %bb.3530:                             ;   in Loop: Header=BB4_2983 Depth=2
	v_bfe_u32 v146, v149, 23, 8
	s_delay_alu instid0(VALU_DEP_1) | instskip(SKIP_1) | instid1(VALU_DEP_2)
	v_sub_nc_u32_e32 v151, 0x78, v146
	v_cmp_gt_u32_e32 vcc_lo, 0x79, v146
	v_dual_cndmask_b32 v151, 0, v151 :: v_dual_and_b32 v150, 0x7fffff, v149
	s_delay_alu instid0(VALU_DEP_1) | instskip(SKIP_2) | instid1(VALU_DEP_4)
	v_or_b32_e32 v160, 0x800000, v150
	v_cmp_eq_u32_e32 vcc_lo, 0, v146
	v_add_nc_u32_e32 v146, 0xffffff89, v146
	v_cndmask_b32_e64 v151, v151, 0x77, vcc_lo
	s_delay_alu instid0(VALU_DEP_4) | instskip(NEXT) | instid1(VALU_DEP_3)
	v_cndmask_b32_e32 v150, v160, v150, vcc_lo
	v_cndmask_b32_e64 v146, v146, 0xffffff8a, vcc_lo
	s_delay_alu instid0(VALU_DEP_3) | instskip(NEXT) | instid1(VALU_DEP_3)
	v_lshl_add_u32 v160, 0x100000, v151, -1
	v_lshrrev_b32_e32 v161, v151, v150
	v_lshlrev_b32_e64 v163, v151, 0x80000
	s_delay_alu instid0(VALU_DEP_4) | instskip(NEXT) | instid1(VALU_DEP_4)
	v_add_nc_u32_e32 v151, v151, v146
	v_and_b32_e32 v150, v160, v150
	s_delay_alu instid0(VALU_DEP_4) | instskip(NEXT) | instid1(VALU_DEP_2)
	v_bfe_u32 v162, v161, 20, 1
	v_cmp_eq_u32_e64 s7, v150, v163
	s_delay_alu instid0(VALU_DEP_2) | instskip(NEXT) | instid1(VALU_DEP_1)
	v_add_nc_u32_e32 v160, -1, v162
	v_cndmask_b32_e64 v150, 0, v160, s7
	v_lshrrev_b32_e32 v160, 23, v161
	s_mov_b32 s7, exec_lo
	s_delay_alu instid0(VALU_DEP_2) | instskip(NEXT) | instid1(VALU_DEP_2)
	v_add_nc_u32_e32 v150, v150, v161
	v_xor_b32_e32 v160, 1, v160
	s_delay_alu instid0(VALU_DEP_2) | instskip(NEXT) | instid1(VALU_DEP_1)
	v_and_b32_e32 v146, 0xfffff, v150
	v_add_nc_u32_e32 v150, v146, v161
                                        ; implicit-def: $vgpr146
	s_delay_alu instid0(VALU_DEP_3)
	v_cmpx_ne_u32_e64 v151, v160
	s_xor_b32 s7, exec_lo, s7
; %bb.3531:                             ;   in Loop: Header=BB4_2983 Depth=2
	s_delay_alu instid0(VALU_DEP_2) | instskip(SKIP_2) | instid1(VALU_DEP_2)
	v_cmp_lt_u32_e32 vcc_lo, 0xffffff, v150
	v_sub_nc_u32_e32 v146, v151, v160
	v_cndmask_b32_e64 v151, 0, 1, vcc_lo
	v_add_co_ci_u32_e32 v146, vcc_lo, 0, v146, vcc_lo
	s_delay_alu instid0(VALU_DEP_2)
	v_lshrrev_b32_e32 v150, v151, v150
; %bb.3532:                             ;   in Loop: Header=BB4_2983 Depth=2
	s_and_not1_saveexec_b32 s7, s7
; %bb.3533:                             ;   in Loop: Header=BB4_2983 Depth=2
	s_delay_alu instid0(VALU_DEP_1)
	v_bfe_u32 v146, v150, 23, 1
; %bb.3534:                             ;   in Loop: Header=BB4_2983 Depth=2
	s_or_b32 exec_lo, exec_lo, s7
	v_lshrrev_b32_e32 v150, 20, v150
	s_delay_alu instid0(VALU_DEP_2) | instskip(SKIP_2) | instid1(VALU_DEP_2)
	v_cmp_gt_i32_e32 vcc_lo, 16, v146
	v_lshrrev_b32_e32 v149, 24, v149
	v_min_i32_e32 v151, 15, v146
	v_dual_cndmask_b32 v150, 7, v150 :: v_dual_and_b32 v149, 0x80, v149
	s_delay_alu instid0(VALU_DEP_1) | instskip(SKIP_1) | instid1(VALU_DEP_2)
	v_or_b32_e32 v146, v146, v150
	v_and_b32_e32 v160, 7, v150
	v_cmp_ne_u32_e32 vcc_lo, 0, v146
	v_lshlrev_b32_e32 v151, 3, v151
	s_delay_alu instid0(VALU_DEP_1) | instskip(NEXT) | instid1(VALU_DEP_1)
	v_or3_b32 v149, v151, v149, v160
	v_cndmask_b32_e32 v146, 0, v149, vcc_lo
.LBB4_3535:                             ;   in Loop: Header=BB4_2983 Depth=2
	s_or_b32 exec_lo, exec_lo, s24
.LBB4_3536:                             ;   in Loop: Header=BB4_2983 Depth=2
	s_delay_alu instid0(SALU_CYCLE_1) | instskip(SKIP_3) | instid1(VALU_DEP_1)
	s_or_b32 exec_lo, exec_lo, s23
	v_and_b32_e32 v150, 0xff, v145
	s_mov_b32 s7, 0
	s_mov_b32 s24, exec_lo
                                        ; implicit-def: $sgpr23
	v_cmpx_lt_i16_e64 0x7f, v150
	s_xor_b32 s24, exec_lo, s24
	s_cbranch_execnz .LBB4_4094
; %bb.3537:                             ;   in Loop: Header=BB4_2983 Depth=2
	s_or_saveexec_b32 s24, s24
	v_mov_b32_e32 v149, s23
	s_xor_b32 exec_lo, exec_lo, s24
	s_cbranch_execnz .LBB4_4097
.LBB4_3538:                             ;   in Loop: Header=BB4_2983 Depth=2
	s_or_b32 exec_lo, exec_lo, s24
	s_and_saveexec_b32 s23, s7
	s_cbranch_execz .LBB4_3540
.LBB4_3539:                             ;   in Loop: Header=BB4_2983 Depth=2
	v_bfe_u32 v160, v145, 3, 4
	s_delay_alu instid0(VALU_DEP_1) | instskip(SKIP_1) | instid1(VALU_DEP_1)
	v_cmp_eq_u32_e32 vcc_lo, 0, v160
	v_and_b32_e32 v149, 7, v145
	v_clz_i32_u32_e32 v150, v149
	s_delay_alu instid0(VALU_DEP_1) | instskip(NEXT) | instid1(VALU_DEP_1)
	v_min_u32_e32 v150, 32, v150
	v_subrev_nc_u32_e32 v151, 28, v150
	v_sub_nc_u32_e32 v150, 29, v150
	s_delay_alu instid0(VALU_DEP_1) | instskip(SKIP_1) | instid1(VALU_DEP_2)
	v_dual_cndmask_b32 v150, v160, v150 :: v_dual_lshlrev_b32 v151, v151, v145
	v_lshlrev_b32_e32 v145, 24, v145
	v_and_b32_e32 v151, 7, v151
	s_delay_alu instid0(VALU_DEP_3) | instskip(NEXT) | instid1(VALU_DEP_3)
	v_lshl_add_u32 v150, v150, 23, 0x3b800000
	v_and_b32_e32 v145, 0x80000000, v145
	s_delay_alu instid0(VALU_DEP_3) | instskip(NEXT) | instid1(VALU_DEP_1)
	v_cndmask_b32_e32 v149, v149, v151, vcc_lo
	v_lshlrev_b32_e32 v149, 20, v149
	s_delay_alu instid0(VALU_DEP_1)
	v_or3_b32 v149, v145, v150, v149
.LBB4_3540:                             ;   in Loop: Header=BB4_2983 Depth=2
	s_or_b32 exec_lo, exec_lo, s23
	v_lshrrev_b32_e32 v145, 16, v16
	s_mov_b32 s7, 0
	s_mov_b32 s24, exec_lo
                                        ; implicit-def: $sgpr23
	s_delay_alu instid0(VALU_DEP_1) | instskip(NEXT) | instid1(VALU_DEP_1)
	v_and_b32_e32 v151, 0xff, v145
	v_cmpx_lt_i16_e64 0x7f, v151
	s_xor_b32 s24, exec_lo, s24
	s_cbranch_execnz .LBB4_4098
; %bb.3541:                             ;   in Loop: Header=BB4_2983 Depth=2
	s_or_saveexec_b32 s24, s24
	v_mov_b32_e32 v150, s23
	s_xor_b32 exec_lo, exec_lo, s24
	s_cbranch_execnz .LBB4_4101
.LBB4_3542:                             ;   in Loop: Header=BB4_2983 Depth=2
	s_or_b32 exec_lo, exec_lo, s24
	s_and_saveexec_b32 s23, s7
	s_cbranch_execz .LBB4_3544
.LBB4_3543:                             ;   in Loop: Header=BB4_2983 Depth=2
	v_bfe_u32 v150, v16, 16, 3
	v_lshlrev_b32_e32 v161, 8, v16
	s_delay_alu instid0(VALU_DEP_2) | instskip(NEXT) | instid1(VALU_DEP_1)
	v_clz_i32_u32_e32 v151, v150
	v_min_u32_e32 v151, 32, v151
	s_delay_alu instid0(VALU_DEP_1) | instskip(SKIP_1) | instid1(VALU_DEP_2)
	v_subrev_nc_u32_e32 v160, 28, v151
	v_sub_nc_u32_e32 v151, 29, v151
	v_lshlrev_b32_e32 v145, v160, v145
	v_bfe_u32 v160, v16, 19, 4
	s_delay_alu instid0(VALU_DEP_2) | instskip(NEXT) | instid1(VALU_DEP_2)
	v_and_b32_e32 v145, 7, v145
	v_cmp_eq_u32_e32 vcc_lo, 0, v160
	v_cndmask_b32_e32 v151, v160, v151, vcc_lo
	s_delay_alu instid0(VALU_DEP_3) | instskip(SKIP_1) | instid1(VALU_DEP_3)
	v_cndmask_b32_e32 v145, v150, v145, vcc_lo
	v_and_b32_e32 v150, 0x80000000, v161
	v_lshl_add_u32 v151, v151, 23, 0x3b800000
	s_delay_alu instid0(VALU_DEP_3) | instskip(NEXT) | instid1(VALU_DEP_1)
	v_lshlrev_b32_e32 v145, 20, v145
	v_or3_b32 v150, v150, v151, v145
.LBB4_3544:                             ;   in Loop: Header=BB4_2983 Depth=2
	s_or_b32 exec_lo, exec_lo, s23
	s_delay_alu instid0(VALU_DEP_1) | instskip(NEXT) | instid1(VALU_DEP_1)
	v_add_f32_e32 v149, v149, v150
	v_and_b32_e32 v145, 0x7f800000, v149
	s_delay_alu instid0(VALU_DEP_1)
	v_cmp_ne_u32_e32 vcc_lo, 0x7f800000, v145
	v_mov_b32_e32 v145, 0x80
	s_and_saveexec_b32 s23, vcc_lo
	s_cbranch_execz .LBB4_3552
; %bb.3545:                             ;   in Loop: Header=BB4_2983 Depth=2
	v_mov_b32_e32 v145, 0
	s_mov_b32 s24, exec_lo
	v_cmpx_ne_u32_e32 0, v149
	s_cbranch_execz .LBB4_3551
; %bb.3546:                             ;   in Loop: Header=BB4_2983 Depth=2
	v_bfe_u32 v145, v149, 23, 8
	s_delay_alu instid0(VALU_DEP_1) | instskip(SKIP_1) | instid1(VALU_DEP_2)
	v_sub_nc_u32_e32 v151, 0x78, v145
	v_cmp_gt_u32_e32 vcc_lo, 0x79, v145
	v_dual_cndmask_b32 v151, 0, v151 :: v_dual_and_b32 v150, 0x7fffff, v149
	s_delay_alu instid0(VALU_DEP_1) | instskip(SKIP_2) | instid1(VALU_DEP_4)
	v_or_b32_e32 v160, 0x800000, v150
	v_cmp_eq_u32_e32 vcc_lo, 0, v145
	v_add_nc_u32_e32 v145, 0xffffff89, v145
	v_cndmask_b32_e64 v151, v151, 0x77, vcc_lo
	s_delay_alu instid0(VALU_DEP_4) | instskip(NEXT) | instid1(VALU_DEP_3)
	v_cndmask_b32_e32 v150, v160, v150, vcc_lo
	v_cndmask_b32_e64 v145, v145, 0xffffff8a, vcc_lo
	s_delay_alu instid0(VALU_DEP_3) | instskip(NEXT) | instid1(VALU_DEP_3)
	v_lshl_add_u32 v160, 0x100000, v151, -1
	v_lshrrev_b32_e32 v161, v151, v150
	v_lshlrev_b32_e64 v163, v151, 0x80000
	s_delay_alu instid0(VALU_DEP_4) | instskip(NEXT) | instid1(VALU_DEP_4)
	v_add_nc_u32_e32 v151, v151, v145
	v_and_b32_e32 v150, v160, v150
	s_delay_alu instid0(VALU_DEP_4) | instskip(NEXT) | instid1(VALU_DEP_2)
	v_bfe_u32 v162, v161, 20, 1
	v_cmp_eq_u32_e64 s7, v150, v163
	s_delay_alu instid0(VALU_DEP_2) | instskip(NEXT) | instid1(VALU_DEP_1)
	v_add_nc_u32_e32 v160, -1, v162
	v_cndmask_b32_e64 v150, 0, v160, s7
	v_lshrrev_b32_e32 v160, 23, v161
	s_mov_b32 s7, exec_lo
	s_delay_alu instid0(VALU_DEP_2) | instskip(NEXT) | instid1(VALU_DEP_2)
	v_add_nc_u32_e32 v150, v150, v161
	v_xor_b32_e32 v160, 1, v160
	s_delay_alu instid0(VALU_DEP_2) | instskip(NEXT) | instid1(VALU_DEP_1)
	v_and_b32_e32 v145, 0xfffff, v150
	v_add_nc_u32_e32 v150, v145, v161
                                        ; implicit-def: $vgpr145
	s_delay_alu instid0(VALU_DEP_3)
	v_cmpx_ne_u32_e64 v151, v160
	s_xor_b32 s7, exec_lo, s7
; %bb.3547:                             ;   in Loop: Header=BB4_2983 Depth=2
	s_delay_alu instid0(VALU_DEP_2) | instskip(SKIP_2) | instid1(VALU_DEP_2)
	v_cmp_lt_u32_e32 vcc_lo, 0xffffff, v150
	v_sub_nc_u32_e32 v145, v151, v160
	v_cndmask_b32_e64 v151, 0, 1, vcc_lo
	v_add_co_ci_u32_e32 v145, vcc_lo, 0, v145, vcc_lo
	s_delay_alu instid0(VALU_DEP_2)
	v_lshrrev_b32_e32 v150, v151, v150
; %bb.3548:                             ;   in Loop: Header=BB4_2983 Depth=2
	s_and_not1_saveexec_b32 s7, s7
; %bb.3549:                             ;   in Loop: Header=BB4_2983 Depth=2
	s_delay_alu instid0(VALU_DEP_1)
	v_bfe_u32 v145, v150, 23, 1
; %bb.3550:                             ;   in Loop: Header=BB4_2983 Depth=2
	s_or_b32 exec_lo, exec_lo, s7
	v_lshrrev_b32_e32 v150, 20, v150
	s_delay_alu instid0(VALU_DEP_2) | instskip(SKIP_2) | instid1(VALU_DEP_2)
	v_cmp_gt_i32_e32 vcc_lo, 16, v145
	v_lshrrev_b32_e32 v149, 24, v149
	v_min_i32_e32 v151, 15, v145
	v_dual_cndmask_b32 v150, 7, v150 :: v_dual_and_b32 v149, 0x80, v149
	s_delay_alu instid0(VALU_DEP_2) | instskip(NEXT) | instid1(VALU_DEP_2)
	v_lshlrev_b32_e32 v151, 3, v151
	v_or_b32_e32 v145, v145, v150
	s_delay_alu instid0(VALU_DEP_1) | instskip(SKIP_1) | instid1(VALU_DEP_1)
	v_cmp_ne_u32_e32 vcc_lo, 0, v145
	v_and_b32_e32 v160, 7, v150
	v_or3_b32 v149, v151, v149, v160
	s_delay_alu instid0(VALU_DEP_1)
	v_cndmask_b32_e32 v145, 0, v149, vcc_lo
.LBB4_3551:                             ;   in Loop: Header=BB4_2983 Depth=2
	s_or_b32 exec_lo, exec_lo, s24
.LBB4_3552:                             ;   in Loop: Header=BB4_2983 Depth=2
	s_delay_alu instid0(SALU_CYCLE_1) | instskip(SKIP_3) | instid1(VALU_DEP_1)
	s_or_b32 exec_lo, exec_lo, s23
	v_and_b32_e32 v150, 0xff, v134
	s_mov_b32 s7, 0
	s_mov_b32 s24, exec_lo
                                        ; implicit-def: $sgpr23
	v_cmpx_lt_i16_e64 0x7f, v150
	s_xor_b32 s24, exec_lo, s24
	s_cbranch_execnz .LBB4_4102
; %bb.3553:                             ;   in Loop: Header=BB4_2983 Depth=2
	s_or_saveexec_b32 s24, s24
	v_mov_b32_e32 v149, s23
	s_xor_b32 exec_lo, exec_lo, s24
	s_cbranch_execnz .LBB4_4105
.LBB4_3554:                             ;   in Loop: Header=BB4_2983 Depth=2
	s_or_b32 exec_lo, exec_lo, s24
	s_and_saveexec_b32 s23, s7
	s_cbranch_execz .LBB4_3556
.LBB4_3555:                             ;   in Loop: Header=BB4_2983 Depth=2
	v_lshlrev_b32_e32 v134, 8, v134
	s_delay_alu instid0(VALU_DEP_1) | instskip(SKIP_1) | instid1(VALU_DEP_2)
	v_and_b32_e32 v149, 0xff00, v134
	v_bfe_u32 v134, v134, 11, 4
	v_bfe_u32 v151, v149, 8, 3
	s_delay_alu instid0(VALU_DEP_2) | instskip(NEXT) | instid1(VALU_DEP_2)
	v_cmp_eq_u32_e32 vcc_lo, 0, v134
	v_clz_i32_u32_e32 v160, v151
	s_delay_alu instid0(VALU_DEP_1) | instskip(NEXT) | instid1(VALU_DEP_1)
	v_min_u32_e32 v160, 32, v160
	v_subrev_nc_u32_e32 v161, 28, v160
	v_sub_nc_u32_e32 v160, 29, v160
	s_delay_alu instid0(VALU_DEP_2) | instskip(NEXT) | instid1(VALU_DEP_2)
	v_lshlrev_b32_e32 v150, v161, v150
	v_cndmask_b32_e32 v134, v134, v160, vcc_lo
	s_delay_alu instid0(VALU_DEP_2) | instskip(SKIP_1) | instid1(VALU_DEP_3)
	v_and_b32_e32 v150, 7, v150
	v_lshlrev_b32_e32 v149, 16, v149
	v_lshl_add_u32 v134, v134, 23, 0x3b800000
	s_delay_alu instid0(VALU_DEP_2) | instskip(NEXT) | instid1(VALU_DEP_1)
	v_dual_cndmask_b32 v150, v151, v150 :: v_dual_and_b32 v149, 0x80000000, v149
	v_lshlrev_b32_e32 v150, 20, v150
	s_delay_alu instid0(VALU_DEP_1)
	v_or3_b32 v149, v149, v134, v150
.LBB4_3556:                             ;   in Loop: Header=BB4_2983 Depth=2
	s_or_b32 exec_lo, exec_lo, s23
	v_lshrrev_b32_e32 v134, 24, v16
	s_mov_b32 s7, 0
	s_mov_b32 s24, exec_lo
                                        ; implicit-def: $sgpr23
	s_delay_alu instid0(VALU_DEP_1)
	v_cmpx_lt_i16_e64 0x7f, v134
	s_xor_b32 s24, exec_lo, s24
	s_cbranch_execnz .LBB4_4106
; %bb.3557:                             ;   in Loop: Header=BB4_2983 Depth=2
	s_or_saveexec_b32 s24, s24
	v_mov_b32_e32 v150, s23
	s_xor_b32 exec_lo, exec_lo, s24
	s_cbranch_execnz .LBB4_4109
.LBB4_3558:                             ;   in Loop: Header=BB4_2983 Depth=2
	s_or_b32 exec_lo, exec_lo, s24
	s_and_saveexec_b32 s23, s7
	s_cbranch_execz .LBB4_3560
.LBB4_3559:                             ;   in Loop: Header=BB4_2983 Depth=2
	v_bfe_u32 v150, v16, 24, 3
	s_delay_alu instid0(VALU_DEP_1) | instskip(NEXT) | instid1(VALU_DEP_1)
	v_clz_i32_u32_e32 v151, v150
	v_min_u32_e32 v151, 32, v151
	s_delay_alu instid0(VALU_DEP_1) | instskip(SKIP_1) | instid1(VALU_DEP_2)
	v_subrev_nc_u32_e32 v160, 28, v151
	v_sub_nc_u32_e32 v151, 29, v151
	v_lshlrev_b32_e32 v134, v160, v134
	v_bfe_u32 v160, v16, 27, 4
	v_and_b32_e32 v16, 0x80000000, v16
	s_delay_alu instid0(VALU_DEP_2) | instskip(NEXT) | instid1(VALU_DEP_4)
	v_cmp_eq_u32_e32 vcc_lo, 0, v160
	v_dual_cndmask_b32 v151, v160, v151 :: v_dual_and_b32 v134, 7, v134
	s_delay_alu instid0(VALU_DEP_1) | instskip(NEXT) | instid1(VALU_DEP_2)
	v_cndmask_b32_e32 v134, v150, v134, vcc_lo
	v_lshl_add_u32 v150, v151, 23, 0x3b800000
	s_delay_alu instid0(VALU_DEP_2) | instskip(NEXT) | instid1(VALU_DEP_1)
	v_lshlrev_b32_e32 v134, 20, v134
	v_or3_b32 v150, v16, v150, v134
.LBB4_3560:                             ;   in Loop: Header=BB4_2983 Depth=2
	s_or_b32 exec_lo, exec_lo, s23
	s_delay_alu instid0(VALU_DEP_1) | instskip(NEXT) | instid1(VALU_DEP_1)
	v_add_f32_e32 v134, v149, v150
	v_and_b32_e32 v16, 0x7f800000, v134
	s_delay_alu instid0(VALU_DEP_1)
	v_cmp_ne_u32_e32 vcc_lo, 0x7f800000, v16
	v_mov_b32_e32 v16, 0x80
	s_and_saveexec_b32 s23, vcc_lo
	s_cbranch_execz .LBB4_3568
; %bb.3561:                             ;   in Loop: Header=BB4_2983 Depth=2
	v_mov_b32_e32 v16, 0
	s_mov_b32 s24, exec_lo
	v_cmpx_ne_u32_e32 0, v134
	s_cbranch_execz .LBB4_3567
; %bb.3562:                             ;   in Loop: Header=BB4_2983 Depth=2
	v_bfe_u32 v16, v134, 23, 8
	v_and_b32_e32 v149, 0x7fffff, v134
	s_delay_alu instid0(VALU_DEP_2) | instskip(SKIP_1) | instid1(VALU_DEP_3)
	v_sub_nc_u32_e32 v150, 0x78, v16
	v_cmp_gt_u32_e32 vcc_lo, 0x79, v16
	v_or_b32_e32 v151, 0x800000, v149
	s_delay_alu instid0(VALU_DEP_3) | instskip(SKIP_1) | instid1(VALU_DEP_3)
	v_cndmask_b32_e32 v150, 0, v150, vcc_lo
	v_cmp_eq_u32_e32 vcc_lo, 0, v16
	v_dual_cndmask_b32 v149, v151, v149 :: v_dual_add_nc_u32 v16, 0xffffff89, v16
	s_delay_alu instid0(VALU_DEP_3) | instskip(NEXT) | instid1(VALU_DEP_2)
	v_cndmask_b32_e64 v150, v150, 0x77, vcc_lo
	v_cndmask_b32_e64 v16, v16, 0xffffff8a, vcc_lo
	s_delay_alu instid0(VALU_DEP_2) | instskip(SKIP_2) | instid1(VALU_DEP_4)
	v_lshrrev_b32_e32 v160, v150, v149
	v_lshl_add_u32 v151, 0x100000, v150, -1
	v_lshlrev_b32_e64 v162, v150, 0x80000
	v_add_nc_u32_e32 v150, v150, v16
	s_delay_alu instid0(VALU_DEP_4) | instskip(NEXT) | instid1(VALU_DEP_4)
	v_bfe_u32 v161, v160, 20, 1
	v_and_b32_e32 v149, v151, v149
	s_delay_alu instid0(VALU_DEP_2) | instskip(NEXT) | instid1(VALU_DEP_2)
	v_add_nc_u32_e32 v151, -1, v161
	v_cmp_eq_u32_e64 s7, v149, v162
	s_delay_alu instid0(VALU_DEP_1) | instskip(SKIP_2) | instid1(VALU_DEP_2)
	v_cndmask_b32_e64 v149, 0, v151, s7
	v_lshrrev_b32_e32 v151, 23, v160
	s_mov_b32 s7, exec_lo
	v_add_nc_u32_e32 v149, v149, v160
	s_delay_alu instid0(VALU_DEP_2) | instskip(NEXT) | instid1(VALU_DEP_2)
	v_xor_b32_e32 v151, 1, v151
	v_and_b32_e32 v16, 0xfffff, v149
	s_delay_alu instid0(VALU_DEP_1) | instskip(NEXT) | instid1(VALU_DEP_3)
	v_add_nc_u32_e32 v149, v16, v160
                                        ; implicit-def: $vgpr16
	v_cmpx_ne_u32_e64 v150, v151
	s_xor_b32 s7, exec_lo, s7
; %bb.3563:                             ;   in Loop: Header=BB4_2983 Depth=2
	s_delay_alu instid0(VALU_DEP_2) | instskip(SKIP_2) | instid1(VALU_DEP_2)
	v_cmp_lt_u32_e32 vcc_lo, 0xffffff, v149
	v_sub_nc_u32_e32 v16, v150, v151
	v_cndmask_b32_e64 v150, 0, 1, vcc_lo
	v_add_co_ci_u32_e32 v16, vcc_lo, 0, v16, vcc_lo
	s_delay_alu instid0(VALU_DEP_2)
	v_lshrrev_b32_e32 v149, v150, v149
; %bb.3564:                             ;   in Loop: Header=BB4_2983 Depth=2
	s_and_not1_saveexec_b32 s7, s7
; %bb.3565:                             ;   in Loop: Header=BB4_2983 Depth=2
	s_delay_alu instid0(VALU_DEP_1)
	v_bfe_u32 v16, v149, 23, 1
; %bb.3566:                             ;   in Loop: Header=BB4_2983 Depth=2
	s_or_b32 exec_lo, exec_lo, s7
	v_lshrrev_b32_e32 v149, 20, v149
	s_delay_alu instid0(VALU_DEP_2) | instskip(SKIP_2) | instid1(VALU_DEP_2)
	v_cmp_gt_i32_e32 vcc_lo, 16, v16
	v_lshrrev_b32_e32 v134, 24, v134
	v_min_i32_e32 v150, 15, v16
	v_dual_cndmask_b32 v149, 7, v149 :: v_dual_and_b32 v134, 0x80, v134
	s_delay_alu instid0(VALU_DEP_2) | instskip(NEXT) | instid1(VALU_DEP_2)
	v_lshlrev_b32_e32 v150, 3, v150
	v_or_b32_e32 v16, v16, v149
	s_delay_alu instid0(VALU_DEP_1) | instskip(SKIP_1) | instid1(VALU_DEP_1)
	v_cmp_ne_u32_e32 vcc_lo, 0, v16
	v_and_b32_e32 v151, 7, v149
	v_or3_b32 v134, v150, v134, v151
	s_delay_alu instid0(VALU_DEP_1)
	v_cndmask_b32_e32 v16, 0, v134, vcc_lo
.LBB4_3567:                             ;   in Loop: Header=BB4_2983 Depth=2
	s_or_b32 exec_lo, exec_lo, s24
.LBB4_3568:                             ;   in Loop: Header=BB4_2983 Depth=2
	s_delay_alu instid0(SALU_CYCLE_1) | instskip(SKIP_3) | instid1(VALU_DEP_1)
	s_or_b32 exec_lo, exec_lo, s23
	v_or_b32_e32 v147, v147, v133
	s_mov_b32 s7, 0
	s_mov_b32 s24, exec_lo
                                        ; implicit-def: $sgpr23
	v_and_b32_e32 v134, 0xff, v147
	s_delay_alu instid0(VALU_DEP_1)
	v_cmpx_lt_i16_e64 0x7f, v134
	s_xor_b32 s24, exec_lo, s24
	s_cbranch_execnz .LBB4_4110
; %bb.3569:                             ;   in Loop: Header=BB4_2983 Depth=2
	s_or_saveexec_b32 s24, s24
	v_mov_b32_e32 v133, s23
	s_xor_b32 exec_lo, exec_lo, s24
	s_cbranch_execnz .LBB4_4113
.LBB4_3570:                             ;   in Loop: Header=BB4_2983 Depth=2
	s_or_b32 exec_lo, exec_lo, s24
	s_and_saveexec_b32 s23, s7
	s_cbranch_execz .LBB4_3572
.LBB4_3571:                             ;   in Loop: Header=BB4_2983 Depth=2
	v_bfe_u32 v150, v147, 3, 4
	v_lshlrev_b32_e32 v151, 24, v147
	s_delay_alu instid0(VALU_DEP_2) | instskip(SKIP_1) | instid1(VALU_DEP_1)
	v_cmp_eq_u32_e32 vcc_lo, 0, v150
	v_and_b32_e32 v133, 7, v147
	v_clz_i32_u32_e32 v134, v133
	s_delay_alu instid0(VALU_DEP_1) | instskip(NEXT) | instid1(VALU_DEP_1)
	v_min_u32_e32 v134, 32, v134
	v_subrev_nc_u32_e32 v149, 28, v134
	v_sub_nc_u32_e32 v134, 29, v134
	s_delay_alu instid0(VALU_DEP_1) | instskip(NEXT) | instid1(VALU_DEP_1)
	v_dual_cndmask_b32 v134, v150, v134 :: v_dual_lshlrev_b32 v149, v149, v147
	v_and_b32_e32 v149, 7, v149
	s_delay_alu instid0(VALU_DEP_2) | instskip(NEXT) | instid1(VALU_DEP_2)
	v_lshl_add_u32 v134, v134, 23, 0x3b800000
	v_cndmask_b32_e32 v133, v133, v149, vcc_lo
	v_and_b32_e32 v149, 0x80000000, v151
	s_delay_alu instid0(VALU_DEP_2) | instskip(NEXT) | instid1(VALU_DEP_1)
	v_lshlrev_b32_e32 v133, 20, v133
	v_or3_b32 v133, v149, v134, v133
.LBB4_3572:                             ;   in Loop: Header=BB4_2983 Depth=2
	s_or_b32 exec_lo, exec_lo, s23
	v_and_b32_e32 v149, 0xff, v17
	s_mov_b32 s7, 0
	s_mov_b32 s24, exec_lo
                                        ; implicit-def: $sgpr23
	s_delay_alu instid0(VALU_DEP_1)
	v_cmpx_lt_i16_e64 0x7f, v149
	s_xor_b32 s24, exec_lo, s24
	s_cbranch_execnz .LBB4_4114
; %bb.3573:                             ;   in Loop: Header=BB4_2983 Depth=2
	s_or_saveexec_b32 s24, s24
	v_mov_b32_e32 v134, s23
	s_xor_b32 exec_lo, exec_lo, s24
	s_cbranch_execnz .LBB4_4117
.LBB4_3574:                             ;   in Loop: Header=BB4_2983 Depth=2
	s_or_b32 exec_lo, exec_lo, s24
	s_and_saveexec_b32 s23, s7
	s_cbranch_execz .LBB4_3576
.LBB4_3575:                             ;   in Loop: Header=BB4_2983 Depth=2
	v_and_b32_e32 v134, 7, v17
	v_bfe_u32 v151, v17, 3, 4
	v_lshlrev_b32_e32 v160, 24, v17
	s_delay_alu instid0(VALU_DEP_3) | instskip(NEXT) | instid1(VALU_DEP_3)
	v_clz_i32_u32_e32 v149, v134
	v_cmp_eq_u32_e32 vcc_lo, 0, v151
	s_delay_alu instid0(VALU_DEP_2) | instskip(NEXT) | instid1(VALU_DEP_1)
	v_min_u32_e32 v149, 32, v149
	v_subrev_nc_u32_e32 v150, 28, v149
	v_sub_nc_u32_e32 v149, 29, v149
	s_delay_alu instid0(VALU_DEP_2) | instskip(NEXT) | instid1(VALU_DEP_1)
	v_lshlrev_b32_e32 v150, v150, v17
	v_dual_cndmask_b32 v149, v151, v149 :: v_dual_and_b32 v150, 7, v150
	s_delay_alu instid0(VALU_DEP_1) | instskip(NEXT) | instid1(VALU_DEP_2)
	v_lshl_add_u32 v149, v149, 23, 0x3b800000
	v_cndmask_b32_e32 v134, v134, v150, vcc_lo
	v_and_b32_e32 v150, 0x80000000, v160
	s_delay_alu instid0(VALU_DEP_2) | instskip(NEXT) | instid1(VALU_DEP_1)
	v_lshlrev_b32_e32 v134, 20, v134
	v_or3_b32 v134, v150, v149, v134
.LBB4_3576:                             ;   in Loop: Header=BB4_2983 Depth=2
	s_or_b32 exec_lo, exec_lo, s23
	s_delay_alu instid0(VALU_DEP_1) | instskip(NEXT) | instid1(VALU_DEP_1)
	v_add_f32_e32 v134, v133, v134
	v_and_b32_e32 v133, 0x7f800000, v134
	s_delay_alu instid0(VALU_DEP_1)
	v_cmp_ne_u32_e32 vcc_lo, 0x7f800000, v133
	v_mov_b32_e32 v133, 0x80
	s_and_saveexec_b32 s23, vcc_lo
	s_cbranch_execz .LBB4_3584
; %bb.3577:                             ;   in Loop: Header=BB4_2983 Depth=2
	v_mov_b32_e32 v133, 0
	s_mov_b32 s24, exec_lo
	v_cmpx_ne_u32_e32 0, v134
	s_cbranch_execz .LBB4_3583
; %bb.3578:                             ;   in Loop: Header=BB4_2983 Depth=2
	v_bfe_u32 v133, v134, 23, 8
	v_and_b32_e32 v149, 0x7fffff, v134
	s_delay_alu instid0(VALU_DEP_2) | instskip(SKIP_1) | instid1(VALU_DEP_3)
	v_sub_nc_u32_e32 v150, 0x78, v133
	v_cmp_gt_u32_e32 vcc_lo, 0x79, v133
	v_or_b32_e32 v151, 0x800000, v149
	s_delay_alu instid0(VALU_DEP_3) | instskip(SKIP_2) | instid1(VALU_DEP_4)
	v_cndmask_b32_e32 v150, 0, v150, vcc_lo
	v_cmp_eq_u32_e32 vcc_lo, 0, v133
	v_add_nc_u32_e32 v133, 0xffffff89, v133
	v_cndmask_b32_e32 v149, v151, v149, vcc_lo
	s_delay_alu instid0(VALU_DEP_4) | instskip(NEXT) | instid1(VALU_DEP_3)
	v_cndmask_b32_e64 v150, v150, 0x77, vcc_lo
	v_cndmask_b32_e64 v133, v133, 0xffffff8a, vcc_lo
	s_delay_alu instid0(VALU_DEP_2) | instskip(SKIP_2) | instid1(VALU_DEP_4)
	v_lshrrev_b32_e32 v160, v150, v149
	v_lshl_add_u32 v151, 0x100000, v150, -1
	v_lshlrev_b32_e64 v162, v150, 0x80000
	v_add_nc_u32_e32 v150, v150, v133
	s_delay_alu instid0(VALU_DEP_4) | instskip(NEXT) | instid1(VALU_DEP_4)
	v_bfe_u32 v161, v160, 20, 1
	v_and_b32_e32 v149, v151, v149
	s_delay_alu instid0(VALU_DEP_2) | instskip(NEXT) | instid1(VALU_DEP_2)
	v_add_nc_u32_e32 v151, -1, v161
	v_cmp_eq_u32_e64 s7, v149, v162
	s_delay_alu instid0(VALU_DEP_1) | instskip(SKIP_2) | instid1(VALU_DEP_2)
	v_cndmask_b32_e64 v149, 0, v151, s7
	v_lshrrev_b32_e32 v151, 23, v160
	s_mov_b32 s7, exec_lo
	v_add_nc_u32_e32 v149, v149, v160
	s_delay_alu instid0(VALU_DEP_2) | instskip(NEXT) | instid1(VALU_DEP_2)
	v_xor_b32_e32 v151, 1, v151
	v_and_b32_e32 v133, 0xfffff, v149
	s_delay_alu instid0(VALU_DEP_1) | instskip(NEXT) | instid1(VALU_DEP_3)
	v_add_nc_u32_e32 v149, v133, v160
                                        ; implicit-def: $vgpr133
	v_cmpx_ne_u32_e64 v150, v151
	s_xor_b32 s7, exec_lo, s7
; %bb.3579:                             ;   in Loop: Header=BB4_2983 Depth=2
	s_delay_alu instid0(VALU_DEP_2) | instskip(SKIP_2) | instid1(VALU_DEP_2)
	v_cmp_lt_u32_e32 vcc_lo, 0xffffff, v149
	v_sub_nc_u32_e32 v133, v150, v151
	v_cndmask_b32_e64 v150, 0, 1, vcc_lo
	v_add_co_ci_u32_e32 v133, vcc_lo, 0, v133, vcc_lo
	s_delay_alu instid0(VALU_DEP_2)
	v_lshrrev_b32_e32 v149, v150, v149
; %bb.3580:                             ;   in Loop: Header=BB4_2983 Depth=2
	s_and_not1_saveexec_b32 s7, s7
; %bb.3581:                             ;   in Loop: Header=BB4_2983 Depth=2
	s_delay_alu instid0(VALU_DEP_1)
	v_bfe_u32 v133, v149, 23, 1
; %bb.3582:                             ;   in Loop: Header=BB4_2983 Depth=2
	s_or_b32 exec_lo, exec_lo, s7
	v_lshrrev_b32_e32 v149, 20, v149
	s_delay_alu instid0(VALU_DEP_2) | instskip(SKIP_2) | instid1(VALU_DEP_2)
	v_cmp_gt_i32_e32 vcc_lo, 16, v133
	v_lshrrev_b32_e32 v134, 24, v134
	v_min_i32_e32 v150, 15, v133
	v_dual_cndmask_b32 v149, 7, v149 :: v_dual_and_b32 v134, 0x80, v134
	s_delay_alu instid0(VALU_DEP_2) | instskip(NEXT) | instid1(VALU_DEP_2)
	v_lshlrev_b32_e32 v150, 3, v150
	v_and_b32_e32 v151, 7, v149
	v_or_b32_e32 v133, v133, v149
	s_delay_alu instid0(VALU_DEP_2) | instskip(NEXT) | instid1(VALU_DEP_2)
	v_or3_b32 v134, v150, v134, v151
	v_cmp_ne_u32_e32 vcc_lo, 0, v133
	s_delay_alu instid0(VALU_DEP_2)
	v_cndmask_b32_e32 v133, 0, v134, vcc_lo
.LBB4_3583:                             ;   in Loop: Header=BB4_2983 Depth=2
	s_or_b32 exec_lo, exec_lo, s24
.LBB4_3584:                             ;   in Loop: Header=BB4_2983 Depth=2
	s_delay_alu instid0(SALU_CYCLE_1) | instskip(SKIP_3) | instid1(VALU_DEP_1)
	s_or_b32 exec_lo, exec_lo, s23
	v_lshrrev_b16 v149, 8, v147
	s_mov_b32 s7, 0
	s_mov_b32 s24, exec_lo
                                        ; implicit-def: $sgpr23
	v_cmpx_lt_i16_e64 0x7f, v149
	s_xor_b32 s24, exec_lo, s24
	s_cbranch_execnz .LBB4_4118
; %bb.3585:                             ;   in Loop: Header=BB4_2983 Depth=2
	s_or_saveexec_b32 s24, s24
	v_mov_b32_e32 v134, s23
	s_xor_b32 exec_lo, exec_lo, s24
	s_cbranch_execnz .LBB4_4121
.LBB4_3586:                             ;   in Loop: Header=BB4_2983 Depth=2
	s_or_b32 exec_lo, exec_lo, s24
	s_and_saveexec_b32 s23, s7
	s_cbranch_execz .LBB4_3588
.LBB4_3587:                             ;   in Loop: Header=BB4_2983 Depth=2
	v_and_b32_e32 v134, 0xffff, v149
	s_delay_alu instid0(VALU_DEP_1) | instskip(NEXT) | instid1(VALU_DEP_1)
	v_and_b32_e32 v150, 7, v134
	v_clz_i32_u32_e32 v151, v150
	s_delay_alu instid0(VALU_DEP_1) | instskip(NEXT) | instid1(VALU_DEP_1)
	v_min_u32_e32 v151, 32, v151
	v_subrev_nc_u32_e32 v160, 28, v151
	v_sub_nc_u32_e32 v151, 29, v151
	s_delay_alu instid0(VALU_DEP_2) | instskip(SKIP_1) | instid1(VALU_DEP_2)
	v_lshlrev_b32_e32 v160, v160, v134
	v_bfe_u32 v134, v134, 3, 4
	v_and_b32_e32 v160, 7, v160
	s_delay_alu instid0(VALU_DEP_2) | instskip(SKIP_1) | instid1(VALU_DEP_1)
	v_cmp_eq_u32_e32 vcc_lo, 0, v134
	v_dual_cndmask_b32 v134, v134, v151 :: v_dual_lshlrev_b32 v149, 24, v149
	v_dual_cndmask_b32 v150, v150, v160 :: v_dual_and_b32 v149, 0x80000000, v149
	s_delay_alu instid0(VALU_DEP_2) | instskip(NEXT) | instid1(VALU_DEP_2)
	v_lshl_add_u32 v134, v134, 23, 0x3b800000
	v_lshlrev_b32_e32 v150, 20, v150
	s_delay_alu instid0(VALU_DEP_1)
	v_or3_b32 v134, v149, v134, v150
.LBB4_3588:                             ;   in Loop: Header=BB4_2983 Depth=2
	s_or_b32 exec_lo, exec_lo, s23
	v_lshrrev_b16 v149, 8, v17
	s_mov_b32 s7, 0
	s_mov_b32 s24, exec_lo
                                        ; implicit-def: $sgpr23
	s_delay_alu instid0(VALU_DEP_1)
	v_cmpx_lt_i16_e64 0x7f, v149
	s_xor_b32 s24, exec_lo, s24
	s_cbranch_execnz .LBB4_4122
; %bb.3589:                             ;   in Loop: Header=BB4_2983 Depth=2
	s_or_saveexec_b32 s24, s24
	v_mov_b32_e32 v150, s23
	s_xor_b32 exec_lo, exec_lo, s24
	s_cbranch_execnz .LBB4_4125
.LBB4_3590:                             ;   in Loop: Header=BB4_2983 Depth=2
	s_or_b32 exec_lo, exec_lo, s24
	s_and_saveexec_b32 s23, s7
	s_cbranch_execz .LBB4_3592
.LBB4_3591:                             ;   in Loop: Header=BB4_2983 Depth=2
	v_and_b32_e32 v150, 0xffff, v149
	v_lshlrev_b32_e32 v149, 24, v149
	s_delay_alu instid0(VALU_DEP_2) | instskip(NEXT) | instid1(VALU_DEP_2)
	v_and_b32_e32 v151, 7, v150
	v_and_b32_e32 v149, 0x80000000, v149
	s_delay_alu instid0(VALU_DEP_2) | instskip(NEXT) | instid1(VALU_DEP_1)
	v_clz_i32_u32_e32 v160, v151
	v_min_u32_e32 v160, 32, v160
	s_delay_alu instid0(VALU_DEP_1) | instskip(SKIP_1) | instid1(VALU_DEP_2)
	v_subrev_nc_u32_e32 v161, 28, v160
	v_sub_nc_u32_e32 v160, 29, v160
	v_lshlrev_b32_e32 v161, v161, v150
	v_bfe_u32 v150, v150, 3, 4
	s_delay_alu instid0(VALU_DEP_2) | instskip(NEXT) | instid1(VALU_DEP_2)
	v_and_b32_e32 v161, 7, v161
	v_cmp_eq_u32_e32 vcc_lo, 0, v150
	s_delay_alu instid0(VALU_DEP_2) | instskip(NEXT) | instid1(VALU_DEP_1)
	v_dual_cndmask_b32 v150, v150, v160 :: v_dual_cndmask_b32 v151, v151, v161
	v_lshl_add_u32 v150, v150, 23, 0x3b800000
	s_delay_alu instid0(VALU_DEP_2) | instskip(NEXT) | instid1(VALU_DEP_1)
	v_lshlrev_b32_e32 v151, 20, v151
	v_or3_b32 v150, v149, v150, v151
.LBB4_3592:                             ;   in Loop: Header=BB4_2983 Depth=2
	s_or_b32 exec_lo, exec_lo, s23
	s_delay_alu instid0(VALU_DEP_1) | instskip(NEXT) | instid1(VALU_DEP_1)
	v_add_f32_e32 v149, v134, v150
	v_and_b32_e32 v134, 0x7f800000, v149
	s_delay_alu instid0(VALU_DEP_1)
	v_cmp_ne_u32_e32 vcc_lo, 0x7f800000, v134
	v_mov_b32_e32 v134, 0x8000
	s_and_saveexec_b32 s23, vcc_lo
	s_cbranch_execz .LBB4_3600
; %bb.3593:                             ;   in Loop: Header=BB4_2983 Depth=2
	v_mov_b32_e32 v134, 0
	s_mov_b32 s24, exec_lo
	v_cmpx_ne_u32_e32 0, v149
	s_cbranch_execz .LBB4_3599
; %bb.3594:                             ;   in Loop: Header=BB4_2983 Depth=2
	v_bfe_u32 v134, v149, 23, 8
	s_delay_alu instid0(VALU_DEP_1) | instskip(SKIP_1) | instid1(VALU_DEP_2)
	v_sub_nc_u32_e32 v151, 0x78, v134
	v_cmp_gt_u32_e32 vcc_lo, 0x79, v134
	v_dual_cndmask_b32 v151, 0, v151 :: v_dual_and_b32 v150, 0x7fffff, v149
	s_delay_alu instid0(VALU_DEP_1) | instskip(SKIP_2) | instid1(VALU_DEP_4)
	v_or_b32_e32 v160, 0x800000, v150
	v_cmp_eq_u32_e32 vcc_lo, 0, v134
	v_add_nc_u32_e32 v134, 0xffffff89, v134
	v_cndmask_b32_e64 v151, v151, 0x77, vcc_lo
	s_delay_alu instid0(VALU_DEP_4) | instskip(NEXT) | instid1(VALU_DEP_3)
	v_cndmask_b32_e32 v150, v160, v150, vcc_lo
	v_cndmask_b32_e64 v134, v134, 0xffffff8a, vcc_lo
	s_delay_alu instid0(VALU_DEP_3) | instskip(NEXT) | instid1(VALU_DEP_3)
	v_lshl_add_u32 v160, 0x100000, v151, -1
	v_lshrrev_b32_e32 v161, v151, v150
	v_lshlrev_b32_e64 v163, v151, 0x80000
	s_delay_alu instid0(VALU_DEP_4) | instskip(NEXT) | instid1(VALU_DEP_4)
	v_add_nc_u32_e32 v151, v151, v134
	v_and_b32_e32 v150, v160, v150
	s_delay_alu instid0(VALU_DEP_4) | instskip(NEXT) | instid1(VALU_DEP_2)
	v_bfe_u32 v162, v161, 20, 1
	v_cmp_eq_u32_e64 s7, v150, v163
	s_delay_alu instid0(VALU_DEP_2) | instskip(NEXT) | instid1(VALU_DEP_1)
	v_add_nc_u32_e32 v160, -1, v162
	v_cndmask_b32_e64 v150, 0, v160, s7
	v_lshrrev_b32_e32 v160, 23, v161
	s_mov_b32 s7, exec_lo
	s_delay_alu instid0(VALU_DEP_2) | instskip(NEXT) | instid1(VALU_DEP_2)
	v_add_nc_u32_e32 v150, v150, v161
	v_xor_b32_e32 v160, 1, v160
	s_delay_alu instid0(VALU_DEP_2) | instskip(NEXT) | instid1(VALU_DEP_1)
	v_and_b32_e32 v134, 0xfffff, v150
	v_add_nc_u32_e32 v150, v134, v161
                                        ; implicit-def: $vgpr134
	s_delay_alu instid0(VALU_DEP_3)
	v_cmpx_ne_u32_e64 v151, v160
	s_xor_b32 s7, exec_lo, s7
; %bb.3595:                             ;   in Loop: Header=BB4_2983 Depth=2
	s_delay_alu instid0(VALU_DEP_2) | instskip(SKIP_2) | instid1(VALU_DEP_2)
	v_cmp_lt_u32_e32 vcc_lo, 0xffffff, v150
	v_sub_nc_u32_e32 v134, v151, v160
	v_cndmask_b32_e64 v151, 0, 1, vcc_lo
	v_add_co_ci_u32_e32 v134, vcc_lo, 0, v134, vcc_lo
	s_delay_alu instid0(VALU_DEP_2)
	v_lshrrev_b32_e32 v150, v151, v150
; %bb.3596:                             ;   in Loop: Header=BB4_2983 Depth=2
	s_and_not1_saveexec_b32 s7, s7
; %bb.3597:                             ;   in Loop: Header=BB4_2983 Depth=2
	s_delay_alu instid0(VALU_DEP_1)
	v_bfe_u32 v134, v150, 23, 1
; %bb.3598:                             ;   in Loop: Header=BB4_2983 Depth=2
	s_or_b32 exec_lo, exec_lo, s7
	v_lshrrev_b32_e32 v150, 20, v150
	s_delay_alu instid0(VALU_DEP_2) | instskip(SKIP_2) | instid1(VALU_DEP_2)
	v_cmp_gt_i32_e32 vcc_lo, 16, v134
	v_min_i32_e32 v151, 15, v134
	v_lshrrev_b32_e32 v149, 24, v149
	v_dual_cndmask_b32 v150, 7, v150 :: v_dual_lshlrev_b32 v151, 3, v151
	s_delay_alu instid0(VALU_DEP_2) | instskip(NEXT) | instid1(VALU_DEP_2)
	v_and_b32_e32 v149, 0x80, v149
	v_or_b32_e32 v134, v134, v150
	v_and_b32_e32 v160, 7, v150
	s_delay_alu instid0(VALU_DEP_2) | instskip(SKIP_1) | instid1(VALU_DEP_1)
	v_cmp_ne_u32_e32 vcc_lo, 0, v134
	v_and_b32_e32 v151, 0xf8, v151
	v_or3_b32 v149, v149, v151, v160
	s_delay_alu instid0(VALU_DEP_1) | instskip(NEXT) | instid1(VALU_DEP_1)
	v_lshlrev_b32_e32 v149, 8, v149
	v_cndmask_b32_e32 v134, 0, v149, vcc_lo
.LBB4_3599:                             ;   in Loop: Header=BB4_2983 Depth=2
	s_or_b32 exec_lo, exec_lo, s24
.LBB4_3600:                             ;   in Loop: Header=BB4_2983 Depth=2
	s_delay_alu instid0(SALU_CYCLE_1) | instskip(SKIP_3) | instid1(VALU_DEP_1)
	s_or_b32 exec_lo, exec_lo, s23
	v_or_b32_e32 v135, v135, v132
	s_mov_b32 s7, 0
	s_mov_b32 s24, exec_lo
                                        ; implicit-def: $sgpr23
	v_and_b32_e32 v149, 0xff, v135
	s_delay_alu instid0(VALU_DEP_1)
	v_cmpx_lt_i16_e64 0x7f, v149
	s_xor_b32 s24, exec_lo, s24
	s_cbranch_execnz .LBB4_4126
; %bb.3601:                             ;   in Loop: Header=BB4_2983 Depth=2
	s_or_saveexec_b32 s24, s24
	v_mov_b32_e32 v132, s23
	s_xor_b32 exec_lo, exec_lo, s24
	s_cbranch_execnz .LBB4_4129
.LBB4_3602:                             ;   in Loop: Header=BB4_2983 Depth=2
	s_or_b32 exec_lo, exec_lo, s24
	v_lshl_or_b32 v135, v135, 16, v147
	s_and_saveexec_b32 s23, s7
	s_cbranch_execz .LBB4_3604
.LBB4_3603:                             ;   in Loop: Header=BB4_2983 Depth=2
	s_delay_alu instid0(VALU_DEP_1) | instskip(SKIP_1) | instid1(VALU_DEP_2)
	v_bfe_u32 v132, v135, 16, 3
	v_lshrrev_b32_e32 v149, 16, v135
	v_clz_i32_u32_e32 v147, v132
	s_delay_alu instid0(VALU_DEP_1) | instskip(NEXT) | instid1(VALU_DEP_1)
	v_min_u32_e32 v147, 32, v147
	v_subrev_nc_u32_e32 v150, 28, v147
	v_sub_nc_u32_e32 v147, 29, v147
	s_delay_alu instid0(VALU_DEP_2) | instskip(SKIP_1) | instid1(VALU_DEP_2)
	v_lshlrev_b32_e32 v149, v150, v149
	v_bfe_u32 v150, v135, 19, 4
	v_and_b32_e32 v149, 7, v149
	s_delay_alu instid0(VALU_DEP_2) | instskip(NEXT) | instid1(VALU_DEP_2)
	v_cmp_eq_u32_e32 vcc_lo, 0, v150
	v_dual_cndmask_b32 v132, v132, v149 :: v_dual_lshlrev_b32 v151, 8, v135
	v_cndmask_b32_e32 v147, v150, v147, vcc_lo
	s_delay_alu instid0(VALU_DEP_2) | instskip(NEXT) | instid1(VALU_DEP_3)
	v_and_b32_e32 v149, 0x80000000, v151
	v_lshlrev_b32_e32 v132, 20, v132
	s_delay_alu instid0(VALU_DEP_3) | instskip(NEXT) | instid1(VALU_DEP_1)
	v_lshl_add_u32 v147, v147, 23, 0x3b800000
	v_or3_b32 v132, v149, v147, v132
.LBB4_3604:                             ;   in Loop: Header=BB4_2983 Depth=2
	s_or_b32 exec_lo, exec_lo, s23
	v_lshrrev_b32_e32 v147, 16, v17
	s_mov_b32 s7, 0
	s_mov_b32 s24, exec_lo
                                        ; implicit-def: $sgpr23
	s_delay_alu instid0(VALU_DEP_1) | instskip(NEXT) | instid1(VALU_DEP_1)
	v_and_b32_e32 v150, 0xff, v147
	v_cmpx_lt_i16_e64 0x7f, v150
	s_xor_b32 s24, exec_lo, s24
	s_cbranch_execnz .LBB4_4130
; %bb.3605:                             ;   in Loop: Header=BB4_2983 Depth=2
	s_or_saveexec_b32 s24, s24
	v_mov_b32_e32 v149, s23
	s_xor_b32 exec_lo, exec_lo, s24
	s_cbranch_execnz .LBB4_4133
.LBB4_3606:                             ;   in Loop: Header=BB4_2983 Depth=2
	s_or_b32 exec_lo, exec_lo, s24
	s_and_saveexec_b32 s23, s7
	s_cbranch_execz .LBB4_3608
.LBB4_3607:                             ;   in Loop: Header=BB4_2983 Depth=2
	v_bfe_u32 v149, v17, 16, 3
	s_delay_alu instid0(VALU_DEP_1) | instskip(NEXT) | instid1(VALU_DEP_1)
	v_clz_i32_u32_e32 v150, v149
	v_min_u32_e32 v150, 32, v150
	s_delay_alu instid0(VALU_DEP_1) | instskip(SKIP_1) | instid1(VALU_DEP_2)
	v_subrev_nc_u32_e32 v151, 28, v150
	v_sub_nc_u32_e32 v150, 29, v150
	v_lshlrev_b32_e32 v147, v151, v147
	v_bfe_u32 v151, v17, 19, 4
	s_delay_alu instid0(VALU_DEP_1) | instskip(NEXT) | instid1(VALU_DEP_3)
	v_cmp_eq_u32_e32 vcc_lo, 0, v151
	v_dual_cndmask_b32 v150, v151, v150 :: v_dual_and_b32 v147, 7, v147
	s_delay_alu instid0(VALU_DEP_1) | instskip(NEXT) | instid1(VALU_DEP_2)
	v_dual_cndmask_b32 v147, v149, v147 :: v_dual_lshlrev_b32 v160, 8, v17
	v_lshl_add_u32 v150, v150, 23, 0x3b800000
	s_delay_alu instid0(VALU_DEP_2) | instskip(NEXT) | instid1(VALU_DEP_3)
	v_and_b32_e32 v149, 0x80000000, v160
	v_lshlrev_b32_e32 v147, 20, v147
	s_delay_alu instid0(VALU_DEP_1)
	v_or3_b32 v149, v149, v150, v147
.LBB4_3608:                             ;   in Loop: Header=BB4_2983 Depth=2
	s_or_b32 exec_lo, exec_lo, s23
	s_delay_alu instid0(VALU_DEP_1) | instskip(NEXT) | instid1(VALU_DEP_1)
	v_add_f32_e32 v147, v132, v149
	v_and_b32_e32 v132, 0x7f800000, v147
	s_delay_alu instid0(VALU_DEP_1)
	v_cmp_ne_u32_e32 vcc_lo, 0x7f800000, v132
	v_mov_b32_e32 v132, 0x80
	s_and_saveexec_b32 s23, vcc_lo
	s_cbranch_execz .LBB4_3616
; %bb.3609:                             ;   in Loop: Header=BB4_2983 Depth=2
	v_mov_b32_e32 v132, 0
	s_mov_b32 s24, exec_lo
	v_cmpx_ne_u32_e32 0, v147
	s_cbranch_execz .LBB4_3615
; %bb.3610:                             ;   in Loop: Header=BB4_2983 Depth=2
	v_bfe_u32 v132, v147, 23, 8
	s_delay_alu instid0(VALU_DEP_1) | instskip(SKIP_1) | instid1(VALU_DEP_2)
	v_sub_nc_u32_e32 v150, 0x78, v132
	v_cmp_gt_u32_e32 vcc_lo, 0x79, v132
	v_dual_cndmask_b32 v150, 0, v150 :: v_dual_and_b32 v149, 0x7fffff, v147
	s_delay_alu instid0(VALU_DEP_1) | instskip(SKIP_2) | instid1(VALU_DEP_4)
	v_or_b32_e32 v151, 0x800000, v149
	v_cmp_eq_u32_e32 vcc_lo, 0, v132
	v_add_nc_u32_e32 v132, 0xffffff89, v132
	v_cndmask_b32_e64 v150, v150, 0x77, vcc_lo
	s_delay_alu instid0(VALU_DEP_4) | instskip(NEXT) | instid1(VALU_DEP_3)
	v_cndmask_b32_e32 v149, v151, v149, vcc_lo
	v_cndmask_b32_e64 v132, v132, 0xffffff8a, vcc_lo
	s_delay_alu instid0(VALU_DEP_3) | instskip(NEXT) | instid1(VALU_DEP_3)
	v_lshl_add_u32 v151, 0x100000, v150, -1
	v_lshrrev_b32_e32 v160, v150, v149
	v_lshlrev_b32_e64 v162, v150, 0x80000
	s_delay_alu instid0(VALU_DEP_4) | instskip(NEXT) | instid1(VALU_DEP_4)
	v_add_nc_u32_e32 v150, v150, v132
	v_and_b32_e32 v149, v151, v149
	s_delay_alu instid0(VALU_DEP_4) | instskip(NEXT) | instid1(VALU_DEP_2)
	v_bfe_u32 v161, v160, 20, 1
	v_cmp_eq_u32_e64 s7, v149, v162
	s_delay_alu instid0(VALU_DEP_2) | instskip(NEXT) | instid1(VALU_DEP_1)
	v_add_nc_u32_e32 v151, -1, v161
	v_cndmask_b32_e64 v149, 0, v151, s7
	v_lshrrev_b32_e32 v151, 23, v160
	s_mov_b32 s7, exec_lo
	s_delay_alu instid0(VALU_DEP_2) | instskip(NEXT) | instid1(VALU_DEP_2)
	v_add_nc_u32_e32 v149, v149, v160
	v_xor_b32_e32 v151, 1, v151
	s_delay_alu instid0(VALU_DEP_2) | instskip(NEXT) | instid1(VALU_DEP_1)
	v_and_b32_e32 v132, 0xfffff, v149
	v_add_nc_u32_e32 v149, v132, v160
                                        ; implicit-def: $vgpr132
	s_delay_alu instid0(VALU_DEP_3)
	v_cmpx_ne_u32_e64 v150, v151
	s_xor_b32 s7, exec_lo, s7
; %bb.3611:                             ;   in Loop: Header=BB4_2983 Depth=2
	s_delay_alu instid0(VALU_DEP_2) | instskip(SKIP_2) | instid1(VALU_DEP_2)
	v_cmp_lt_u32_e32 vcc_lo, 0xffffff, v149
	v_sub_nc_u32_e32 v132, v150, v151
	v_cndmask_b32_e64 v150, 0, 1, vcc_lo
	v_add_co_ci_u32_e32 v132, vcc_lo, 0, v132, vcc_lo
	s_delay_alu instid0(VALU_DEP_2)
	v_lshrrev_b32_e32 v149, v150, v149
; %bb.3612:                             ;   in Loop: Header=BB4_2983 Depth=2
	s_and_not1_saveexec_b32 s7, s7
; %bb.3613:                             ;   in Loop: Header=BB4_2983 Depth=2
	s_delay_alu instid0(VALU_DEP_1)
	v_bfe_u32 v132, v149, 23, 1
; %bb.3614:                             ;   in Loop: Header=BB4_2983 Depth=2
	s_or_b32 exec_lo, exec_lo, s7
	v_lshrrev_b32_e32 v149, 20, v149
	s_delay_alu instid0(VALU_DEP_2) | instskip(SKIP_2) | instid1(VALU_DEP_2)
	v_cmp_gt_i32_e32 vcc_lo, 16, v132
	v_min_i32_e32 v150, 15, v132
	v_lshrrev_b32_e32 v147, 24, v147
	v_dual_cndmask_b32 v149, 7, v149 :: v_dual_lshlrev_b32 v150, 3, v150
	s_delay_alu instid0(VALU_DEP_2) | instskip(NEXT) | instid1(VALU_DEP_2)
	v_and_b32_e32 v147, 0x80, v147
	v_or_b32_e32 v132, v132, v149
	s_delay_alu instid0(VALU_DEP_3) | instskip(NEXT) | instid1(VALU_DEP_2)
	v_and_b32_e32 v150, 0xf8, v150
	v_cmp_ne_u32_e32 vcc_lo, 0, v132
	v_and_b32_e32 v151, 7, v149
	s_delay_alu instid0(VALU_DEP_1) | instskip(NEXT) | instid1(VALU_DEP_1)
	v_or3_b32 v147, v150, v147, v151
	v_cndmask_b32_e32 v132, 0, v147, vcc_lo
.LBB4_3615:                             ;   in Loop: Header=BB4_2983 Depth=2
	s_or_b32 exec_lo, exec_lo, s24
.LBB4_3616:                             ;   in Loop: Header=BB4_2983 Depth=2
	s_delay_alu instid0(SALU_CYCLE_1) | instskip(SKIP_3) | instid1(VALU_DEP_1)
	s_or_b32 exec_lo, exec_lo, s23
	v_lshrrev_b32_e32 v149, 24, v135
	s_mov_b32 s7, 0
	s_mov_b32 s24, exec_lo
                                        ; implicit-def: $sgpr23
	v_cmpx_lt_i16_e64 0x7f, v149
	s_xor_b32 s24, exec_lo, s24
	s_cbranch_execnz .LBB4_4134
; %bb.3617:                             ;   in Loop: Header=BB4_2983 Depth=2
	s_or_saveexec_b32 s24, s24
	v_mov_b32_e32 v147, s23
	s_xor_b32 exec_lo, exec_lo, s24
	s_cbranch_execnz .LBB4_4137
.LBB4_3618:                             ;   in Loop: Header=BB4_2983 Depth=2
	s_or_b32 exec_lo, exec_lo, s24
	s_and_saveexec_b32 s23, s7
	s_cbranch_execz .LBB4_3620
.LBB4_3619:                             ;   in Loop: Header=BB4_2983 Depth=2
	v_bfe_u32 v147, v135, 24, 3
	s_delay_alu instid0(VALU_DEP_1) | instskip(NEXT) | instid1(VALU_DEP_1)
	v_clz_i32_u32_e32 v150, v147
	v_min_u32_e32 v150, 32, v150
	s_delay_alu instid0(VALU_DEP_1) | instskip(SKIP_1) | instid1(VALU_DEP_2)
	v_subrev_nc_u32_e32 v151, 28, v150
	v_sub_nc_u32_e32 v150, 29, v150
	v_lshlrev_b32_e32 v149, v151, v149
	v_bfe_u32 v151, v135, 27, 4
	v_and_b32_e32 v135, 0x80000000, v135
	s_delay_alu instid0(VALU_DEP_2) | instskip(NEXT) | instid1(VALU_DEP_4)
	v_cmp_eq_u32_e32 vcc_lo, 0, v151
	v_dual_cndmask_b32 v150, v151, v150 :: v_dual_and_b32 v149, 7, v149
	s_delay_alu instid0(VALU_DEP_1) | instskip(NEXT) | instid1(VALU_DEP_2)
	v_cndmask_b32_e32 v147, v147, v149, vcc_lo
	v_lshl_add_u32 v149, v150, 23, 0x3b800000
	s_delay_alu instid0(VALU_DEP_2) | instskip(NEXT) | instid1(VALU_DEP_1)
	v_lshlrev_b32_e32 v147, 20, v147
	v_or3_b32 v147, v135, v149, v147
.LBB4_3620:                             ;   in Loop: Header=BB4_2983 Depth=2
	s_or_b32 exec_lo, exec_lo, s23
	v_lshrrev_b32_e32 v135, 24, v17
	s_mov_b32 s7, 0
	s_mov_b32 s24, exec_lo
                                        ; implicit-def: $sgpr23
	s_delay_alu instid0(VALU_DEP_1)
	v_cmpx_lt_i16_e64 0x7f, v135
	s_xor_b32 s24, exec_lo, s24
	s_cbranch_execnz .LBB4_4138
; %bb.3621:                             ;   in Loop: Header=BB4_2983 Depth=2
	s_or_saveexec_b32 s24, s24
	v_mov_b32_e32 v149, s23
	s_xor_b32 exec_lo, exec_lo, s24
	s_cbranch_execnz .LBB4_4141
.LBB4_3622:                             ;   in Loop: Header=BB4_2983 Depth=2
	s_or_b32 exec_lo, exec_lo, s24
	s_and_saveexec_b32 s23, s7
	s_cbranch_execz .LBB4_3624
.LBB4_3623:                             ;   in Loop: Header=BB4_2983 Depth=2
	v_bfe_u32 v149, v17, 24, 3
	s_delay_alu instid0(VALU_DEP_1) | instskip(NEXT) | instid1(VALU_DEP_1)
	v_clz_i32_u32_e32 v150, v149
	v_min_u32_e32 v150, 32, v150
	s_delay_alu instid0(VALU_DEP_1) | instskip(SKIP_1) | instid1(VALU_DEP_2)
	v_subrev_nc_u32_e32 v151, 28, v150
	v_sub_nc_u32_e32 v150, 29, v150
	v_lshlrev_b32_e32 v135, v151, v135
	v_bfe_u32 v151, v17, 27, 4
	v_and_b32_e32 v17, 0x80000000, v17
	s_delay_alu instid0(VALU_DEP_2) | instskip(NEXT) | instid1(VALU_DEP_4)
	v_cmp_eq_u32_e32 vcc_lo, 0, v151
	v_dual_cndmask_b32 v150, v151, v150 :: v_dual_and_b32 v135, 7, v135
	s_delay_alu instid0(VALU_DEP_1) | instskip(NEXT) | instid1(VALU_DEP_2)
	v_cndmask_b32_e32 v135, v149, v135, vcc_lo
	v_lshl_add_u32 v149, v150, 23, 0x3b800000
	s_delay_alu instid0(VALU_DEP_2) | instskip(NEXT) | instid1(VALU_DEP_1)
	v_lshlrev_b32_e32 v135, 20, v135
	v_or3_b32 v149, v17, v149, v135
.LBB4_3624:                             ;   in Loop: Header=BB4_2983 Depth=2
	s_or_b32 exec_lo, exec_lo, s23
	s_delay_alu instid0(VALU_DEP_1) | instskip(NEXT) | instid1(VALU_DEP_1)
	v_add_f32_e32 v135, v147, v149
	v_and_b32_e32 v17, 0x7f800000, v135
	s_delay_alu instid0(VALU_DEP_1)
	v_cmp_ne_u32_e32 vcc_lo, 0x7f800000, v17
	v_mov_b32_e32 v17, 0x8000
	s_and_saveexec_b32 s23, vcc_lo
	s_cbranch_execz .LBB4_3632
; %bb.3625:                             ;   in Loop: Header=BB4_2983 Depth=2
	v_mov_b32_e32 v17, 0
	s_mov_b32 s24, exec_lo
	v_cmpx_ne_u32_e32 0, v135
	s_cbranch_execz .LBB4_3631
; %bb.3626:                             ;   in Loop: Header=BB4_2983 Depth=2
	v_bfe_u32 v17, v135, 23, 8
	v_and_b32_e32 v147, 0x7fffff, v135
	s_delay_alu instid0(VALU_DEP_2) | instskip(SKIP_1) | instid1(VALU_DEP_3)
	v_sub_nc_u32_e32 v149, 0x78, v17
	v_cmp_gt_u32_e32 vcc_lo, 0x79, v17
	v_or_b32_e32 v150, 0x800000, v147
	s_delay_alu instid0(VALU_DEP_3) | instskip(SKIP_2) | instid1(VALU_DEP_3)
	v_cndmask_b32_e32 v149, 0, v149, vcc_lo
	v_cmp_eq_u32_e32 vcc_lo, 0, v17
	v_add_nc_u32_e32 v17, 0xffffff89, v17
	v_cndmask_b32_e64 v149, v149, 0x77, vcc_lo
	v_cndmask_b32_e32 v147, v150, v147, vcc_lo
	s_delay_alu instid0(VALU_DEP_3) | instskip(NEXT) | instid1(VALU_DEP_3)
	v_cndmask_b32_e64 v17, v17, 0xffffff8a, vcc_lo
	v_lshl_add_u32 v150, 0x100000, v149, -1
	s_delay_alu instid0(VALU_DEP_3) | instskip(SKIP_1) | instid1(VALU_DEP_4)
	v_lshrrev_b32_e32 v151, v149, v147
	v_lshlrev_b32_e64 v161, v149, 0x80000
	v_add_nc_u32_e32 v149, v149, v17
	s_delay_alu instid0(VALU_DEP_4) | instskip(NEXT) | instid1(VALU_DEP_4)
	v_and_b32_e32 v147, v150, v147
	v_bfe_u32 v160, v151, 20, 1
	s_delay_alu instid0(VALU_DEP_2) | instskip(NEXT) | instid1(VALU_DEP_2)
	v_cmp_eq_u32_e64 s7, v147, v161
	v_add_nc_u32_e32 v150, -1, v160
	s_delay_alu instid0(VALU_DEP_1) | instskip(SKIP_2) | instid1(VALU_DEP_2)
	v_cndmask_b32_e64 v147, 0, v150, s7
	v_lshrrev_b32_e32 v150, 23, v151
	s_mov_b32 s7, exec_lo
	v_add_nc_u32_e32 v147, v147, v151
	s_delay_alu instid0(VALU_DEP_2) | instskip(NEXT) | instid1(VALU_DEP_2)
	v_xor_b32_e32 v150, 1, v150
	v_and_b32_e32 v17, 0xfffff, v147
	s_delay_alu instid0(VALU_DEP_1) | instskip(NEXT) | instid1(VALU_DEP_3)
	v_add_nc_u32_e32 v147, v17, v151
                                        ; implicit-def: $vgpr17
	v_cmpx_ne_u32_e64 v149, v150
	s_xor_b32 s7, exec_lo, s7
; %bb.3627:                             ;   in Loop: Header=BB4_2983 Depth=2
	s_delay_alu instid0(VALU_DEP_2) | instskip(SKIP_2) | instid1(VALU_DEP_2)
	v_cmp_lt_u32_e32 vcc_lo, 0xffffff, v147
	v_sub_nc_u32_e32 v17, v149, v150
	v_cndmask_b32_e64 v149, 0, 1, vcc_lo
	v_add_co_ci_u32_e32 v17, vcc_lo, 0, v17, vcc_lo
	s_delay_alu instid0(VALU_DEP_2)
	v_lshrrev_b32_e32 v147, v149, v147
; %bb.3628:                             ;   in Loop: Header=BB4_2983 Depth=2
	s_and_not1_saveexec_b32 s7, s7
; %bb.3629:                             ;   in Loop: Header=BB4_2983 Depth=2
	s_delay_alu instid0(VALU_DEP_1)
	v_bfe_u32 v17, v147, 23, 1
; %bb.3630:                             ;   in Loop: Header=BB4_2983 Depth=2
	s_or_b32 exec_lo, exec_lo, s7
	v_lshrrev_b32_e32 v147, 20, v147
	s_delay_alu instid0(VALU_DEP_2) | instskip(SKIP_2) | instid1(VALU_DEP_3)
	v_min_i32_e32 v149, 15, v17
	v_cmp_gt_i32_e32 vcc_lo, 16, v17
	v_lshrrev_b32_e32 v135, 24, v135
	v_lshlrev_b32_e32 v149, 3, v149
	v_cndmask_b32_e32 v147, 7, v147, vcc_lo
	s_delay_alu instid0(VALU_DEP_3) | instskip(NEXT) | instid1(VALU_DEP_3)
	v_and_b32_e32 v135, 0x80, v135
	v_and_b32_e32 v149, 0xf8, v149
	s_delay_alu instid0(VALU_DEP_3) | instskip(SKIP_1) | instid1(VALU_DEP_2)
	v_and_b32_e32 v150, 7, v147
	v_or_b32_e32 v17, v17, v147
	v_or3_b32 v135, v135, v149, v150
	s_delay_alu instid0(VALU_DEP_2) | instskip(NEXT) | instid1(VALU_DEP_2)
	v_cmp_ne_u32_e32 vcc_lo, 0, v17
	v_lshlrev_b32_e32 v135, 8, v135
	s_delay_alu instid0(VALU_DEP_1)
	v_cndmask_b32_e32 v17, 0, v135, vcc_lo
.LBB4_3631:                             ;   in Loop: Header=BB4_2983 Depth=2
	s_or_b32 exec_lo, exec_lo, s24
.LBB4_3632:                             ;   in Loop: Header=BB4_2983 Depth=2
	s_delay_alu instid0(SALU_CYCLE_1) | instskip(SKIP_3) | instid1(VALU_DEP_1)
	s_or_b32 exec_lo, exec_lo, s23
	v_and_b32_e32 v147, 0xff, v130
	s_mov_b32 s7, 0
	s_mov_b32 s24, exec_lo
                                        ; implicit-def: $sgpr23
	v_cmpx_lt_i16_e64 0x7f, v147
	s_xor_b32 s24, exec_lo, s24
	s_cbranch_execnz .LBB4_4142
; %bb.3633:                             ;   in Loop: Header=BB4_2983 Depth=2
	s_or_saveexec_b32 s24, s24
	v_mov_b32_e32 v135, s23
	s_xor_b32 exec_lo, exec_lo, s24
	s_cbranch_execnz .LBB4_4145
.LBB4_3634:                             ;   in Loop: Header=BB4_2983 Depth=2
	s_or_b32 exec_lo, exec_lo, s24
	s_and_saveexec_b32 s23, s7
	s_cbranch_execz .LBB4_3636
.LBB4_3635:                             ;   in Loop: Header=BB4_2983 Depth=2
	v_and_b32_e32 v135, 7, v130
	v_bfe_u32 v150, v130, 3, 4
	s_delay_alu instid0(VALU_DEP_2) | instskip(NEXT) | instid1(VALU_DEP_2)
	v_clz_i32_u32_e32 v147, v135
	v_cmp_eq_u32_e32 vcc_lo, 0, v150
	s_delay_alu instid0(VALU_DEP_2) | instskip(NEXT) | instid1(VALU_DEP_1)
	v_min_u32_e32 v147, 32, v147
	v_subrev_nc_u32_e32 v149, 28, v147
	v_sub_nc_u32_e32 v147, 29, v147
	s_delay_alu instid0(VALU_DEP_2) | instskip(NEXT) | instid1(VALU_DEP_2)
	v_lshlrev_b32_e32 v149, v149, v130
	v_dual_cndmask_b32 v147, v150, v147 :: v_dual_lshlrev_b32 v130, 24, v130
	s_delay_alu instid0(VALU_DEP_2) | instskip(NEXT) | instid1(VALU_DEP_2)
	v_and_b32_e32 v149, 7, v149
	v_and_b32_e32 v130, 0x80000000, v130
	s_delay_alu instid0(VALU_DEP_3) | instskip(NEXT) | instid1(VALU_DEP_3)
	v_lshl_add_u32 v147, v147, 23, 0x3b800000
	v_cndmask_b32_e32 v135, v135, v149, vcc_lo
	s_delay_alu instid0(VALU_DEP_1) | instskip(NEXT) | instid1(VALU_DEP_1)
	v_lshlrev_b32_e32 v135, 20, v135
	v_or3_b32 v135, v130, v147, v135
.LBB4_3636:                             ;   in Loop: Header=BB4_2983 Depth=2
	s_or_b32 exec_lo, exec_lo, s23
	s_waitcnt vmcnt(0)
	v_and_b32_e32 v147, 0xff, v10
	s_mov_b32 s7, 0
	s_mov_b32 s24, exec_lo
                                        ; implicit-def: $sgpr23
	s_delay_alu instid0(VALU_DEP_1)
	v_cmpx_lt_i16_e64 0x7f, v147
	s_xor_b32 s24, exec_lo, s24
	s_cbranch_execnz .LBB4_4146
; %bb.3637:                             ;   in Loop: Header=BB4_2983 Depth=2
	s_or_saveexec_b32 s24, s24
	v_mov_b32_e32 v130, s23
	s_xor_b32 exec_lo, exec_lo, s24
	s_cbranch_execnz .LBB4_4149
.LBB4_3638:                             ;   in Loop: Header=BB4_2983 Depth=2
	s_or_b32 exec_lo, exec_lo, s24
	s_and_saveexec_b32 s23, s7
	s_cbranch_execz .LBB4_3640
.LBB4_3639:                             ;   in Loop: Header=BB4_2983 Depth=2
	v_bfe_u32 v150, v10, 3, 4
	s_delay_alu instid0(VALU_DEP_1) | instskip(SKIP_1) | instid1(VALU_DEP_1)
	v_cmp_eq_u32_e32 vcc_lo, 0, v150
	v_and_b32_e32 v130, 7, v10
	v_clz_i32_u32_e32 v147, v130
	s_delay_alu instid0(VALU_DEP_1) | instskip(NEXT) | instid1(VALU_DEP_1)
	v_min_u32_e32 v147, 32, v147
	v_subrev_nc_u32_e32 v149, 28, v147
	v_sub_nc_u32_e32 v147, 29, v147
	s_delay_alu instid0(VALU_DEP_2) | instskip(NEXT) | instid1(VALU_DEP_2)
	v_lshlrev_b32_e32 v149, v149, v10
	v_cndmask_b32_e32 v147, v150, v147, vcc_lo
	s_delay_alu instid0(VALU_DEP_2) | instskip(SKIP_1) | instid1(VALU_DEP_3)
	v_and_b32_e32 v149, 7, v149
	v_lshlrev_b32_e32 v151, 24, v10
	v_lshl_add_u32 v147, v147, 23, 0x3b800000
	s_delay_alu instid0(VALU_DEP_2) | instskip(NEXT) | instid1(VALU_DEP_1)
	v_dual_cndmask_b32 v130, v130, v149 :: v_dual_and_b32 v149, 0x80000000, v151
	v_lshlrev_b32_e32 v130, 20, v130
	s_delay_alu instid0(VALU_DEP_1)
	v_or3_b32 v130, v149, v147, v130
.LBB4_3640:                             ;   in Loop: Header=BB4_2983 Depth=2
	s_or_b32 exec_lo, exec_lo, s23
	s_delay_alu instid0(VALU_DEP_1) | instskip(NEXT) | instid1(VALU_DEP_1)
	v_add_f32_e32 v135, v135, v130
	v_and_b32_e32 v130, 0x7f800000, v135
	s_delay_alu instid0(VALU_DEP_1)
	v_cmp_ne_u32_e32 vcc_lo, 0x7f800000, v130
	v_mov_b32_e32 v130, 0x80
	s_and_saveexec_b32 s23, vcc_lo
	s_cbranch_execz .LBB4_3648
; %bb.3641:                             ;   in Loop: Header=BB4_2983 Depth=2
	v_mov_b32_e32 v130, 0
	s_mov_b32 s24, exec_lo
	v_cmpx_ne_u32_e32 0, v135
	s_cbranch_execz .LBB4_3647
; %bb.3642:                             ;   in Loop: Header=BB4_2983 Depth=2
	v_bfe_u32 v130, v135, 23, 8
	v_and_b32_e32 v147, 0x7fffff, v135
	s_delay_alu instid0(VALU_DEP_2) | instskip(SKIP_1) | instid1(VALU_DEP_3)
	v_sub_nc_u32_e32 v149, 0x78, v130
	v_cmp_gt_u32_e32 vcc_lo, 0x79, v130
	v_or_b32_e32 v150, 0x800000, v147
	s_delay_alu instid0(VALU_DEP_3) | instskip(SKIP_2) | instid1(VALU_DEP_3)
	v_cndmask_b32_e32 v149, 0, v149, vcc_lo
	v_cmp_eq_u32_e32 vcc_lo, 0, v130
	v_add_nc_u32_e32 v130, 0xffffff89, v130
	v_cndmask_b32_e64 v149, v149, 0x77, vcc_lo
	v_cndmask_b32_e32 v147, v150, v147, vcc_lo
	s_delay_alu instid0(VALU_DEP_3) | instskip(NEXT) | instid1(VALU_DEP_3)
	v_cndmask_b32_e64 v130, v130, 0xffffff8a, vcc_lo
	v_lshl_add_u32 v150, 0x100000, v149, -1
	s_delay_alu instid0(VALU_DEP_3) | instskip(SKIP_1) | instid1(VALU_DEP_4)
	v_lshrrev_b32_e32 v151, v149, v147
	v_lshlrev_b32_e64 v161, v149, 0x80000
	v_add_nc_u32_e32 v149, v149, v130
	s_delay_alu instid0(VALU_DEP_4) | instskip(NEXT) | instid1(VALU_DEP_4)
	v_and_b32_e32 v147, v150, v147
	v_bfe_u32 v160, v151, 20, 1
	s_delay_alu instid0(VALU_DEP_2) | instskip(NEXT) | instid1(VALU_DEP_2)
	v_cmp_eq_u32_e64 s7, v147, v161
	v_add_nc_u32_e32 v150, -1, v160
	s_delay_alu instid0(VALU_DEP_1) | instskip(SKIP_2) | instid1(VALU_DEP_2)
	v_cndmask_b32_e64 v147, 0, v150, s7
	v_lshrrev_b32_e32 v150, 23, v151
	s_mov_b32 s7, exec_lo
	v_add_nc_u32_e32 v147, v147, v151
	s_delay_alu instid0(VALU_DEP_2) | instskip(NEXT) | instid1(VALU_DEP_2)
	v_xor_b32_e32 v150, 1, v150
	v_and_b32_e32 v130, 0xfffff, v147
	s_delay_alu instid0(VALU_DEP_1) | instskip(NEXT) | instid1(VALU_DEP_3)
	v_add_nc_u32_e32 v147, v130, v151
                                        ; implicit-def: $vgpr130
	v_cmpx_ne_u32_e64 v149, v150
	s_xor_b32 s7, exec_lo, s7
; %bb.3643:                             ;   in Loop: Header=BB4_2983 Depth=2
	s_delay_alu instid0(VALU_DEP_2) | instskip(SKIP_2) | instid1(VALU_DEP_2)
	v_cmp_lt_u32_e32 vcc_lo, 0xffffff, v147
	v_sub_nc_u32_e32 v130, v149, v150
	v_cndmask_b32_e64 v149, 0, 1, vcc_lo
	v_add_co_ci_u32_e32 v130, vcc_lo, 0, v130, vcc_lo
	s_delay_alu instid0(VALU_DEP_2)
	v_lshrrev_b32_e32 v147, v149, v147
; %bb.3644:                             ;   in Loop: Header=BB4_2983 Depth=2
	s_and_not1_saveexec_b32 s7, s7
; %bb.3645:                             ;   in Loop: Header=BB4_2983 Depth=2
	s_delay_alu instid0(VALU_DEP_1)
	v_bfe_u32 v130, v147, 23, 1
; %bb.3646:                             ;   in Loop: Header=BB4_2983 Depth=2
	s_or_b32 exec_lo, exec_lo, s7
	v_lshrrev_b32_e32 v147, 20, v147
	s_delay_alu instid0(VALU_DEP_2) | instskip(SKIP_2) | instid1(VALU_DEP_4)
	v_cmp_gt_i32_e32 vcc_lo, 16, v130
	v_lshrrev_b32_e32 v135, 24, v135
	v_min_i32_e32 v149, 15, v130
	v_cndmask_b32_e32 v147, 7, v147, vcc_lo
	s_delay_alu instid0(VALU_DEP_3) | instskip(NEXT) | instid1(VALU_DEP_2)
	v_and_b32_e32 v135, 0x80, v135
	v_or_b32_e32 v130, v130, v147
	v_and_b32_e32 v150, 7, v147
	s_delay_alu instid0(VALU_DEP_2) | instskip(SKIP_1) | instid1(VALU_DEP_1)
	v_cmp_ne_u32_e32 vcc_lo, 0, v130
	v_lshlrev_b32_e32 v149, 3, v149
	v_or3_b32 v135, v149, v135, v150
	s_delay_alu instid0(VALU_DEP_1)
	v_cndmask_b32_e32 v130, 0, v135, vcc_lo
.LBB4_3647:                             ;   in Loop: Header=BB4_2983 Depth=2
	s_or_b32 exec_lo, exec_lo, s24
.LBB4_3648:                             ;   in Loop: Header=BB4_2983 Depth=2
	s_delay_alu instid0(SALU_CYCLE_1) | instskip(SKIP_3) | instid1(VALU_DEP_1)
	s_or_b32 exec_lo, exec_lo, s23
	v_and_b32_e32 v147, 0xff, v119
	s_mov_b32 s7, 0
	s_mov_b32 s24, exec_lo
                                        ; implicit-def: $sgpr23
	v_cmpx_lt_i16_e64 0x7f, v147
	s_xor_b32 s24, exec_lo, s24
	s_cbranch_execnz .LBB4_4150
; %bb.3649:                             ;   in Loop: Header=BB4_2983 Depth=2
	s_or_saveexec_b32 s24, s24
	v_mov_b32_e32 v135, s23
	s_xor_b32 exec_lo, exec_lo, s24
	s_cbranch_execnz .LBB4_4153
.LBB4_3650:                             ;   in Loop: Header=BB4_2983 Depth=2
	s_or_b32 exec_lo, exec_lo, s24
	s_and_saveexec_b32 s23, s7
	s_cbranch_execz .LBB4_3652
.LBB4_3651:                             ;   in Loop: Header=BB4_2983 Depth=2
	v_and_b32_e32 v135, 7, v119
	v_bfe_u32 v150, v119, 3, 4
	s_delay_alu instid0(VALU_DEP_2) | instskip(NEXT) | instid1(VALU_DEP_2)
	v_clz_i32_u32_e32 v147, v135
	v_cmp_eq_u32_e32 vcc_lo, 0, v150
	s_delay_alu instid0(VALU_DEP_2) | instskip(NEXT) | instid1(VALU_DEP_1)
	v_min_u32_e32 v147, 32, v147
	v_subrev_nc_u32_e32 v149, 28, v147
	v_sub_nc_u32_e32 v147, 29, v147
	s_delay_alu instid0(VALU_DEP_2) | instskip(SKIP_1) | instid1(VALU_DEP_3)
	v_lshlrev_b32_e32 v149, v149, v119
	v_lshlrev_b32_e32 v119, 24, v119
	v_cndmask_b32_e32 v147, v150, v147, vcc_lo
	s_delay_alu instid0(VALU_DEP_3) | instskip(NEXT) | instid1(VALU_DEP_3)
	v_and_b32_e32 v149, 7, v149
	v_and_b32_e32 v119, 0x80000000, v119
	s_delay_alu instid0(VALU_DEP_3) | instskip(NEXT) | instid1(VALU_DEP_3)
	v_lshl_add_u32 v147, v147, 23, 0x3b800000
	v_cndmask_b32_e32 v135, v135, v149, vcc_lo
	s_delay_alu instid0(VALU_DEP_1) | instskip(NEXT) | instid1(VALU_DEP_1)
	v_lshlrev_b32_e32 v135, 20, v135
	v_or3_b32 v135, v119, v147, v135
.LBB4_3652:                             ;   in Loop: Header=BB4_2983 Depth=2
	s_or_b32 exec_lo, exec_lo, s23
	v_lshrrev_b16 v119, 8, v10
	s_mov_b32 s7, 0
	s_mov_b32 s24, exec_lo
                                        ; implicit-def: $sgpr23
	s_delay_alu instid0(VALU_DEP_1)
	v_cmpx_lt_i16_e32 0x7f, v119
	s_xor_b32 s24, exec_lo, s24
	s_cbranch_execnz .LBB4_4154
; %bb.3653:                             ;   in Loop: Header=BB4_2983 Depth=2
	s_or_saveexec_b32 s24, s24
	v_mov_b32_e32 v147, s23
	s_xor_b32 exec_lo, exec_lo, s24
	s_cbranch_execnz .LBB4_4157
.LBB4_3654:                             ;   in Loop: Header=BB4_2983 Depth=2
	s_or_b32 exec_lo, exec_lo, s24
	s_and_saveexec_b32 s23, s7
	s_cbranch_execz .LBB4_3656
.LBB4_3655:                             ;   in Loop: Header=BB4_2983 Depth=2
	v_and_b32_e32 v147, 0xffff, v119
	v_lshlrev_b32_e32 v119, 24, v119
	s_delay_alu instid0(VALU_DEP_2) | instskip(NEXT) | instid1(VALU_DEP_2)
	v_and_b32_e32 v149, 7, v147
	v_and_b32_e32 v119, 0x80000000, v119
	s_delay_alu instid0(VALU_DEP_2) | instskip(NEXT) | instid1(VALU_DEP_1)
	v_clz_i32_u32_e32 v150, v149
	v_min_u32_e32 v150, 32, v150
	s_delay_alu instid0(VALU_DEP_1) | instskip(SKIP_1) | instid1(VALU_DEP_2)
	v_subrev_nc_u32_e32 v151, 28, v150
	v_sub_nc_u32_e32 v150, 29, v150
	v_lshlrev_b32_e32 v151, v151, v147
	v_bfe_u32 v147, v147, 3, 4
	s_delay_alu instid0(VALU_DEP_2) | instskip(NEXT) | instid1(VALU_DEP_2)
	v_and_b32_e32 v151, 7, v151
	v_cmp_eq_u32_e32 vcc_lo, 0, v147
	v_cndmask_b32_e32 v147, v147, v150, vcc_lo
	s_delay_alu instid0(VALU_DEP_3) | instskip(NEXT) | instid1(VALU_DEP_2)
	v_cndmask_b32_e32 v149, v149, v151, vcc_lo
	v_lshl_add_u32 v147, v147, 23, 0x3b800000
	s_delay_alu instid0(VALU_DEP_2) | instskip(NEXT) | instid1(VALU_DEP_1)
	v_lshlrev_b32_e32 v149, 20, v149
	v_or3_b32 v147, v119, v147, v149
.LBB4_3656:                             ;   in Loop: Header=BB4_2983 Depth=2
	s_or_b32 exec_lo, exec_lo, s23
	s_delay_alu instid0(VALU_DEP_1) | instskip(NEXT) | instid1(VALU_DEP_1)
	v_add_f32_e32 v135, v135, v147
	v_and_b32_e32 v119, 0x7f800000, v135
	s_delay_alu instid0(VALU_DEP_1)
	v_cmp_ne_u32_e32 vcc_lo, 0x7f800000, v119
	v_mov_b32_e32 v119, 0x80
	s_and_saveexec_b32 s23, vcc_lo
	s_cbranch_execz .LBB4_3664
; %bb.3657:                             ;   in Loop: Header=BB4_2983 Depth=2
	v_mov_b32_e32 v119, 0
	s_mov_b32 s24, exec_lo
	v_cmpx_ne_u32_e32 0, v135
	s_cbranch_execz .LBB4_3663
; %bb.3658:                             ;   in Loop: Header=BB4_2983 Depth=2
	v_bfe_u32 v119, v135, 23, 8
	v_and_b32_e32 v147, 0x7fffff, v135
	s_delay_alu instid0(VALU_DEP_2) | instskip(SKIP_1) | instid1(VALU_DEP_3)
	v_sub_nc_u32_e32 v149, 0x78, v119
	v_cmp_gt_u32_e32 vcc_lo, 0x79, v119
	v_or_b32_e32 v150, 0x800000, v147
	s_delay_alu instid0(VALU_DEP_3) | instskip(SKIP_2) | instid1(VALU_DEP_3)
	v_cndmask_b32_e32 v149, 0, v149, vcc_lo
	v_cmp_eq_u32_e32 vcc_lo, 0, v119
	v_add_nc_u32_e32 v119, 0xffffff89, v119
	v_cndmask_b32_e64 v149, v149, 0x77, vcc_lo
	v_cndmask_b32_e32 v147, v150, v147, vcc_lo
	s_delay_alu instid0(VALU_DEP_3) | instskip(NEXT) | instid1(VALU_DEP_3)
	v_cndmask_b32_e64 v119, v119, 0xffffff8a, vcc_lo
	v_lshl_add_u32 v150, 0x100000, v149, -1
	s_delay_alu instid0(VALU_DEP_3) | instskip(SKIP_1) | instid1(VALU_DEP_4)
	v_lshrrev_b32_e32 v151, v149, v147
	v_lshlrev_b32_e64 v161, v149, 0x80000
	v_add_nc_u32_e32 v149, v149, v119
	s_delay_alu instid0(VALU_DEP_4) | instskip(NEXT) | instid1(VALU_DEP_4)
	v_and_b32_e32 v147, v150, v147
	v_bfe_u32 v160, v151, 20, 1
	s_delay_alu instid0(VALU_DEP_2) | instskip(NEXT) | instid1(VALU_DEP_2)
	v_cmp_eq_u32_e64 s7, v147, v161
	v_add_nc_u32_e32 v150, -1, v160
	s_delay_alu instid0(VALU_DEP_1) | instskip(SKIP_2) | instid1(VALU_DEP_2)
	v_cndmask_b32_e64 v147, 0, v150, s7
	v_lshrrev_b32_e32 v150, 23, v151
	s_mov_b32 s7, exec_lo
	v_add_nc_u32_e32 v147, v147, v151
	s_delay_alu instid0(VALU_DEP_2) | instskip(NEXT) | instid1(VALU_DEP_2)
	v_xor_b32_e32 v150, 1, v150
	v_and_b32_e32 v119, 0xfffff, v147
	s_delay_alu instid0(VALU_DEP_1) | instskip(NEXT) | instid1(VALU_DEP_3)
	v_add_nc_u32_e32 v147, v119, v151
                                        ; implicit-def: $vgpr119
	v_cmpx_ne_u32_e64 v149, v150
	s_xor_b32 s7, exec_lo, s7
; %bb.3659:                             ;   in Loop: Header=BB4_2983 Depth=2
	s_delay_alu instid0(VALU_DEP_2) | instskip(SKIP_2) | instid1(VALU_DEP_2)
	v_cmp_lt_u32_e32 vcc_lo, 0xffffff, v147
	v_sub_nc_u32_e32 v119, v149, v150
	v_cndmask_b32_e64 v149, 0, 1, vcc_lo
	v_add_co_ci_u32_e32 v119, vcc_lo, 0, v119, vcc_lo
	s_delay_alu instid0(VALU_DEP_2)
	v_lshrrev_b32_e32 v147, v149, v147
; %bb.3660:                             ;   in Loop: Header=BB4_2983 Depth=2
	s_and_not1_saveexec_b32 s7, s7
; %bb.3661:                             ;   in Loop: Header=BB4_2983 Depth=2
	s_delay_alu instid0(VALU_DEP_1)
	v_bfe_u32 v119, v147, 23, 1
; %bb.3662:                             ;   in Loop: Header=BB4_2983 Depth=2
	s_or_b32 exec_lo, exec_lo, s7
	v_lshrrev_b32_e32 v147, 20, v147
	s_delay_alu instid0(VALU_DEP_2) | instskip(SKIP_2) | instid1(VALU_DEP_4)
	v_cmp_gt_i32_e32 vcc_lo, 16, v119
	v_lshrrev_b32_e32 v135, 24, v135
	v_min_i32_e32 v149, 15, v119
	v_cndmask_b32_e32 v147, 7, v147, vcc_lo
	s_delay_alu instid0(VALU_DEP_3) | instskip(NEXT) | instid1(VALU_DEP_3)
	v_and_b32_e32 v135, 0x80, v135
	v_lshlrev_b32_e32 v149, 3, v149
	s_delay_alu instid0(VALU_DEP_3) | instskip(SKIP_1) | instid1(VALU_DEP_2)
	v_and_b32_e32 v150, 7, v147
	v_or_b32_e32 v119, v119, v147
	v_or3_b32 v135, v149, v135, v150
	s_delay_alu instid0(VALU_DEP_2) | instskip(NEXT) | instid1(VALU_DEP_2)
	v_cmp_ne_u32_e32 vcc_lo, 0, v119
	v_cndmask_b32_e32 v119, 0, v135, vcc_lo
.LBB4_3663:                             ;   in Loop: Header=BB4_2983 Depth=2
	s_or_b32 exec_lo, exec_lo, s24
.LBB4_3664:                             ;   in Loop: Header=BB4_2983 Depth=2
	s_delay_alu instid0(SALU_CYCLE_1) | instskip(SKIP_3) | instid1(VALU_DEP_1)
	s_or_b32 exec_lo, exec_lo, s23
	v_and_b32_e32 v147, 0xff, v118
	s_mov_b32 s7, 0
	s_mov_b32 s24, exec_lo
                                        ; implicit-def: $sgpr23
	v_cmpx_lt_i16_e64 0x7f, v147
	s_xor_b32 s24, exec_lo, s24
	s_cbranch_execnz .LBB4_4158
; %bb.3665:                             ;   in Loop: Header=BB4_2983 Depth=2
	s_or_saveexec_b32 s24, s24
	v_mov_b32_e32 v135, s23
	s_xor_b32 exec_lo, exec_lo, s24
	s_cbranch_execnz .LBB4_4161
.LBB4_3666:                             ;   in Loop: Header=BB4_2983 Depth=2
	s_or_b32 exec_lo, exec_lo, s24
	s_and_saveexec_b32 s23, s7
	s_cbranch_execz .LBB4_3668
.LBB4_3667:                             ;   in Loop: Header=BB4_2983 Depth=2
	v_and_b32_e32 v135, 7, v118
	v_bfe_u32 v150, v118, 3, 4
	s_delay_alu instid0(VALU_DEP_2) | instskip(NEXT) | instid1(VALU_DEP_2)
	v_clz_i32_u32_e32 v147, v135
	v_cmp_eq_u32_e32 vcc_lo, 0, v150
	s_delay_alu instid0(VALU_DEP_2) | instskip(NEXT) | instid1(VALU_DEP_1)
	v_min_u32_e32 v147, 32, v147
	v_subrev_nc_u32_e32 v149, 28, v147
	v_sub_nc_u32_e32 v147, 29, v147
	s_delay_alu instid0(VALU_DEP_2) | instskip(NEXT) | instid1(VALU_DEP_2)
	v_lshlrev_b32_e32 v149, v149, v118
	v_dual_cndmask_b32 v147, v150, v147 :: v_dual_lshlrev_b32 v118, 24, v118
	s_delay_alu instid0(VALU_DEP_2) | instskip(NEXT) | instid1(VALU_DEP_2)
	v_and_b32_e32 v149, 7, v149
	v_and_b32_e32 v118, 0x80000000, v118
	s_delay_alu instid0(VALU_DEP_3) | instskip(NEXT) | instid1(VALU_DEP_3)
	v_lshl_add_u32 v147, v147, 23, 0x3b800000
	v_cndmask_b32_e32 v135, v135, v149, vcc_lo
	s_delay_alu instid0(VALU_DEP_1) | instskip(NEXT) | instid1(VALU_DEP_1)
	v_lshlrev_b32_e32 v135, 20, v135
	v_or3_b32 v135, v118, v147, v135
.LBB4_3668:                             ;   in Loop: Header=BB4_2983 Depth=2
	s_or_b32 exec_lo, exec_lo, s23
	v_lshrrev_b32_e32 v118, 16, v10
	s_mov_b32 s7, 0
	s_mov_b32 s24, exec_lo
                                        ; implicit-def: $sgpr23
	s_delay_alu instid0(VALU_DEP_1) | instskip(NEXT) | instid1(VALU_DEP_1)
	v_and_b32_e32 v149, 0xff, v118
	v_cmpx_lt_i16_e64 0x7f, v149
	s_xor_b32 s24, exec_lo, s24
	s_cbranch_execnz .LBB4_4162
; %bb.3669:                             ;   in Loop: Header=BB4_2983 Depth=2
	s_or_saveexec_b32 s24, s24
	v_mov_b32_e32 v147, s23
	s_xor_b32 exec_lo, exec_lo, s24
	s_cbranch_execnz .LBB4_4165
.LBB4_3670:                             ;   in Loop: Header=BB4_2983 Depth=2
	s_or_b32 exec_lo, exec_lo, s24
	s_and_saveexec_b32 s23, s7
	s_cbranch_execz .LBB4_3672
.LBB4_3671:                             ;   in Loop: Header=BB4_2983 Depth=2
	v_bfe_u32 v147, v10, 16, 3
	v_lshlrev_b32_e32 v151, 8, v10
	s_delay_alu instid0(VALU_DEP_2) | instskip(NEXT) | instid1(VALU_DEP_1)
	v_clz_i32_u32_e32 v149, v147
	v_min_u32_e32 v149, 32, v149
	s_delay_alu instid0(VALU_DEP_1) | instskip(SKIP_1) | instid1(VALU_DEP_2)
	v_subrev_nc_u32_e32 v150, 28, v149
	v_sub_nc_u32_e32 v149, 29, v149
	v_lshlrev_b32_e32 v118, v150, v118
	v_bfe_u32 v150, v10, 19, 4
	s_delay_alu instid0(VALU_DEP_1) | instskip(NEXT) | instid1(VALU_DEP_3)
	v_cmp_eq_u32_e32 vcc_lo, 0, v150
	v_dual_cndmask_b32 v149, v150, v149 :: v_dual_and_b32 v118, 7, v118
	s_delay_alu instid0(VALU_DEP_1) | instskip(NEXT) | instid1(VALU_DEP_2)
	v_dual_cndmask_b32 v118, v147, v118 :: v_dual_and_b32 v147, 0x80000000, v151
	v_lshl_add_u32 v149, v149, 23, 0x3b800000
	s_delay_alu instid0(VALU_DEP_2) | instskip(NEXT) | instid1(VALU_DEP_1)
	v_lshlrev_b32_e32 v118, 20, v118
	v_or3_b32 v147, v147, v149, v118
.LBB4_3672:                             ;   in Loop: Header=BB4_2983 Depth=2
	s_or_b32 exec_lo, exec_lo, s23
	s_delay_alu instid0(VALU_DEP_1) | instskip(NEXT) | instid1(VALU_DEP_1)
	v_add_f32_e32 v135, v135, v147
	v_and_b32_e32 v118, 0x7f800000, v135
	s_delay_alu instid0(VALU_DEP_1)
	v_cmp_ne_u32_e32 vcc_lo, 0x7f800000, v118
	v_mov_b32_e32 v118, 0x80
	s_and_saveexec_b32 s23, vcc_lo
	s_cbranch_execz .LBB4_3680
; %bb.3673:                             ;   in Loop: Header=BB4_2983 Depth=2
	v_mov_b32_e32 v118, 0
	s_mov_b32 s24, exec_lo
	v_cmpx_ne_u32_e32 0, v135
	s_cbranch_execz .LBB4_3679
; %bb.3674:                             ;   in Loop: Header=BB4_2983 Depth=2
	v_bfe_u32 v118, v135, 23, 8
	v_and_b32_e32 v147, 0x7fffff, v135
	s_delay_alu instid0(VALU_DEP_2) | instskip(SKIP_1) | instid1(VALU_DEP_3)
	v_sub_nc_u32_e32 v149, 0x78, v118
	v_cmp_gt_u32_e32 vcc_lo, 0x79, v118
	v_or_b32_e32 v150, 0x800000, v147
	s_delay_alu instid0(VALU_DEP_3) | instskip(SKIP_2) | instid1(VALU_DEP_3)
	v_cndmask_b32_e32 v149, 0, v149, vcc_lo
	v_cmp_eq_u32_e32 vcc_lo, 0, v118
	v_add_nc_u32_e32 v118, 0xffffff89, v118
	v_cndmask_b32_e64 v149, v149, 0x77, vcc_lo
	v_cndmask_b32_e32 v147, v150, v147, vcc_lo
	s_delay_alu instid0(VALU_DEP_3) | instskip(NEXT) | instid1(VALU_DEP_3)
	v_cndmask_b32_e64 v118, v118, 0xffffff8a, vcc_lo
	v_lshl_add_u32 v150, 0x100000, v149, -1
	s_delay_alu instid0(VALU_DEP_3) | instskip(SKIP_1) | instid1(VALU_DEP_4)
	v_lshrrev_b32_e32 v151, v149, v147
	v_lshlrev_b32_e64 v161, v149, 0x80000
	v_add_nc_u32_e32 v149, v149, v118
	s_delay_alu instid0(VALU_DEP_4) | instskip(NEXT) | instid1(VALU_DEP_4)
	v_and_b32_e32 v147, v150, v147
	v_bfe_u32 v160, v151, 20, 1
	s_delay_alu instid0(VALU_DEP_2) | instskip(NEXT) | instid1(VALU_DEP_2)
	v_cmp_eq_u32_e64 s7, v147, v161
	v_add_nc_u32_e32 v150, -1, v160
	s_delay_alu instid0(VALU_DEP_1) | instskip(SKIP_2) | instid1(VALU_DEP_2)
	v_cndmask_b32_e64 v147, 0, v150, s7
	v_lshrrev_b32_e32 v150, 23, v151
	s_mov_b32 s7, exec_lo
	v_add_nc_u32_e32 v147, v147, v151
	s_delay_alu instid0(VALU_DEP_2) | instskip(NEXT) | instid1(VALU_DEP_2)
	v_xor_b32_e32 v150, 1, v150
	v_and_b32_e32 v118, 0xfffff, v147
	s_delay_alu instid0(VALU_DEP_1) | instskip(NEXT) | instid1(VALU_DEP_3)
	v_add_nc_u32_e32 v147, v118, v151
                                        ; implicit-def: $vgpr118
	v_cmpx_ne_u32_e64 v149, v150
	s_xor_b32 s7, exec_lo, s7
; %bb.3675:                             ;   in Loop: Header=BB4_2983 Depth=2
	s_delay_alu instid0(VALU_DEP_2) | instskip(SKIP_2) | instid1(VALU_DEP_2)
	v_cmp_lt_u32_e32 vcc_lo, 0xffffff, v147
	v_sub_nc_u32_e32 v118, v149, v150
	v_cndmask_b32_e64 v149, 0, 1, vcc_lo
	v_add_co_ci_u32_e32 v118, vcc_lo, 0, v118, vcc_lo
	s_delay_alu instid0(VALU_DEP_2)
	v_lshrrev_b32_e32 v147, v149, v147
; %bb.3676:                             ;   in Loop: Header=BB4_2983 Depth=2
	s_and_not1_saveexec_b32 s7, s7
; %bb.3677:                             ;   in Loop: Header=BB4_2983 Depth=2
	s_delay_alu instid0(VALU_DEP_1)
	v_bfe_u32 v118, v147, 23, 1
; %bb.3678:                             ;   in Loop: Header=BB4_2983 Depth=2
	s_or_b32 exec_lo, exec_lo, s7
	v_lshrrev_b32_e32 v147, 20, v147
	s_delay_alu instid0(VALU_DEP_2) | instskip(SKIP_2) | instid1(VALU_DEP_4)
	v_cmp_gt_i32_e32 vcc_lo, 16, v118
	v_lshrrev_b32_e32 v135, 24, v135
	v_min_i32_e32 v149, 15, v118
	v_cndmask_b32_e32 v147, 7, v147, vcc_lo
	s_delay_alu instid0(VALU_DEP_3) | instskip(NEXT) | instid1(VALU_DEP_2)
	v_and_b32_e32 v135, 0x80, v135
	v_or_b32_e32 v118, v118, v147
	v_and_b32_e32 v150, 7, v147
	s_delay_alu instid0(VALU_DEP_2) | instskip(SKIP_1) | instid1(VALU_DEP_1)
	v_cmp_ne_u32_e32 vcc_lo, 0, v118
	v_lshlrev_b32_e32 v149, 3, v149
	v_or3_b32 v135, v149, v135, v150
	s_delay_alu instid0(VALU_DEP_1)
	v_cndmask_b32_e32 v118, 0, v135, vcc_lo
.LBB4_3679:                             ;   in Loop: Header=BB4_2983 Depth=2
	s_or_b32 exec_lo, exec_lo, s24
.LBB4_3680:                             ;   in Loop: Header=BB4_2983 Depth=2
	s_delay_alu instid0(SALU_CYCLE_1) | instskip(SKIP_3) | instid1(VALU_DEP_1)
	s_or_b32 exec_lo, exec_lo, s23
	v_and_b32_e32 v147, 0xff, v116
	s_mov_b32 s7, 0
	s_mov_b32 s24, exec_lo
                                        ; implicit-def: $sgpr23
	v_cmpx_lt_i16_e64 0x7f, v147
	s_xor_b32 s24, exec_lo, s24
	s_cbranch_execnz .LBB4_4166
; %bb.3681:                             ;   in Loop: Header=BB4_2983 Depth=2
	s_or_saveexec_b32 s24, s24
	v_mov_b32_e32 v135, s23
	s_xor_b32 exec_lo, exec_lo, s24
	s_cbranch_execnz .LBB4_4169
.LBB4_3682:                             ;   in Loop: Header=BB4_2983 Depth=2
	s_or_b32 exec_lo, exec_lo, s24
	s_and_saveexec_b32 s23, s7
	s_cbranch_execz .LBB4_3684
.LBB4_3683:                             ;   in Loop: Header=BB4_2983 Depth=2
	v_lshlrev_b32_e32 v116, 8, v116
	s_delay_alu instid0(VALU_DEP_1) | instskip(SKIP_1) | instid1(VALU_DEP_2)
	v_and_b32_e32 v135, 0xff00, v116
	v_bfe_u32 v116, v116, 11, 4
	v_bfe_u32 v149, v135, 8, 3
	s_delay_alu instid0(VALU_DEP_2) | instskip(NEXT) | instid1(VALU_DEP_2)
	v_cmp_eq_u32_e32 vcc_lo, 0, v116
	v_clz_i32_u32_e32 v150, v149
	s_delay_alu instid0(VALU_DEP_1) | instskip(NEXT) | instid1(VALU_DEP_1)
	v_min_u32_e32 v150, 32, v150
	v_subrev_nc_u32_e32 v151, 28, v150
	v_sub_nc_u32_e32 v150, 29, v150
	s_delay_alu instid0(VALU_DEP_1) | instskip(SKIP_1) | instid1(VALU_DEP_2)
	v_dual_cndmask_b32 v116, v116, v150 :: v_dual_lshlrev_b32 v147, v151, v147
	v_lshlrev_b32_e32 v135, 16, v135
	v_and_b32_e32 v147, 7, v147
	s_delay_alu instid0(VALU_DEP_3) | instskip(NEXT) | instid1(VALU_DEP_3)
	v_lshl_add_u32 v116, v116, 23, 0x3b800000
	v_and_b32_e32 v135, 0x80000000, v135
	s_delay_alu instid0(VALU_DEP_3) | instskip(NEXT) | instid1(VALU_DEP_1)
	v_cndmask_b32_e32 v147, v149, v147, vcc_lo
	v_lshlrev_b32_e32 v147, 20, v147
	s_delay_alu instid0(VALU_DEP_1)
	v_or3_b32 v135, v135, v116, v147
.LBB4_3684:                             ;   in Loop: Header=BB4_2983 Depth=2
	s_or_b32 exec_lo, exec_lo, s23
	v_lshrrev_b32_e32 v116, 24, v10
	s_mov_b32 s7, 0
	s_mov_b32 s24, exec_lo
                                        ; implicit-def: $sgpr23
	s_delay_alu instid0(VALU_DEP_1)
	v_cmpx_lt_i16_e32 0x7f, v116
	s_xor_b32 s24, exec_lo, s24
	s_cbranch_execnz .LBB4_4170
; %bb.3685:                             ;   in Loop: Header=BB4_2983 Depth=2
	s_or_saveexec_b32 s24, s24
	v_mov_b32_e32 v147, s23
	s_xor_b32 exec_lo, exec_lo, s24
	s_cbranch_execnz .LBB4_4173
.LBB4_3686:                             ;   in Loop: Header=BB4_2983 Depth=2
	s_or_b32 exec_lo, exec_lo, s24
	s_and_saveexec_b32 s23, s7
	s_cbranch_execz .LBB4_3688
.LBB4_3687:                             ;   in Loop: Header=BB4_2983 Depth=2
	v_bfe_u32 v147, v10, 24, 3
	s_delay_alu instid0(VALU_DEP_1) | instskip(NEXT) | instid1(VALU_DEP_1)
	v_clz_i32_u32_e32 v149, v147
	v_min_u32_e32 v149, 32, v149
	s_delay_alu instid0(VALU_DEP_1) | instskip(SKIP_1) | instid1(VALU_DEP_2)
	v_subrev_nc_u32_e32 v150, 28, v149
	v_sub_nc_u32_e32 v149, 29, v149
	v_lshlrev_b32_e32 v116, v150, v116
	v_bfe_u32 v150, v10, 27, 4
	v_and_b32_e32 v10, 0x80000000, v10
	s_delay_alu instid0(VALU_DEP_2) | instskip(NEXT) | instid1(VALU_DEP_4)
	v_cmp_eq_u32_e32 vcc_lo, 0, v150
	v_dual_cndmask_b32 v149, v150, v149 :: v_dual_and_b32 v116, 7, v116
	s_delay_alu instid0(VALU_DEP_1) | instskip(NEXT) | instid1(VALU_DEP_2)
	v_cndmask_b32_e32 v116, v147, v116, vcc_lo
	v_lshl_add_u32 v147, v149, 23, 0x3b800000
	s_delay_alu instid0(VALU_DEP_2) | instskip(NEXT) | instid1(VALU_DEP_1)
	v_lshlrev_b32_e32 v116, 20, v116
	v_or3_b32 v147, v10, v147, v116
.LBB4_3688:                             ;   in Loop: Header=BB4_2983 Depth=2
	s_or_b32 exec_lo, exec_lo, s23
	s_delay_alu instid0(VALU_DEP_1) | instskip(NEXT) | instid1(VALU_DEP_1)
	v_add_f32_e32 v116, v135, v147
	v_and_b32_e32 v10, 0x7f800000, v116
	s_delay_alu instid0(VALU_DEP_1)
	v_cmp_ne_u32_e32 vcc_lo, 0x7f800000, v10
	v_mov_b32_e32 v10, 0x80
	s_and_saveexec_b32 s23, vcc_lo
	s_cbranch_execz .LBB4_3696
; %bb.3689:                             ;   in Loop: Header=BB4_2983 Depth=2
	v_mov_b32_e32 v10, 0
	s_mov_b32 s24, exec_lo
	v_cmpx_ne_u32_e32 0, v116
	s_cbranch_execz .LBB4_3695
; %bb.3690:                             ;   in Loop: Header=BB4_2983 Depth=2
	v_bfe_u32 v10, v116, 23, 8
	v_and_b32_e32 v135, 0x7fffff, v116
	s_delay_alu instid0(VALU_DEP_2) | instskip(SKIP_1) | instid1(VALU_DEP_3)
	v_sub_nc_u32_e32 v147, 0x78, v10
	v_cmp_gt_u32_e32 vcc_lo, 0x79, v10
	v_or_b32_e32 v149, 0x800000, v135
	s_delay_alu instid0(VALU_DEP_3) | instskip(SKIP_2) | instid1(VALU_DEP_3)
	v_cndmask_b32_e32 v147, 0, v147, vcc_lo
	v_cmp_eq_u32_e32 vcc_lo, 0, v10
	v_add_nc_u32_e32 v10, 0xffffff89, v10
	v_cndmask_b32_e64 v147, v147, 0x77, vcc_lo
	v_cndmask_b32_e32 v135, v149, v135, vcc_lo
	s_delay_alu instid0(VALU_DEP_3) | instskip(NEXT) | instid1(VALU_DEP_3)
	v_cndmask_b32_e64 v10, v10, 0xffffff8a, vcc_lo
	v_lshl_add_u32 v149, 0x100000, v147, -1
	s_delay_alu instid0(VALU_DEP_3) | instskip(SKIP_1) | instid1(VALU_DEP_4)
	v_lshrrev_b32_e32 v150, v147, v135
	v_lshlrev_b32_e64 v160, v147, 0x80000
	v_add_nc_u32_e32 v147, v147, v10
	s_delay_alu instid0(VALU_DEP_4) | instskip(NEXT) | instid1(VALU_DEP_4)
	v_and_b32_e32 v135, v149, v135
	v_bfe_u32 v151, v150, 20, 1
	s_delay_alu instid0(VALU_DEP_2) | instskip(NEXT) | instid1(VALU_DEP_2)
	v_cmp_eq_u32_e64 s7, v135, v160
	v_add_nc_u32_e32 v149, -1, v151
	s_delay_alu instid0(VALU_DEP_1) | instskip(SKIP_2) | instid1(VALU_DEP_2)
	v_cndmask_b32_e64 v135, 0, v149, s7
	v_lshrrev_b32_e32 v149, 23, v150
	s_mov_b32 s7, exec_lo
	v_add_nc_u32_e32 v135, v135, v150
	s_delay_alu instid0(VALU_DEP_2) | instskip(NEXT) | instid1(VALU_DEP_2)
	v_xor_b32_e32 v149, 1, v149
	v_and_b32_e32 v10, 0xfffff, v135
	s_delay_alu instid0(VALU_DEP_1) | instskip(NEXT) | instid1(VALU_DEP_3)
	v_add_nc_u32_e32 v135, v10, v150
                                        ; implicit-def: $vgpr10
	v_cmpx_ne_u32_e64 v147, v149
	s_xor_b32 s7, exec_lo, s7
; %bb.3691:                             ;   in Loop: Header=BB4_2983 Depth=2
	s_delay_alu instid0(VALU_DEP_2) | instskip(SKIP_2) | instid1(VALU_DEP_2)
	v_cmp_lt_u32_e32 vcc_lo, 0xffffff, v135
	v_sub_nc_u32_e32 v10, v147, v149
	v_cndmask_b32_e64 v147, 0, 1, vcc_lo
	v_add_co_ci_u32_e32 v10, vcc_lo, 0, v10, vcc_lo
	s_delay_alu instid0(VALU_DEP_2)
	v_lshrrev_b32_e32 v135, v147, v135
; %bb.3692:                             ;   in Loop: Header=BB4_2983 Depth=2
	s_and_not1_saveexec_b32 s7, s7
; %bb.3693:                             ;   in Loop: Header=BB4_2983 Depth=2
	s_delay_alu instid0(VALU_DEP_1)
	v_bfe_u32 v10, v135, 23, 1
; %bb.3694:                             ;   in Loop: Header=BB4_2983 Depth=2
	s_or_b32 exec_lo, exec_lo, s7
	v_lshrrev_b32_e32 v135, 20, v135
	s_delay_alu instid0(VALU_DEP_2) | instskip(SKIP_2) | instid1(VALU_DEP_2)
	v_cmp_gt_i32_e32 vcc_lo, 16, v10
	v_lshrrev_b32_e32 v116, 24, v116
	v_min_i32_e32 v147, 15, v10
	v_dual_cndmask_b32 v135, 7, v135 :: v_dual_and_b32 v116, 0x80, v116
	s_delay_alu instid0(VALU_DEP_2) | instskip(NEXT) | instid1(VALU_DEP_2)
	v_lshlrev_b32_e32 v147, 3, v147
	v_or_b32_e32 v10, v10, v135
	s_delay_alu instid0(VALU_DEP_1) | instskip(SKIP_1) | instid1(VALU_DEP_1)
	v_cmp_ne_u32_e32 vcc_lo, 0, v10
	v_and_b32_e32 v149, 7, v135
	v_or3_b32 v116, v147, v116, v149
	s_delay_alu instid0(VALU_DEP_1)
	v_cndmask_b32_e32 v10, 0, v116, vcc_lo
.LBB4_3695:                             ;   in Loop: Header=BB4_2983 Depth=2
	s_or_b32 exec_lo, exec_lo, s24
.LBB4_3696:                             ;   in Loop: Header=BB4_2983 Depth=2
	s_delay_alu instid0(SALU_CYCLE_1) | instskip(SKIP_3) | instid1(VALU_DEP_1)
	s_or_b32 exec_lo, exec_lo, s23
	v_or_b32_e32 v129, v129, v115
	s_mov_b32 s7, 0
	s_mov_b32 s24, exec_lo
                                        ; implicit-def: $sgpr23
	v_and_b32_e32 v116, 0xff, v129
	s_delay_alu instid0(VALU_DEP_1)
	v_cmpx_lt_i16_e32 0x7f, v116
	s_xor_b32 s24, exec_lo, s24
	s_cbranch_execnz .LBB4_4174
; %bb.3697:                             ;   in Loop: Header=BB4_2983 Depth=2
	s_or_saveexec_b32 s24, s24
	v_mov_b32_e32 v115, s23
	s_xor_b32 exec_lo, exec_lo, s24
	s_cbranch_execnz .LBB4_4177
.LBB4_3698:                             ;   in Loop: Header=BB4_2983 Depth=2
	s_or_b32 exec_lo, exec_lo, s24
	s_and_saveexec_b32 s23, s7
	s_cbranch_execz .LBB4_3700
.LBB4_3699:                             ;   in Loop: Header=BB4_2983 Depth=2
	v_bfe_u32 v147, v129, 3, 4
	v_lshlrev_b32_e32 v149, 24, v129
	s_delay_alu instid0(VALU_DEP_2) | instskip(SKIP_1) | instid1(VALU_DEP_1)
	v_cmp_eq_u32_e32 vcc_lo, 0, v147
	v_and_b32_e32 v115, 7, v129
	v_clz_i32_u32_e32 v116, v115
	s_delay_alu instid0(VALU_DEP_1) | instskip(NEXT) | instid1(VALU_DEP_1)
	v_min_u32_e32 v116, 32, v116
	v_subrev_nc_u32_e32 v135, 28, v116
	v_sub_nc_u32_e32 v116, 29, v116
	s_delay_alu instid0(VALU_DEP_2) | instskip(NEXT) | instid1(VALU_DEP_1)
	v_lshlrev_b32_e32 v135, v135, v129
	v_dual_cndmask_b32 v116, v147, v116 :: v_dual_and_b32 v135, 7, v135
	s_delay_alu instid0(VALU_DEP_1) | instskip(NEXT) | instid1(VALU_DEP_2)
	v_lshl_add_u32 v116, v116, 23, 0x3b800000
	v_cndmask_b32_e32 v115, v115, v135, vcc_lo
	v_and_b32_e32 v135, 0x80000000, v149
	s_delay_alu instid0(VALU_DEP_2) | instskip(NEXT) | instid1(VALU_DEP_1)
	v_lshlrev_b32_e32 v115, 20, v115
	v_or3_b32 v115, v135, v116, v115
.LBB4_3700:                             ;   in Loop: Header=BB4_2983 Depth=2
	s_or_b32 exec_lo, exec_lo, s23
	v_and_b32_e32 v135, 0xff, v11
	s_mov_b32 s7, 0
	s_mov_b32 s24, exec_lo
                                        ; implicit-def: $sgpr23
	s_delay_alu instid0(VALU_DEP_1)
	v_cmpx_lt_i16_e64 0x7f, v135
	s_xor_b32 s24, exec_lo, s24
	s_cbranch_execnz .LBB4_4178
; %bb.3701:                             ;   in Loop: Header=BB4_2983 Depth=2
	s_or_saveexec_b32 s24, s24
	v_mov_b32_e32 v116, s23
	s_xor_b32 exec_lo, exec_lo, s24
	s_cbranch_execnz .LBB4_4181
.LBB4_3702:                             ;   in Loop: Header=BB4_2983 Depth=2
	s_or_b32 exec_lo, exec_lo, s24
	s_and_saveexec_b32 s23, s7
	s_cbranch_execz .LBB4_3704
.LBB4_3703:                             ;   in Loop: Header=BB4_2983 Depth=2
	v_and_b32_e32 v116, 7, v11
	v_bfe_u32 v149, v11, 3, 4
	v_lshlrev_b32_e32 v150, 24, v11
	s_delay_alu instid0(VALU_DEP_3) | instskip(NEXT) | instid1(VALU_DEP_3)
	v_clz_i32_u32_e32 v135, v116
	v_cmp_eq_u32_e32 vcc_lo, 0, v149
	s_delay_alu instid0(VALU_DEP_2) | instskip(NEXT) | instid1(VALU_DEP_1)
	v_min_u32_e32 v135, 32, v135
	v_subrev_nc_u32_e32 v147, 28, v135
	v_sub_nc_u32_e32 v135, 29, v135
	s_delay_alu instid0(VALU_DEP_2) | instskip(NEXT) | instid1(VALU_DEP_1)
	v_lshlrev_b32_e32 v147, v147, v11
	v_and_b32_e32 v147, 7, v147
	s_delay_alu instid0(VALU_DEP_1) | instskip(NEXT) | instid1(VALU_DEP_1)
	v_dual_cndmask_b32 v116, v116, v147 :: v_dual_and_b32 v147, 0x80000000, v150
	v_dual_cndmask_b32 v135, v149, v135 :: v_dual_lshlrev_b32 v116, 20, v116
	s_delay_alu instid0(VALU_DEP_1) | instskip(NEXT) | instid1(VALU_DEP_1)
	v_lshl_add_u32 v135, v135, 23, 0x3b800000
	v_or3_b32 v116, v147, v135, v116
.LBB4_3704:                             ;   in Loop: Header=BB4_2983 Depth=2
	s_or_b32 exec_lo, exec_lo, s23
	s_delay_alu instid0(VALU_DEP_1) | instskip(NEXT) | instid1(VALU_DEP_1)
	v_add_f32_e32 v116, v115, v116
	v_and_b32_e32 v115, 0x7f800000, v116
	s_delay_alu instid0(VALU_DEP_1)
	v_cmp_ne_u32_e32 vcc_lo, 0x7f800000, v115
	v_mov_b32_e32 v115, 0x80
	s_and_saveexec_b32 s23, vcc_lo
	s_cbranch_execz .LBB4_3712
; %bb.3705:                             ;   in Loop: Header=BB4_2983 Depth=2
	v_mov_b32_e32 v115, 0
	s_mov_b32 s24, exec_lo
	v_cmpx_ne_u32_e32 0, v116
	s_cbranch_execz .LBB4_3711
; %bb.3706:                             ;   in Loop: Header=BB4_2983 Depth=2
	v_bfe_u32 v115, v116, 23, 8
	v_and_b32_e32 v135, 0x7fffff, v116
	s_delay_alu instid0(VALU_DEP_2) | instskip(SKIP_1) | instid1(VALU_DEP_3)
	v_sub_nc_u32_e32 v147, 0x78, v115
	v_cmp_gt_u32_e32 vcc_lo, 0x79, v115
	v_or_b32_e32 v149, 0x800000, v135
	s_delay_alu instid0(VALU_DEP_3) | instskip(SKIP_2) | instid1(VALU_DEP_3)
	v_cndmask_b32_e32 v147, 0, v147, vcc_lo
	v_cmp_eq_u32_e32 vcc_lo, 0, v115
	v_add_nc_u32_e32 v115, 0xffffff89, v115
	v_cndmask_b32_e64 v147, v147, 0x77, vcc_lo
	v_cndmask_b32_e32 v135, v149, v135, vcc_lo
	s_delay_alu instid0(VALU_DEP_3) | instskip(NEXT) | instid1(VALU_DEP_3)
	v_cndmask_b32_e64 v115, v115, 0xffffff8a, vcc_lo
	v_lshl_add_u32 v149, 0x100000, v147, -1
	s_delay_alu instid0(VALU_DEP_3) | instskip(SKIP_1) | instid1(VALU_DEP_4)
	v_lshrrev_b32_e32 v150, v147, v135
	v_lshlrev_b32_e64 v160, v147, 0x80000
	v_add_nc_u32_e32 v147, v147, v115
	s_delay_alu instid0(VALU_DEP_4) | instskip(NEXT) | instid1(VALU_DEP_4)
	v_and_b32_e32 v135, v149, v135
	v_bfe_u32 v151, v150, 20, 1
	s_delay_alu instid0(VALU_DEP_2) | instskip(NEXT) | instid1(VALU_DEP_2)
	v_cmp_eq_u32_e64 s7, v135, v160
	v_add_nc_u32_e32 v149, -1, v151
	s_delay_alu instid0(VALU_DEP_1) | instskip(SKIP_2) | instid1(VALU_DEP_2)
	v_cndmask_b32_e64 v135, 0, v149, s7
	v_lshrrev_b32_e32 v149, 23, v150
	s_mov_b32 s7, exec_lo
	v_add_nc_u32_e32 v135, v135, v150
	s_delay_alu instid0(VALU_DEP_2) | instskip(NEXT) | instid1(VALU_DEP_2)
	v_xor_b32_e32 v149, 1, v149
	v_and_b32_e32 v115, 0xfffff, v135
	s_delay_alu instid0(VALU_DEP_1) | instskip(NEXT) | instid1(VALU_DEP_3)
	v_add_nc_u32_e32 v135, v115, v150
                                        ; implicit-def: $vgpr115
	v_cmpx_ne_u32_e64 v147, v149
	s_xor_b32 s7, exec_lo, s7
; %bb.3707:                             ;   in Loop: Header=BB4_2983 Depth=2
	s_delay_alu instid0(VALU_DEP_2) | instskip(SKIP_2) | instid1(VALU_DEP_2)
	v_cmp_lt_u32_e32 vcc_lo, 0xffffff, v135
	v_sub_nc_u32_e32 v115, v147, v149
	v_cndmask_b32_e64 v147, 0, 1, vcc_lo
	v_add_co_ci_u32_e32 v115, vcc_lo, 0, v115, vcc_lo
	s_delay_alu instid0(VALU_DEP_2)
	v_lshrrev_b32_e32 v135, v147, v135
; %bb.3708:                             ;   in Loop: Header=BB4_2983 Depth=2
	s_and_not1_saveexec_b32 s7, s7
; %bb.3709:                             ;   in Loop: Header=BB4_2983 Depth=2
	s_delay_alu instid0(VALU_DEP_1)
	v_bfe_u32 v115, v135, 23, 1
; %bb.3710:                             ;   in Loop: Header=BB4_2983 Depth=2
	s_or_b32 exec_lo, exec_lo, s7
	v_lshrrev_b32_e32 v135, 20, v135
	s_delay_alu instid0(VALU_DEP_2) | instskip(SKIP_2) | instid1(VALU_DEP_2)
	v_cmp_gt_i32_e32 vcc_lo, 16, v115
	v_lshrrev_b32_e32 v116, 24, v116
	v_min_i32_e32 v147, 15, v115
	v_dual_cndmask_b32 v135, 7, v135 :: v_dual_and_b32 v116, 0x80, v116
	s_delay_alu instid0(VALU_DEP_2) | instskip(NEXT) | instid1(VALU_DEP_2)
	v_lshlrev_b32_e32 v147, 3, v147
	v_and_b32_e32 v149, 7, v135
	v_or_b32_e32 v115, v115, v135
	s_delay_alu instid0(VALU_DEP_2) | instskip(NEXT) | instid1(VALU_DEP_2)
	v_or3_b32 v116, v147, v116, v149
	v_cmp_ne_u32_e32 vcc_lo, 0, v115
	s_delay_alu instid0(VALU_DEP_2)
	v_cndmask_b32_e32 v115, 0, v116, vcc_lo
.LBB4_3711:                             ;   in Loop: Header=BB4_2983 Depth=2
	s_or_b32 exec_lo, exec_lo, s24
.LBB4_3712:                             ;   in Loop: Header=BB4_2983 Depth=2
	s_delay_alu instid0(SALU_CYCLE_1) | instskip(SKIP_3) | instid1(VALU_DEP_1)
	s_or_b32 exec_lo, exec_lo, s23
	v_lshrrev_b16 v135, 8, v129
	s_mov_b32 s7, 0
	s_mov_b32 s24, exec_lo
                                        ; implicit-def: $sgpr23
	v_cmpx_lt_i16_e64 0x7f, v135
	s_xor_b32 s24, exec_lo, s24
	s_cbranch_execnz .LBB4_4182
; %bb.3713:                             ;   in Loop: Header=BB4_2983 Depth=2
	s_or_saveexec_b32 s24, s24
	v_mov_b32_e32 v116, s23
	s_xor_b32 exec_lo, exec_lo, s24
	s_cbranch_execnz .LBB4_4185
.LBB4_3714:                             ;   in Loop: Header=BB4_2983 Depth=2
	s_or_b32 exec_lo, exec_lo, s24
	s_and_saveexec_b32 s23, s7
	s_cbranch_execz .LBB4_3716
.LBB4_3715:                             ;   in Loop: Header=BB4_2983 Depth=2
	v_and_b32_e32 v116, 0xffff, v135
	v_lshlrev_b32_e32 v135, 24, v135
	s_delay_alu instid0(VALU_DEP_2) | instskip(NEXT) | instid1(VALU_DEP_2)
	v_and_b32_e32 v147, 7, v116
	v_and_b32_e32 v135, 0x80000000, v135
	s_delay_alu instid0(VALU_DEP_2) | instskip(NEXT) | instid1(VALU_DEP_1)
	v_clz_i32_u32_e32 v149, v147
	v_min_u32_e32 v149, 32, v149
	s_delay_alu instid0(VALU_DEP_1) | instskip(SKIP_1) | instid1(VALU_DEP_2)
	v_subrev_nc_u32_e32 v150, 28, v149
	v_sub_nc_u32_e32 v149, 29, v149
	v_lshlrev_b32_e32 v150, v150, v116
	v_bfe_u32 v116, v116, 3, 4
	s_delay_alu instid0(VALU_DEP_2) | instskip(NEXT) | instid1(VALU_DEP_2)
	v_and_b32_e32 v150, 7, v150
	v_cmp_eq_u32_e32 vcc_lo, 0, v116
	s_delay_alu instid0(VALU_DEP_2) | instskip(NEXT) | instid1(VALU_DEP_1)
	v_dual_cndmask_b32 v116, v116, v149 :: v_dual_cndmask_b32 v147, v147, v150
	v_lshl_add_u32 v116, v116, 23, 0x3b800000
	s_delay_alu instid0(VALU_DEP_2) | instskip(NEXT) | instid1(VALU_DEP_1)
	v_lshlrev_b32_e32 v147, 20, v147
	v_or3_b32 v116, v135, v116, v147
.LBB4_3716:                             ;   in Loop: Header=BB4_2983 Depth=2
	s_or_b32 exec_lo, exec_lo, s23
	v_lshrrev_b16 v135, 8, v11
	s_mov_b32 s7, 0
	s_mov_b32 s24, exec_lo
                                        ; implicit-def: $sgpr23
	s_delay_alu instid0(VALU_DEP_1)
	v_cmpx_lt_i16_e64 0x7f, v135
	s_xor_b32 s24, exec_lo, s24
	s_cbranch_execnz .LBB4_4186
; %bb.3717:                             ;   in Loop: Header=BB4_2983 Depth=2
	s_or_saveexec_b32 s24, s24
	v_mov_b32_e32 v147, s23
	s_xor_b32 exec_lo, exec_lo, s24
	s_cbranch_execnz .LBB4_4189
.LBB4_3718:                             ;   in Loop: Header=BB4_2983 Depth=2
	s_or_b32 exec_lo, exec_lo, s24
	s_and_saveexec_b32 s23, s7
	s_cbranch_execz .LBB4_3720
.LBB4_3719:                             ;   in Loop: Header=BB4_2983 Depth=2
	v_and_b32_e32 v147, 0xffff, v135
	v_lshlrev_b32_e32 v135, 24, v135
	s_delay_alu instid0(VALU_DEP_2) | instskip(NEXT) | instid1(VALU_DEP_2)
	v_and_b32_e32 v149, 7, v147
	v_and_b32_e32 v135, 0x80000000, v135
	s_delay_alu instid0(VALU_DEP_2) | instskip(NEXT) | instid1(VALU_DEP_1)
	v_clz_i32_u32_e32 v150, v149
	v_min_u32_e32 v150, 32, v150
	s_delay_alu instid0(VALU_DEP_1) | instskip(SKIP_1) | instid1(VALU_DEP_2)
	v_subrev_nc_u32_e32 v151, 28, v150
	v_sub_nc_u32_e32 v150, 29, v150
	v_lshlrev_b32_e32 v151, v151, v147
	v_bfe_u32 v147, v147, 3, 4
	s_delay_alu instid0(VALU_DEP_2) | instskip(NEXT) | instid1(VALU_DEP_2)
	v_and_b32_e32 v151, 7, v151
	v_cmp_eq_u32_e32 vcc_lo, 0, v147
	v_cndmask_b32_e32 v147, v147, v150, vcc_lo
	s_delay_alu instid0(VALU_DEP_3) | instskip(NEXT) | instid1(VALU_DEP_2)
	v_cndmask_b32_e32 v149, v149, v151, vcc_lo
	v_lshl_add_u32 v147, v147, 23, 0x3b800000
	s_delay_alu instid0(VALU_DEP_2) | instskip(NEXT) | instid1(VALU_DEP_1)
	v_lshlrev_b32_e32 v149, 20, v149
	v_or3_b32 v147, v135, v147, v149
.LBB4_3720:                             ;   in Loop: Header=BB4_2983 Depth=2
	s_or_b32 exec_lo, exec_lo, s23
	s_delay_alu instid0(VALU_DEP_1) | instskip(NEXT) | instid1(VALU_DEP_1)
	v_add_f32_e32 v135, v116, v147
	v_and_b32_e32 v116, 0x7f800000, v135
	s_delay_alu instid0(VALU_DEP_1)
	v_cmp_ne_u32_e32 vcc_lo, 0x7f800000, v116
	v_mov_b32_e32 v116, 0x8000
	s_and_saveexec_b32 s23, vcc_lo
	s_cbranch_execz .LBB4_3728
; %bb.3721:                             ;   in Loop: Header=BB4_2983 Depth=2
	v_mov_b32_e32 v116, 0
	s_mov_b32 s24, exec_lo
	v_cmpx_ne_u32_e32 0, v135
	s_cbranch_execz .LBB4_3727
; %bb.3722:                             ;   in Loop: Header=BB4_2983 Depth=2
	v_bfe_u32 v116, v135, 23, 8
	v_and_b32_e32 v147, 0x7fffff, v135
	s_delay_alu instid0(VALU_DEP_2) | instskip(SKIP_1) | instid1(VALU_DEP_3)
	v_sub_nc_u32_e32 v149, 0x78, v116
	v_cmp_gt_u32_e32 vcc_lo, 0x79, v116
	v_or_b32_e32 v150, 0x800000, v147
	s_delay_alu instid0(VALU_DEP_3) | instskip(SKIP_2) | instid1(VALU_DEP_3)
	v_cndmask_b32_e32 v149, 0, v149, vcc_lo
	v_cmp_eq_u32_e32 vcc_lo, 0, v116
	v_add_nc_u32_e32 v116, 0xffffff89, v116
	v_cndmask_b32_e64 v149, v149, 0x77, vcc_lo
	v_cndmask_b32_e32 v147, v150, v147, vcc_lo
	s_delay_alu instid0(VALU_DEP_3) | instskip(NEXT) | instid1(VALU_DEP_3)
	v_cndmask_b32_e64 v116, v116, 0xffffff8a, vcc_lo
	v_lshl_add_u32 v150, 0x100000, v149, -1
	s_delay_alu instid0(VALU_DEP_3) | instskip(SKIP_1) | instid1(VALU_DEP_4)
	v_lshrrev_b32_e32 v151, v149, v147
	v_lshlrev_b32_e64 v161, v149, 0x80000
	v_add_nc_u32_e32 v149, v149, v116
	s_delay_alu instid0(VALU_DEP_4) | instskip(NEXT) | instid1(VALU_DEP_4)
	v_and_b32_e32 v147, v150, v147
	v_bfe_u32 v160, v151, 20, 1
	s_delay_alu instid0(VALU_DEP_2) | instskip(NEXT) | instid1(VALU_DEP_2)
	v_cmp_eq_u32_e64 s7, v147, v161
	v_add_nc_u32_e32 v150, -1, v160
	s_delay_alu instid0(VALU_DEP_1) | instskip(SKIP_2) | instid1(VALU_DEP_2)
	v_cndmask_b32_e64 v147, 0, v150, s7
	v_lshrrev_b32_e32 v150, 23, v151
	s_mov_b32 s7, exec_lo
	v_add_nc_u32_e32 v147, v147, v151
	s_delay_alu instid0(VALU_DEP_2) | instskip(NEXT) | instid1(VALU_DEP_2)
	v_xor_b32_e32 v150, 1, v150
	v_and_b32_e32 v116, 0xfffff, v147
	s_delay_alu instid0(VALU_DEP_1) | instskip(NEXT) | instid1(VALU_DEP_3)
	v_add_nc_u32_e32 v147, v116, v151
                                        ; implicit-def: $vgpr116
	v_cmpx_ne_u32_e64 v149, v150
	s_xor_b32 s7, exec_lo, s7
; %bb.3723:                             ;   in Loop: Header=BB4_2983 Depth=2
	s_delay_alu instid0(VALU_DEP_2) | instskip(SKIP_2) | instid1(VALU_DEP_2)
	v_cmp_lt_u32_e32 vcc_lo, 0xffffff, v147
	v_sub_nc_u32_e32 v116, v149, v150
	v_cndmask_b32_e64 v149, 0, 1, vcc_lo
	v_add_co_ci_u32_e32 v116, vcc_lo, 0, v116, vcc_lo
	s_delay_alu instid0(VALU_DEP_2)
	v_lshrrev_b32_e32 v147, v149, v147
; %bb.3724:                             ;   in Loop: Header=BB4_2983 Depth=2
	s_and_not1_saveexec_b32 s7, s7
; %bb.3725:                             ;   in Loop: Header=BB4_2983 Depth=2
	s_delay_alu instid0(VALU_DEP_1)
	v_bfe_u32 v116, v147, 23, 1
; %bb.3726:                             ;   in Loop: Header=BB4_2983 Depth=2
	s_or_b32 exec_lo, exec_lo, s7
	v_lshrrev_b32_e32 v147, 20, v147
	s_delay_alu instid0(VALU_DEP_2) | instskip(SKIP_2) | instid1(VALU_DEP_4)
	v_cmp_gt_i32_e32 vcc_lo, 16, v116
	v_min_i32_e32 v149, 15, v116
	v_lshrrev_b32_e32 v135, 24, v135
	v_cndmask_b32_e32 v147, 7, v147, vcc_lo
	s_delay_alu instid0(VALU_DEP_2) | instskip(NEXT) | instid1(VALU_DEP_2)
	v_and_b32_e32 v135, 0x80, v135
	v_or_b32_e32 v116, v116, v147
	v_and_b32_e32 v150, 7, v147
	s_delay_alu instid0(VALU_DEP_2) | instskip(SKIP_1) | instid1(VALU_DEP_1)
	v_cmp_ne_u32_e32 vcc_lo, 0, v116
	v_lshlrev_b32_e32 v149, 3, v149
	v_and_b32_e32 v149, 0xf8, v149
	s_delay_alu instid0(VALU_DEP_1) | instskip(NEXT) | instid1(VALU_DEP_1)
	v_or3_b32 v135, v135, v149, v150
	v_lshlrev_b32_e32 v135, 8, v135
	s_delay_alu instid0(VALU_DEP_1)
	v_cndmask_b32_e32 v116, 0, v135, vcc_lo
.LBB4_3727:                             ;   in Loop: Header=BB4_2983 Depth=2
	s_or_b32 exec_lo, exec_lo, s24
.LBB4_3728:                             ;   in Loop: Header=BB4_2983 Depth=2
	s_delay_alu instid0(SALU_CYCLE_1) | instskip(SKIP_3) | instid1(VALU_DEP_1)
	s_or_b32 exec_lo, exec_lo, s23
	v_or_b32_e32 v117, v117, v114
	s_mov_b32 s7, 0
	s_mov_b32 s24, exec_lo
                                        ; implicit-def: $sgpr23
	v_and_b32_e32 v135, 0xff, v117
	s_delay_alu instid0(VALU_DEP_1)
	v_cmpx_lt_i16_e64 0x7f, v135
	s_xor_b32 s24, exec_lo, s24
	s_cbranch_execnz .LBB4_4190
; %bb.3729:                             ;   in Loop: Header=BB4_2983 Depth=2
	s_or_saveexec_b32 s24, s24
	v_mov_b32_e32 v114, s23
	s_xor_b32 exec_lo, exec_lo, s24
	s_cbranch_execnz .LBB4_4193
.LBB4_3730:                             ;   in Loop: Header=BB4_2983 Depth=2
	s_or_b32 exec_lo, exec_lo, s24
	v_lshl_or_b32 v117, v117, 16, v129
	s_and_saveexec_b32 s23, s7
	s_cbranch_execz .LBB4_3732
.LBB4_3731:                             ;   in Loop: Header=BB4_2983 Depth=2
	s_delay_alu instid0(VALU_DEP_1) | instskip(SKIP_1) | instid1(VALU_DEP_2)
	v_bfe_u32 v114, v117, 16, 3
	v_lshrrev_b32_e32 v135, 16, v117
	v_clz_i32_u32_e32 v129, v114
	s_delay_alu instid0(VALU_DEP_1) | instskip(NEXT) | instid1(VALU_DEP_1)
	v_min_u32_e32 v129, 32, v129
	v_subrev_nc_u32_e32 v147, 28, v129
	v_sub_nc_u32_e32 v129, 29, v129
	s_delay_alu instid0(VALU_DEP_2) | instskip(SKIP_1) | instid1(VALU_DEP_2)
	v_lshlrev_b32_e32 v135, v147, v135
	v_bfe_u32 v147, v117, 19, 4
	v_and_b32_e32 v135, 7, v135
	s_delay_alu instid0(VALU_DEP_2) | instskip(NEXT) | instid1(VALU_DEP_2)
	v_cmp_eq_u32_e32 vcc_lo, 0, v147
	v_dual_cndmask_b32 v114, v114, v135 :: v_dual_lshlrev_b32 v149, 8, v117
	v_cndmask_b32_e32 v129, v147, v129, vcc_lo
	s_delay_alu instid0(VALU_DEP_2) | instskip(NEXT) | instid1(VALU_DEP_3)
	v_and_b32_e32 v135, 0x80000000, v149
	v_lshlrev_b32_e32 v114, 20, v114
	s_delay_alu instid0(VALU_DEP_3) | instskip(NEXT) | instid1(VALU_DEP_1)
	v_lshl_add_u32 v129, v129, 23, 0x3b800000
	v_or3_b32 v114, v135, v129, v114
.LBB4_3732:                             ;   in Loop: Header=BB4_2983 Depth=2
	s_or_b32 exec_lo, exec_lo, s23
	v_lshrrev_b32_e32 v129, 16, v11
	s_mov_b32 s7, 0
	s_mov_b32 s24, exec_lo
                                        ; implicit-def: $sgpr23
	s_delay_alu instid0(VALU_DEP_1) | instskip(NEXT) | instid1(VALU_DEP_1)
	v_and_b32_e32 v147, 0xff, v129
	v_cmpx_lt_i16_e64 0x7f, v147
	s_xor_b32 s24, exec_lo, s24
	s_cbranch_execnz .LBB4_4194
; %bb.3733:                             ;   in Loop: Header=BB4_2983 Depth=2
	s_or_saveexec_b32 s24, s24
	v_mov_b32_e32 v135, s23
	s_xor_b32 exec_lo, exec_lo, s24
	s_cbranch_execnz .LBB4_4197
.LBB4_3734:                             ;   in Loop: Header=BB4_2983 Depth=2
	s_or_b32 exec_lo, exec_lo, s24
	s_and_saveexec_b32 s23, s7
	s_cbranch_execz .LBB4_3736
.LBB4_3735:                             ;   in Loop: Header=BB4_2983 Depth=2
	v_bfe_u32 v135, v11, 16, 3
	s_delay_alu instid0(VALU_DEP_1) | instskip(NEXT) | instid1(VALU_DEP_1)
	v_clz_i32_u32_e32 v147, v135
	v_min_u32_e32 v147, 32, v147
	s_delay_alu instid0(VALU_DEP_1) | instskip(SKIP_1) | instid1(VALU_DEP_2)
	v_subrev_nc_u32_e32 v149, 28, v147
	v_sub_nc_u32_e32 v147, 29, v147
	v_lshlrev_b32_e32 v129, v149, v129
	v_bfe_u32 v149, v11, 19, 4
	s_delay_alu instid0(VALU_DEP_2) | instskip(NEXT) | instid1(VALU_DEP_2)
	v_and_b32_e32 v129, 7, v129
	v_cmp_eq_u32_e32 vcc_lo, 0, v149
	s_delay_alu instid0(VALU_DEP_2) | instskip(SKIP_1) | instid1(VALU_DEP_2)
	v_dual_cndmask_b32 v129, v135, v129 :: v_dual_lshlrev_b32 v150, 8, v11
	v_cndmask_b32_e32 v147, v149, v147, vcc_lo
	v_and_b32_e32 v135, 0x80000000, v150
	s_delay_alu instid0(VALU_DEP_3) | instskip(NEXT) | instid1(VALU_DEP_3)
	v_lshlrev_b32_e32 v129, 20, v129
	v_lshl_add_u32 v147, v147, 23, 0x3b800000
	s_delay_alu instid0(VALU_DEP_1)
	v_or3_b32 v135, v135, v147, v129
.LBB4_3736:                             ;   in Loop: Header=BB4_2983 Depth=2
	s_or_b32 exec_lo, exec_lo, s23
	s_delay_alu instid0(VALU_DEP_1) | instskip(NEXT) | instid1(VALU_DEP_1)
	v_add_f32_e32 v129, v114, v135
	v_and_b32_e32 v114, 0x7f800000, v129
	s_delay_alu instid0(VALU_DEP_1)
	v_cmp_ne_u32_e32 vcc_lo, 0x7f800000, v114
	v_mov_b32_e32 v114, 0x80
	s_and_saveexec_b32 s23, vcc_lo
	s_cbranch_execz .LBB4_3744
; %bb.3737:                             ;   in Loop: Header=BB4_2983 Depth=2
	v_mov_b32_e32 v114, 0
	s_mov_b32 s24, exec_lo
	v_cmpx_ne_u32_e32 0, v129
	s_cbranch_execz .LBB4_3743
; %bb.3738:                             ;   in Loop: Header=BB4_2983 Depth=2
	v_bfe_u32 v114, v129, 23, 8
	v_and_b32_e32 v135, 0x7fffff, v129
	s_delay_alu instid0(VALU_DEP_2) | instskip(SKIP_1) | instid1(VALU_DEP_3)
	v_sub_nc_u32_e32 v147, 0x78, v114
	v_cmp_gt_u32_e32 vcc_lo, 0x79, v114
	v_or_b32_e32 v149, 0x800000, v135
	s_delay_alu instid0(VALU_DEP_3) | instskip(SKIP_2) | instid1(VALU_DEP_3)
	v_cndmask_b32_e32 v147, 0, v147, vcc_lo
	v_cmp_eq_u32_e32 vcc_lo, 0, v114
	v_add_nc_u32_e32 v114, 0xffffff89, v114
	v_cndmask_b32_e64 v147, v147, 0x77, vcc_lo
	v_cndmask_b32_e32 v135, v149, v135, vcc_lo
	s_delay_alu instid0(VALU_DEP_3) | instskip(NEXT) | instid1(VALU_DEP_3)
	v_cndmask_b32_e64 v114, v114, 0xffffff8a, vcc_lo
	v_lshl_add_u32 v149, 0x100000, v147, -1
	s_delay_alu instid0(VALU_DEP_3) | instskip(SKIP_1) | instid1(VALU_DEP_4)
	v_lshrrev_b32_e32 v150, v147, v135
	v_lshlrev_b32_e64 v160, v147, 0x80000
	v_add_nc_u32_e32 v147, v147, v114
	s_delay_alu instid0(VALU_DEP_4) | instskip(NEXT) | instid1(VALU_DEP_4)
	v_and_b32_e32 v135, v149, v135
	v_bfe_u32 v151, v150, 20, 1
	s_delay_alu instid0(VALU_DEP_2) | instskip(NEXT) | instid1(VALU_DEP_2)
	v_cmp_eq_u32_e64 s7, v135, v160
	v_add_nc_u32_e32 v149, -1, v151
	s_delay_alu instid0(VALU_DEP_1) | instskip(SKIP_2) | instid1(VALU_DEP_2)
	v_cndmask_b32_e64 v135, 0, v149, s7
	v_lshrrev_b32_e32 v149, 23, v150
	s_mov_b32 s7, exec_lo
	v_add_nc_u32_e32 v135, v135, v150
	s_delay_alu instid0(VALU_DEP_2) | instskip(NEXT) | instid1(VALU_DEP_2)
	v_xor_b32_e32 v149, 1, v149
	v_and_b32_e32 v114, 0xfffff, v135
	s_delay_alu instid0(VALU_DEP_1) | instskip(NEXT) | instid1(VALU_DEP_3)
	v_add_nc_u32_e32 v135, v114, v150
                                        ; implicit-def: $vgpr114
	v_cmpx_ne_u32_e64 v147, v149
	s_xor_b32 s7, exec_lo, s7
; %bb.3739:                             ;   in Loop: Header=BB4_2983 Depth=2
	s_delay_alu instid0(VALU_DEP_2) | instskip(SKIP_2) | instid1(VALU_DEP_2)
	v_cmp_lt_u32_e32 vcc_lo, 0xffffff, v135
	v_sub_nc_u32_e32 v114, v147, v149
	v_cndmask_b32_e64 v147, 0, 1, vcc_lo
	v_add_co_ci_u32_e32 v114, vcc_lo, 0, v114, vcc_lo
	s_delay_alu instid0(VALU_DEP_2)
	v_lshrrev_b32_e32 v135, v147, v135
; %bb.3740:                             ;   in Loop: Header=BB4_2983 Depth=2
	s_and_not1_saveexec_b32 s7, s7
; %bb.3741:                             ;   in Loop: Header=BB4_2983 Depth=2
	s_delay_alu instid0(VALU_DEP_1)
	v_bfe_u32 v114, v135, 23, 1
; %bb.3742:                             ;   in Loop: Header=BB4_2983 Depth=2
	s_or_b32 exec_lo, exec_lo, s7
	v_lshrrev_b32_e32 v135, 20, v135
	s_delay_alu instid0(VALU_DEP_2) | instskip(SKIP_2) | instid1(VALU_DEP_3)
	v_min_i32_e32 v147, 15, v114
	v_cmp_gt_i32_e32 vcc_lo, 16, v114
	v_lshrrev_b32_e32 v129, 24, v129
	v_lshlrev_b32_e32 v147, 3, v147
	v_cndmask_b32_e32 v135, 7, v135, vcc_lo
	s_delay_alu instid0(VALU_DEP_3) | instskip(NEXT) | instid1(VALU_DEP_3)
	v_and_b32_e32 v129, 0x80, v129
	v_and_b32_e32 v147, 0xf8, v147
	s_delay_alu instid0(VALU_DEP_3) | instskip(SKIP_1) | instid1(VALU_DEP_2)
	v_and_b32_e32 v149, 7, v135
	v_or_b32_e32 v114, v114, v135
	v_or3_b32 v129, v147, v129, v149
	s_delay_alu instid0(VALU_DEP_2) | instskip(NEXT) | instid1(VALU_DEP_2)
	v_cmp_ne_u32_e32 vcc_lo, 0, v114
	v_cndmask_b32_e32 v114, 0, v129, vcc_lo
.LBB4_3743:                             ;   in Loop: Header=BB4_2983 Depth=2
	s_or_b32 exec_lo, exec_lo, s24
.LBB4_3744:                             ;   in Loop: Header=BB4_2983 Depth=2
	s_delay_alu instid0(SALU_CYCLE_1) | instskip(SKIP_3) | instid1(VALU_DEP_1)
	s_or_b32 exec_lo, exec_lo, s23
	v_lshrrev_b32_e32 v135, 24, v117
	s_mov_b32 s7, 0
	s_mov_b32 s24, exec_lo
                                        ; implicit-def: $sgpr23
	v_cmpx_lt_i16_e64 0x7f, v135
	s_xor_b32 s24, exec_lo, s24
	s_cbranch_execnz .LBB4_4198
; %bb.3745:                             ;   in Loop: Header=BB4_2983 Depth=2
	s_or_saveexec_b32 s24, s24
	v_mov_b32_e32 v129, s23
	s_xor_b32 exec_lo, exec_lo, s24
	s_cbranch_execnz .LBB4_4201
.LBB4_3746:                             ;   in Loop: Header=BB4_2983 Depth=2
	s_or_b32 exec_lo, exec_lo, s24
	s_and_saveexec_b32 s23, s7
	s_cbranch_execz .LBB4_3748
.LBB4_3747:                             ;   in Loop: Header=BB4_2983 Depth=2
	v_bfe_u32 v129, v117, 24, 3
	s_delay_alu instid0(VALU_DEP_1) | instskip(NEXT) | instid1(VALU_DEP_1)
	v_clz_i32_u32_e32 v147, v129
	v_min_u32_e32 v147, 32, v147
	s_delay_alu instid0(VALU_DEP_1) | instskip(SKIP_1) | instid1(VALU_DEP_2)
	v_subrev_nc_u32_e32 v149, 28, v147
	v_sub_nc_u32_e32 v147, 29, v147
	v_lshlrev_b32_e32 v135, v149, v135
	v_bfe_u32 v149, v117, 27, 4
	v_and_b32_e32 v117, 0x80000000, v117
	s_delay_alu instid0(VALU_DEP_3) | instskip(NEXT) | instid1(VALU_DEP_3)
	v_and_b32_e32 v135, 7, v135
	v_cmp_eq_u32_e32 vcc_lo, 0, v149
	v_cndmask_b32_e32 v147, v149, v147, vcc_lo
	s_delay_alu instid0(VALU_DEP_3) | instskip(NEXT) | instid1(VALU_DEP_2)
	v_cndmask_b32_e32 v129, v129, v135, vcc_lo
	v_lshl_add_u32 v135, v147, 23, 0x3b800000
	s_delay_alu instid0(VALU_DEP_2) | instskip(NEXT) | instid1(VALU_DEP_1)
	v_lshlrev_b32_e32 v129, 20, v129
	v_or3_b32 v129, v117, v135, v129
.LBB4_3748:                             ;   in Loop: Header=BB4_2983 Depth=2
	s_or_b32 exec_lo, exec_lo, s23
	v_lshrrev_b32_e32 v117, 24, v11
	s_mov_b32 s7, 0
	s_mov_b32 s24, exec_lo
                                        ; implicit-def: $sgpr23
	s_delay_alu instid0(VALU_DEP_1)
	v_cmpx_lt_i16_e32 0x7f, v117
	s_xor_b32 s24, exec_lo, s24
	s_cbranch_execnz .LBB4_4202
; %bb.3749:                             ;   in Loop: Header=BB4_2983 Depth=2
	s_or_saveexec_b32 s24, s24
	v_mov_b32_e32 v135, s23
	s_xor_b32 exec_lo, exec_lo, s24
	s_cbranch_execnz .LBB4_4205
.LBB4_3750:                             ;   in Loop: Header=BB4_2983 Depth=2
	s_or_b32 exec_lo, exec_lo, s24
	s_and_saveexec_b32 s23, s7
	s_cbranch_execz .LBB4_3752
.LBB4_3751:                             ;   in Loop: Header=BB4_2983 Depth=2
	v_bfe_u32 v135, v11, 24, 3
	s_delay_alu instid0(VALU_DEP_1) | instskip(NEXT) | instid1(VALU_DEP_1)
	v_clz_i32_u32_e32 v147, v135
	v_min_u32_e32 v147, 32, v147
	s_delay_alu instid0(VALU_DEP_1) | instskip(SKIP_1) | instid1(VALU_DEP_2)
	v_subrev_nc_u32_e32 v149, 28, v147
	v_sub_nc_u32_e32 v147, 29, v147
	v_lshlrev_b32_e32 v117, v149, v117
	v_bfe_u32 v149, v11, 27, 4
	v_and_b32_e32 v11, 0x80000000, v11
	s_delay_alu instid0(VALU_DEP_3) | instskip(NEXT) | instid1(VALU_DEP_3)
	v_and_b32_e32 v117, 7, v117
	v_cmp_eq_u32_e32 vcc_lo, 0, v149
	v_cndmask_b32_e32 v147, v149, v147, vcc_lo
	s_delay_alu instid0(VALU_DEP_3) | instskip(NEXT) | instid1(VALU_DEP_2)
	v_cndmask_b32_e32 v117, v135, v117, vcc_lo
	v_lshl_add_u32 v135, v147, 23, 0x3b800000
	s_delay_alu instid0(VALU_DEP_2) | instskip(NEXT) | instid1(VALU_DEP_1)
	v_lshlrev_b32_e32 v117, 20, v117
	v_or3_b32 v135, v11, v135, v117
.LBB4_3752:                             ;   in Loop: Header=BB4_2983 Depth=2
	s_or_b32 exec_lo, exec_lo, s23
	s_delay_alu instid0(VALU_DEP_1) | instskip(NEXT) | instid1(VALU_DEP_1)
	v_add_f32_e32 v117, v129, v135
	v_and_b32_e32 v11, 0x7f800000, v117
	s_delay_alu instid0(VALU_DEP_1)
	v_cmp_ne_u32_e32 vcc_lo, 0x7f800000, v11
	v_mov_b32_e32 v11, 0x8000
	s_and_saveexec_b32 s23, vcc_lo
	s_cbranch_execz .LBB4_3760
; %bb.3753:                             ;   in Loop: Header=BB4_2983 Depth=2
	v_mov_b32_e32 v11, 0
	s_mov_b32 s24, exec_lo
	v_cmpx_ne_u32_e32 0, v117
	s_cbranch_execz .LBB4_3759
; %bb.3754:                             ;   in Loop: Header=BB4_2983 Depth=2
	v_bfe_u32 v11, v117, 23, 8
	v_and_b32_e32 v129, 0x7fffff, v117
	s_delay_alu instid0(VALU_DEP_2) | instskip(SKIP_1) | instid1(VALU_DEP_3)
	v_sub_nc_u32_e32 v135, 0x78, v11
	v_cmp_gt_u32_e32 vcc_lo, 0x79, v11
	v_or_b32_e32 v147, 0x800000, v129
	s_delay_alu instid0(VALU_DEP_3) | instskip(SKIP_2) | instid1(VALU_DEP_3)
	v_cndmask_b32_e32 v135, 0, v135, vcc_lo
	v_cmp_eq_u32_e32 vcc_lo, 0, v11
	v_add_nc_u32_e32 v11, 0xffffff89, v11
	v_cndmask_b32_e64 v135, v135, 0x77, vcc_lo
	v_cndmask_b32_e32 v129, v147, v129, vcc_lo
	s_delay_alu instid0(VALU_DEP_3) | instskip(NEXT) | instid1(VALU_DEP_3)
	v_cndmask_b32_e64 v11, v11, 0xffffff8a, vcc_lo
	v_lshl_add_u32 v147, 0x100000, v135, -1
	s_delay_alu instid0(VALU_DEP_3) | instskip(SKIP_1) | instid1(VALU_DEP_4)
	v_lshrrev_b32_e32 v149, v135, v129
	v_lshlrev_b32_e64 v151, v135, 0x80000
	v_add_nc_u32_e32 v135, v135, v11
	s_delay_alu instid0(VALU_DEP_4) | instskip(NEXT) | instid1(VALU_DEP_4)
	v_and_b32_e32 v129, v147, v129
	v_bfe_u32 v150, v149, 20, 1
	s_delay_alu instid0(VALU_DEP_2) | instskip(NEXT) | instid1(VALU_DEP_2)
	v_cmp_eq_u32_e64 s7, v129, v151
	v_add_nc_u32_e32 v147, -1, v150
	s_delay_alu instid0(VALU_DEP_1) | instskip(SKIP_2) | instid1(VALU_DEP_2)
	v_cndmask_b32_e64 v129, 0, v147, s7
	v_lshrrev_b32_e32 v147, 23, v149
	s_mov_b32 s7, exec_lo
	v_add_nc_u32_e32 v129, v129, v149
	s_delay_alu instid0(VALU_DEP_2) | instskip(NEXT) | instid1(VALU_DEP_2)
	v_xor_b32_e32 v147, 1, v147
	v_and_b32_e32 v11, 0xfffff, v129
	s_delay_alu instid0(VALU_DEP_1) | instskip(NEXT) | instid1(VALU_DEP_3)
	v_add_nc_u32_e32 v129, v11, v149
                                        ; implicit-def: $vgpr11
	v_cmpx_ne_u32_e64 v135, v147
	s_xor_b32 s7, exec_lo, s7
; %bb.3755:                             ;   in Loop: Header=BB4_2983 Depth=2
	s_delay_alu instid0(VALU_DEP_2) | instskip(SKIP_2) | instid1(VALU_DEP_2)
	v_cmp_lt_u32_e32 vcc_lo, 0xffffff, v129
	v_sub_nc_u32_e32 v11, v135, v147
	v_cndmask_b32_e64 v135, 0, 1, vcc_lo
	v_add_co_ci_u32_e32 v11, vcc_lo, 0, v11, vcc_lo
	s_delay_alu instid0(VALU_DEP_2)
	v_lshrrev_b32_e32 v129, v135, v129
; %bb.3756:                             ;   in Loop: Header=BB4_2983 Depth=2
	s_and_not1_saveexec_b32 s7, s7
; %bb.3757:                             ;   in Loop: Header=BB4_2983 Depth=2
	s_delay_alu instid0(VALU_DEP_1)
	v_bfe_u32 v11, v129, 23, 1
; %bb.3758:                             ;   in Loop: Header=BB4_2983 Depth=2
	s_or_b32 exec_lo, exec_lo, s7
	v_lshrrev_b32_e32 v129, 20, v129
	s_delay_alu instid0(VALU_DEP_2) | instskip(SKIP_2) | instid1(VALU_DEP_3)
	v_min_i32_e32 v135, 15, v11
	v_cmp_gt_i32_e32 vcc_lo, 16, v11
	v_lshrrev_b32_e32 v117, 24, v117
	v_lshlrev_b32_e32 v135, 3, v135
	v_cndmask_b32_e32 v129, 7, v129, vcc_lo
	s_delay_alu instid0(VALU_DEP_3) | instskip(NEXT) | instid1(VALU_DEP_3)
	v_and_b32_e32 v117, 0x80, v117
	v_and_b32_e32 v135, 0xf8, v135
	s_delay_alu instid0(VALU_DEP_3) | instskip(SKIP_1) | instid1(VALU_DEP_2)
	v_and_b32_e32 v147, 7, v129
	v_or_b32_e32 v11, v11, v129
	v_or3_b32 v117, v117, v135, v147
	s_delay_alu instid0(VALU_DEP_2) | instskip(NEXT) | instid1(VALU_DEP_2)
	v_cmp_ne_u32_e32 vcc_lo, 0, v11
	v_lshlrev_b32_e32 v117, 8, v117
	s_delay_alu instid0(VALU_DEP_1)
	v_cndmask_b32_e32 v11, 0, v117, vcc_lo
.LBB4_3759:                             ;   in Loop: Header=BB4_2983 Depth=2
	s_or_b32 exec_lo, exec_lo, s24
.LBB4_3760:                             ;   in Loop: Header=BB4_2983 Depth=2
	s_delay_alu instid0(SALU_CYCLE_1) | instskip(SKIP_3) | instid1(VALU_DEP_1)
	s_or_b32 exec_lo, exec_lo, s23
	v_and_b32_e32 v129, 0xff, v112
	s_mov_b32 s7, 0
	s_mov_b32 s24, exec_lo
                                        ; implicit-def: $sgpr23
	v_cmpx_lt_i16_e64 0x7f, v129
	s_xor_b32 s24, exec_lo, s24
	s_cbranch_execnz .LBB4_4206
; %bb.3761:                             ;   in Loop: Header=BB4_2983 Depth=2
	s_or_saveexec_b32 s24, s24
	v_mov_b32_e32 v117, s23
	s_xor_b32 exec_lo, exec_lo, s24
	s_cbranch_execnz .LBB4_4209
.LBB4_3762:                             ;   in Loop: Header=BB4_2983 Depth=2
	s_or_b32 exec_lo, exec_lo, s24
	s_and_saveexec_b32 s23, s7
	s_cbranch_execz .LBB4_3764
.LBB4_3763:                             ;   in Loop: Header=BB4_2983 Depth=2
	v_and_b32_e32 v117, 7, v112
	v_bfe_u32 v147, v112, 3, 4
	s_delay_alu instid0(VALU_DEP_2) | instskip(NEXT) | instid1(VALU_DEP_2)
	v_clz_i32_u32_e32 v129, v117
	v_cmp_eq_u32_e32 vcc_lo, 0, v147
	s_delay_alu instid0(VALU_DEP_2) | instskip(NEXT) | instid1(VALU_DEP_1)
	v_min_u32_e32 v129, 32, v129
	v_subrev_nc_u32_e32 v135, 28, v129
	v_sub_nc_u32_e32 v129, 29, v129
	s_delay_alu instid0(VALU_DEP_2) | instskip(NEXT) | instid1(VALU_DEP_2)
	v_lshlrev_b32_e32 v135, v135, v112
	v_dual_cndmask_b32 v129, v147, v129 :: v_dual_lshlrev_b32 v112, 24, v112
	s_delay_alu instid0(VALU_DEP_2) | instskip(NEXT) | instid1(VALU_DEP_2)
	v_and_b32_e32 v135, 7, v135
	v_and_b32_e32 v112, 0x80000000, v112
	s_delay_alu instid0(VALU_DEP_3) | instskip(NEXT) | instid1(VALU_DEP_3)
	v_lshl_add_u32 v129, v129, 23, 0x3b800000
	v_cndmask_b32_e32 v117, v117, v135, vcc_lo
	s_delay_alu instid0(VALU_DEP_1) | instskip(NEXT) | instid1(VALU_DEP_1)
	v_lshlrev_b32_e32 v117, 20, v117
	v_or3_b32 v117, v112, v129, v117
.LBB4_3764:                             ;   in Loop: Header=BB4_2983 Depth=2
	s_or_b32 exec_lo, exec_lo, s23
	v_and_b32_e32 v129, 0xff, v12
	s_mov_b32 s7, 0
	s_mov_b32 s24, exec_lo
                                        ; implicit-def: $sgpr23
	s_delay_alu instid0(VALU_DEP_1)
	v_cmpx_lt_i16_e64 0x7f, v129
	s_xor_b32 s24, exec_lo, s24
	s_cbranch_execnz .LBB4_4210
; %bb.3765:                             ;   in Loop: Header=BB4_2983 Depth=2
	s_or_saveexec_b32 s24, s24
	v_mov_b32_e32 v112, s23
	s_xor_b32 exec_lo, exec_lo, s24
	s_cbranch_execnz .LBB4_4213
.LBB4_3766:                             ;   in Loop: Header=BB4_2983 Depth=2
	s_or_b32 exec_lo, exec_lo, s24
	s_and_saveexec_b32 s23, s7
	s_cbranch_execz .LBB4_3768
.LBB4_3767:                             ;   in Loop: Header=BB4_2983 Depth=2
	v_bfe_u32 v147, v12, 3, 4
	s_delay_alu instid0(VALU_DEP_1) | instskip(SKIP_1) | instid1(VALU_DEP_1)
	v_cmp_eq_u32_e32 vcc_lo, 0, v147
	v_and_b32_e32 v112, 7, v12
	v_clz_i32_u32_e32 v129, v112
	s_delay_alu instid0(VALU_DEP_1) | instskip(NEXT) | instid1(VALU_DEP_1)
	v_min_u32_e32 v129, 32, v129
	v_subrev_nc_u32_e32 v135, 28, v129
	v_sub_nc_u32_e32 v129, 29, v129
	s_delay_alu instid0(VALU_DEP_2) | instskip(NEXT) | instid1(VALU_DEP_2)
	v_lshlrev_b32_e32 v135, v135, v12
	v_cndmask_b32_e32 v129, v147, v129, vcc_lo
	s_delay_alu instid0(VALU_DEP_2) | instskip(SKIP_1) | instid1(VALU_DEP_3)
	v_and_b32_e32 v135, 7, v135
	v_lshlrev_b32_e32 v149, 24, v12
	v_lshl_add_u32 v129, v129, 23, 0x3b800000
	s_delay_alu instid0(VALU_DEP_2) | instskip(NEXT) | instid1(VALU_DEP_1)
	v_dual_cndmask_b32 v112, v112, v135 :: v_dual_and_b32 v135, 0x80000000, v149
	v_lshlrev_b32_e32 v112, 20, v112
	s_delay_alu instid0(VALU_DEP_1)
	v_or3_b32 v112, v135, v129, v112
.LBB4_3768:                             ;   in Loop: Header=BB4_2983 Depth=2
	s_or_b32 exec_lo, exec_lo, s23
	s_delay_alu instid0(VALU_DEP_1) | instskip(NEXT) | instid1(VALU_DEP_1)
	v_add_f32_e32 v117, v117, v112
	v_and_b32_e32 v112, 0x7f800000, v117
	s_delay_alu instid0(VALU_DEP_1)
	v_cmp_ne_u32_e32 vcc_lo, 0x7f800000, v112
	v_mov_b32_e32 v112, 0x80
	s_and_saveexec_b32 s23, vcc_lo
	s_cbranch_execz .LBB4_3776
; %bb.3769:                             ;   in Loop: Header=BB4_2983 Depth=2
	v_mov_b32_e32 v112, 0
	s_mov_b32 s24, exec_lo
	v_cmpx_ne_u32_e32 0, v117
	s_cbranch_execz .LBB4_3775
; %bb.3770:                             ;   in Loop: Header=BB4_2983 Depth=2
	v_bfe_u32 v112, v117, 23, 8
	v_and_b32_e32 v129, 0x7fffff, v117
	s_delay_alu instid0(VALU_DEP_2) | instskip(SKIP_1) | instid1(VALU_DEP_3)
	v_sub_nc_u32_e32 v135, 0x78, v112
	v_cmp_gt_u32_e32 vcc_lo, 0x79, v112
	v_or_b32_e32 v147, 0x800000, v129
	s_delay_alu instid0(VALU_DEP_3) | instskip(SKIP_2) | instid1(VALU_DEP_3)
	v_cndmask_b32_e32 v135, 0, v135, vcc_lo
	v_cmp_eq_u32_e32 vcc_lo, 0, v112
	v_add_nc_u32_e32 v112, 0xffffff89, v112
	v_cndmask_b32_e64 v135, v135, 0x77, vcc_lo
	v_cndmask_b32_e32 v129, v147, v129, vcc_lo
	s_delay_alu instid0(VALU_DEP_3) | instskip(NEXT) | instid1(VALU_DEP_3)
	v_cndmask_b32_e64 v112, v112, 0xffffff8a, vcc_lo
	v_lshl_add_u32 v147, 0x100000, v135, -1
	s_delay_alu instid0(VALU_DEP_3) | instskip(SKIP_1) | instid1(VALU_DEP_4)
	v_lshrrev_b32_e32 v149, v135, v129
	v_lshlrev_b32_e64 v151, v135, 0x80000
	v_add_nc_u32_e32 v135, v135, v112
	s_delay_alu instid0(VALU_DEP_4) | instskip(NEXT) | instid1(VALU_DEP_4)
	v_and_b32_e32 v129, v147, v129
	v_bfe_u32 v150, v149, 20, 1
	s_delay_alu instid0(VALU_DEP_2) | instskip(NEXT) | instid1(VALU_DEP_2)
	v_cmp_eq_u32_e64 s7, v129, v151
	v_add_nc_u32_e32 v147, -1, v150
	s_delay_alu instid0(VALU_DEP_1) | instskip(SKIP_2) | instid1(VALU_DEP_2)
	v_cndmask_b32_e64 v129, 0, v147, s7
	v_lshrrev_b32_e32 v147, 23, v149
	s_mov_b32 s7, exec_lo
	v_add_nc_u32_e32 v129, v129, v149
	s_delay_alu instid0(VALU_DEP_2) | instskip(NEXT) | instid1(VALU_DEP_2)
	v_xor_b32_e32 v147, 1, v147
	v_and_b32_e32 v112, 0xfffff, v129
	s_delay_alu instid0(VALU_DEP_1) | instskip(NEXT) | instid1(VALU_DEP_3)
	v_add_nc_u32_e32 v129, v112, v149
                                        ; implicit-def: $vgpr112
	v_cmpx_ne_u32_e64 v135, v147
	s_xor_b32 s7, exec_lo, s7
; %bb.3771:                             ;   in Loop: Header=BB4_2983 Depth=2
	s_delay_alu instid0(VALU_DEP_2) | instskip(SKIP_2) | instid1(VALU_DEP_2)
	v_cmp_lt_u32_e32 vcc_lo, 0xffffff, v129
	v_sub_nc_u32_e32 v112, v135, v147
	v_cndmask_b32_e64 v135, 0, 1, vcc_lo
	v_add_co_ci_u32_e32 v112, vcc_lo, 0, v112, vcc_lo
	s_delay_alu instid0(VALU_DEP_2)
	v_lshrrev_b32_e32 v129, v135, v129
; %bb.3772:                             ;   in Loop: Header=BB4_2983 Depth=2
	s_and_not1_saveexec_b32 s7, s7
; %bb.3773:                             ;   in Loop: Header=BB4_2983 Depth=2
	s_delay_alu instid0(VALU_DEP_1)
	v_bfe_u32 v112, v129, 23, 1
; %bb.3774:                             ;   in Loop: Header=BB4_2983 Depth=2
	s_or_b32 exec_lo, exec_lo, s7
	v_lshrrev_b32_e32 v129, 20, v129
	s_delay_alu instid0(VALU_DEP_2) | instskip(SKIP_2) | instid1(VALU_DEP_4)
	v_cmp_gt_i32_e32 vcc_lo, 16, v112
	v_lshrrev_b32_e32 v117, 24, v117
	v_min_i32_e32 v135, 15, v112
	v_cndmask_b32_e32 v129, 7, v129, vcc_lo
	s_delay_alu instid0(VALU_DEP_3) | instskip(NEXT) | instid1(VALU_DEP_2)
	v_and_b32_e32 v117, 0x80, v117
	v_or_b32_e32 v112, v112, v129
	v_and_b32_e32 v147, 7, v129
	s_delay_alu instid0(VALU_DEP_2) | instskip(SKIP_1) | instid1(VALU_DEP_1)
	v_cmp_ne_u32_e32 vcc_lo, 0, v112
	v_lshlrev_b32_e32 v135, 3, v135
	v_or3_b32 v117, v135, v117, v147
	s_delay_alu instid0(VALU_DEP_1)
	v_cndmask_b32_e32 v112, 0, v117, vcc_lo
.LBB4_3775:                             ;   in Loop: Header=BB4_2983 Depth=2
	s_or_b32 exec_lo, exec_lo, s24
.LBB4_3776:                             ;   in Loop: Header=BB4_2983 Depth=2
	s_delay_alu instid0(SALU_CYCLE_1) | instskip(SKIP_3) | instid1(VALU_DEP_1)
	s_or_b32 exec_lo, exec_lo, s23
	v_and_b32_e32 v129, 0xff, v102
	s_mov_b32 s7, 0
	s_mov_b32 s24, exec_lo
                                        ; implicit-def: $sgpr23
	v_cmpx_lt_i16_e64 0x7f, v129
	s_xor_b32 s24, exec_lo, s24
	s_cbranch_execnz .LBB4_4214
; %bb.3777:                             ;   in Loop: Header=BB4_2983 Depth=2
	s_or_saveexec_b32 s24, s24
	v_mov_b32_e32 v117, s23
	s_xor_b32 exec_lo, exec_lo, s24
	s_cbranch_execnz .LBB4_4217
.LBB4_3778:                             ;   in Loop: Header=BB4_2983 Depth=2
	s_or_b32 exec_lo, exec_lo, s24
	s_and_saveexec_b32 s23, s7
	s_cbranch_execz .LBB4_3780
.LBB4_3779:                             ;   in Loop: Header=BB4_2983 Depth=2
	v_and_b32_e32 v117, 7, v102
	v_bfe_u32 v147, v102, 3, 4
	s_delay_alu instid0(VALU_DEP_2) | instskip(NEXT) | instid1(VALU_DEP_2)
	v_clz_i32_u32_e32 v129, v117
	v_cmp_eq_u32_e32 vcc_lo, 0, v147
	s_delay_alu instid0(VALU_DEP_2) | instskip(NEXT) | instid1(VALU_DEP_1)
	v_min_u32_e32 v129, 32, v129
	v_subrev_nc_u32_e32 v135, 28, v129
	v_sub_nc_u32_e32 v129, 29, v129
	s_delay_alu instid0(VALU_DEP_2) | instskip(NEXT) | instid1(VALU_DEP_2)
	v_lshlrev_b32_e32 v135, v135, v102
	v_dual_cndmask_b32 v129, v147, v129 :: v_dual_lshlrev_b32 v102, 24, v102
	s_delay_alu instid0(VALU_DEP_2) | instskip(NEXT) | instid1(VALU_DEP_2)
	v_and_b32_e32 v135, 7, v135
	v_and_b32_e32 v102, 0x80000000, v102
	s_delay_alu instid0(VALU_DEP_3) | instskip(NEXT) | instid1(VALU_DEP_3)
	v_lshl_add_u32 v129, v129, 23, 0x3b800000
	v_cndmask_b32_e32 v117, v117, v135, vcc_lo
	s_delay_alu instid0(VALU_DEP_1) | instskip(NEXT) | instid1(VALU_DEP_1)
	v_lshlrev_b32_e32 v117, 20, v117
	v_or3_b32 v117, v102, v129, v117
.LBB4_3780:                             ;   in Loop: Header=BB4_2983 Depth=2
	s_or_b32 exec_lo, exec_lo, s23
	v_lshrrev_b16 v102, 8, v12
	s_mov_b32 s7, 0
	s_mov_b32 s24, exec_lo
                                        ; implicit-def: $sgpr23
	s_delay_alu instid0(VALU_DEP_1)
	v_cmpx_lt_i16_e32 0x7f, v102
	s_xor_b32 s24, exec_lo, s24
	s_cbranch_execnz .LBB4_4218
; %bb.3781:                             ;   in Loop: Header=BB4_2983 Depth=2
	s_or_saveexec_b32 s24, s24
	v_mov_b32_e32 v129, s23
	s_xor_b32 exec_lo, exec_lo, s24
	s_cbranch_execnz .LBB4_4221
.LBB4_3782:                             ;   in Loop: Header=BB4_2983 Depth=2
	s_or_b32 exec_lo, exec_lo, s24
	s_and_saveexec_b32 s23, s7
	s_cbranch_execz .LBB4_3784
.LBB4_3783:                             ;   in Loop: Header=BB4_2983 Depth=2
	v_and_b32_e32 v129, 0xffff, v102
	s_delay_alu instid0(VALU_DEP_1) | instskip(NEXT) | instid1(VALU_DEP_1)
	v_and_b32_e32 v135, 7, v129
	v_clz_i32_u32_e32 v147, v135
	s_delay_alu instid0(VALU_DEP_1) | instskip(NEXT) | instid1(VALU_DEP_1)
	v_min_u32_e32 v147, 32, v147
	v_subrev_nc_u32_e32 v149, 28, v147
	v_sub_nc_u32_e32 v147, 29, v147
	s_delay_alu instid0(VALU_DEP_2) | instskip(SKIP_1) | instid1(VALU_DEP_2)
	v_lshlrev_b32_e32 v149, v149, v129
	v_bfe_u32 v129, v129, 3, 4
	v_and_b32_e32 v149, 7, v149
	s_delay_alu instid0(VALU_DEP_2) | instskip(SKIP_1) | instid1(VALU_DEP_1)
	v_cmp_eq_u32_e32 vcc_lo, 0, v129
	v_dual_cndmask_b32 v129, v129, v147 :: v_dual_lshlrev_b32 v102, 24, v102
	v_dual_cndmask_b32 v135, v135, v149 :: v_dual_and_b32 v102, 0x80000000, v102
	s_delay_alu instid0(VALU_DEP_2) | instskip(NEXT) | instid1(VALU_DEP_2)
	v_lshl_add_u32 v129, v129, 23, 0x3b800000
	v_lshlrev_b32_e32 v135, 20, v135
	s_delay_alu instid0(VALU_DEP_1)
	v_or3_b32 v129, v102, v129, v135
.LBB4_3784:                             ;   in Loop: Header=BB4_2983 Depth=2
	s_or_b32 exec_lo, exec_lo, s23
	s_delay_alu instid0(VALU_DEP_1) | instskip(NEXT) | instid1(VALU_DEP_1)
	v_add_f32_e32 v117, v117, v129
	v_and_b32_e32 v102, 0x7f800000, v117
	s_delay_alu instid0(VALU_DEP_1)
	v_cmp_ne_u32_e32 vcc_lo, 0x7f800000, v102
	v_mov_b32_e32 v102, 0x80
	s_and_saveexec_b32 s23, vcc_lo
	s_cbranch_execz .LBB4_3792
; %bb.3785:                             ;   in Loop: Header=BB4_2983 Depth=2
	v_mov_b32_e32 v102, 0
	s_mov_b32 s24, exec_lo
	v_cmpx_ne_u32_e32 0, v117
	s_cbranch_execz .LBB4_3791
; %bb.3786:                             ;   in Loop: Header=BB4_2983 Depth=2
	v_bfe_u32 v102, v117, 23, 8
	v_and_b32_e32 v129, 0x7fffff, v117
	s_delay_alu instid0(VALU_DEP_2) | instskip(SKIP_1) | instid1(VALU_DEP_3)
	v_sub_nc_u32_e32 v135, 0x78, v102
	v_cmp_gt_u32_e32 vcc_lo, 0x79, v102
	v_or_b32_e32 v147, 0x800000, v129
	s_delay_alu instid0(VALU_DEP_3) | instskip(SKIP_2) | instid1(VALU_DEP_3)
	v_cndmask_b32_e32 v135, 0, v135, vcc_lo
	v_cmp_eq_u32_e32 vcc_lo, 0, v102
	v_add_nc_u32_e32 v102, 0xffffff89, v102
	v_cndmask_b32_e64 v135, v135, 0x77, vcc_lo
	v_cndmask_b32_e32 v129, v147, v129, vcc_lo
	s_delay_alu instid0(VALU_DEP_3) | instskip(NEXT) | instid1(VALU_DEP_3)
	v_cndmask_b32_e64 v102, v102, 0xffffff8a, vcc_lo
	v_lshl_add_u32 v147, 0x100000, v135, -1
	s_delay_alu instid0(VALU_DEP_3) | instskip(SKIP_1) | instid1(VALU_DEP_4)
	v_lshrrev_b32_e32 v149, v135, v129
	v_lshlrev_b32_e64 v151, v135, 0x80000
	v_add_nc_u32_e32 v135, v135, v102
	s_delay_alu instid0(VALU_DEP_4) | instskip(NEXT) | instid1(VALU_DEP_4)
	v_and_b32_e32 v129, v147, v129
	v_bfe_u32 v150, v149, 20, 1
	s_delay_alu instid0(VALU_DEP_2) | instskip(NEXT) | instid1(VALU_DEP_2)
	v_cmp_eq_u32_e64 s7, v129, v151
	v_add_nc_u32_e32 v147, -1, v150
	s_delay_alu instid0(VALU_DEP_1) | instskip(SKIP_2) | instid1(VALU_DEP_2)
	v_cndmask_b32_e64 v129, 0, v147, s7
	v_lshrrev_b32_e32 v147, 23, v149
	s_mov_b32 s7, exec_lo
	v_add_nc_u32_e32 v129, v129, v149
	s_delay_alu instid0(VALU_DEP_2) | instskip(NEXT) | instid1(VALU_DEP_2)
	v_xor_b32_e32 v147, 1, v147
	v_and_b32_e32 v102, 0xfffff, v129
	s_delay_alu instid0(VALU_DEP_1) | instskip(NEXT) | instid1(VALU_DEP_3)
	v_add_nc_u32_e32 v129, v102, v149
                                        ; implicit-def: $vgpr102
	v_cmpx_ne_u32_e64 v135, v147
	s_xor_b32 s7, exec_lo, s7
; %bb.3787:                             ;   in Loop: Header=BB4_2983 Depth=2
	s_delay_alu instid0(VALU_DEP_2) | instskip(SKIP_2) | instid1(VALU_DEP_2)
	v_cmp_lt_u32_e32 vcc_lo, 0xffffff, v129
	v_sub_nc_u32_e32 v102, v135, v147
	v_cndmask_b32_e64 v135, 0, 1, vcc_lo
	v_add_co_ci_u32_e32 v102, vcc_lo, 0, v102, vcc_lo
	s_delay_alu instid0(VALU_DEP_2)
	v_lshrrev_b32_e32 v129, v135, v129
; %bb.3788:                             ;   in Loop: Header=BB4_2983 Depth=2
	s_and_not1_saveexec_b32 s7, s7
; %bb.3789:                             ;   in Loop: Header=BB4_2983 Depth=2
	s_delay_alu instid0(VALU_DEP_1)
	v_bfe_u32 v102, v129, 23, 1
; %bb.3790:                             ;   in Loop: Header=BB4_2983 Depth=2
	s_or_b32 exec_lo, exec_lo, s7
	v_lshrrev_b32_e32 v129, 20, v129
	s_delay_alu instid0(VALU_DEP_2) | instskip(SKIP_2) | instid1(VALU_DEP_4)
	v_cmp_gt_i32_e32 vcc_lo, 16, v102
	v_lshrrev_b32_e32 v117, 24, v117
	v_min_i32_e32 v135, 15, v102
	v_cndmask_b32_e32 v129, 7, v129, vcc_lo
	s_delay_alu instid0(VALU_DEP_3) | instskip(NEXT) | instid1(VALU_DEP_2)
	v_and_b32_e32 v117, 0x80, v117
	v_or_b32_e32 v102, v102, v129
	v_and_b32_e32 v147, 7, v129
	s_delay_alu instid0(VALU_DEP_2) | instskip(SKIP_1) | instid1(VALU_DEP_1)
	v_cmp_ne_u32_e32 vcc_lo, 0, v102
	v_lshlrev_b32_e32 v135, 3, v135
	v_or3_b32 v117, v135, v117, v147
	s_delay_alu instid0(VALU_DEP_1)
	v_cndmask_b32_e32 v102, 0, v117, vcc_lo
.LBB4_3791:                             ;   in Loop: Header=BB4_2983 Depth=2
	s_or_b32 exec_lo, exec_lo, s24
.LBB4_3792:                             ;   in Loop: Header=BB4_2983 Depth=2
	s_delay_alu instid0(SALU_CYCLE_1) | instskip(SKIP_3) | instid1(VALU_DEP_1)
	s_or_b32 exec_lo, exec_lo, s23
	v_and_b32_e32 v129, 0xff, v101
	s_mov_b32 s7, 0
	s_mov_b32 s24, exec_lo
                                        ; implicit-def: $sgpr23
	v_cmpx_lt_i16_e64 0x7f, v129
	s_xor_b32 s24, exec_lo, s24
	s_cbranch_execnz .LBB4_4222
; %bb.3793:                             ;   in Loop: Header=BB4_2983 Depth=2
	s_or_saveexec_b32 s24, s24
	v_mov_b32_e32 v117, s23
	s_xor_b32 exec_lo, exec_lo, s24
	s_cbranch_execnz .LBB4_4225
.LBB4_3794:                             ;   in Loop: Header=BB4_2983 Depth=2
	s_or_b32 exec_lo, exec_lo, s24
	s_and_saveexec_b32 s23, s7
	s_cbranch_execz .LBB4_3796
.LBB4_3795:                             ;   in Loop: Header=BB4_2983 Depth=2
	v_and_b32_e32 v117, 7, v101
	v_bfe_u32 v147, v101, 3, 4
	s_delay_alu instid0(VALU_DEP_2) | instskip(NEXT) | instid1(VALU_DEP_2)
	v_clz_i32_u32_e32 v129, v117
	v_cmp_eq_u32_e32 vcc_lo, 0, v147
	s_delay_alu instid0(VALU_DEP_2) | instskip(NEXT) | instid1(VALU_DEP_1)
	v_min_u32_e32 v129, 32, v129
	v_subrev_nc_u32_e32 v135, 28, v129
	v_sub_nc_u32_e32 v129, 29, v129
	s_delay_alu instid0(VALU_DEP_2) | instskip(SKIP_1) | instid1(VALU_DEP_3)
	v_lshlrev_b32_e32 v135, v135, v101
	v_lshlrev_b32_e32 v101, 24, v101
	v_cndmask_b32_e32 v129, v147, v129, vcc_lo
	s_delay_alu instid0(VALU_DEP_3) | instskip(NEXT) | instid1(VALU_DEP_3)
	v_and_b32_e32 v135, 7, v135
	v_and_b32_e32 v101, 0x80000000, v101
	s_delay_alu instid0(VALU_DEP_3) | instskip(NEXT) | instid1(VALU_DEP_3)
	v_lshl_add_u32 v129, v129, 23, 0x3b800000
	v_cndmask_b32_e32 v117, v117, v135, vcc_lo
	s_delay_alu instid0(VALU_DEP_1) | instskip(NEXT) | instid1(VALU_DEP_1)
	v_lshlrev_b32_e32 v117, 20, v117
	v_or3_b32 v117, v101, v129, v117
.LBB4_3796:                             ;   in Loop: Header=BB4_2983 Depth=2
	s_or_b32 exec_lo, exec_lo, s23
	v_lshrrev_b32_e32 v101, 16, v12
	s_mov_b32 s7, 0
	s_mov_b32 s24, exec_lo
                                        ; implicit-def: $sgpr23
	s_delay_alu instid0(VALU_DEP_1) | instskip(NEXT) | instid1(VALU_DEP_1)
	v_and_b32_e32 v135, 0xff, v101
	v_cmpx_lt_i16_e64 0x7f, v135
	s_xor_b32 s24, exec_lo, s24
	s_cbranch_execnz .LBB4_4226
; %bb.3797:                             ;   in Loop: Header=BB4_2983 Depth=2
	s_or_saveexec_b32 s24, s24
	v_mov_b32_e32 v129, s23
	s_xor_b32 exec_lo, exec_lo, s24
	s_cbranch_execnz .LBB4_4229
.LBB4_3798:                             ;   in Loop: Header=BB4_2983 Depth=2
	s_or_b32 exec_lo, exec_lo, s24
	s_and_saveexec_b32 s23, s7
	s_cbranch_execz .LBB4_3800
.LBB4_3799:                             ;   in Loop: Header=BB4_2983 Depth=2
	v_bfe_u32 v129, v12, 16, 3
	v_lshlrev_b32_e32 v149, 8, v12
	s_delay_alu instid0(VALU_DEP_2) | instskip(NEXT) | instid1(VALU_DEP_1)
	v_clz_i32_u32_e32 v135, v129
	v_min_u32_e32 v135, 32, v135
	s_delay_alu instid0(VALU_DEP_1) | instskip(SKIP_1) | instid1(VALU_DEP_2)
	v_subrev_nc_u32_e32 v147, 28, v135
	v_sub_nc_u32_e32 v135, 29, v135
	v_lshlrev_b32_e32 v101, v147, v101
	v_bfe_u32 v147, v12, 19, 4
	s_delay_alu instid0(VALU_DEP_2) | instskip(NEXT) | instid1(VALU_DEP_2)
	v_and_b32_e32 v101, 7, v101
	v_cmp_eq_u32_e32 vcc_lo, 0, v147
	v_cndmask_b32_e32 v135, v147, v135, vcc_lo
	s_delay_alu instid0(VALU_DEP_3) | instskip(SKIP_1) | instid1(VALU_DEP_3)
	v_cndmask_b32_e32 v101, v129, v101, vcc_lo
	v_and_b32_e32 v129, 0x80000000, v149
	v_lshl_add_u32 v135, v135, 23, 0x3b800000
	s_delay_alu instid0(VALU_DEP_3) | instskip(NEXT) | instid1(VALU_DEP_1)
	v_lshlrev_b32_e32 v101, 20, v101
	v_or3_b32 v129, v129, v135, v101
.LBB4_3800:                             ;   in Loop: Header=BB4_2983 Depth=2
	s_or_b32 exec_lo, exec_lo, s23
	s_delay_alu instid0(VALU_DEP_1) | instskip(NEXT) | instid1(VALU_DEP_1)
	v_add_f32_e32 v117, v117, v129
	v_and_b32_e32 v101, 0x7f800000, v117
	s_delay_alu instid0(VALU_DEP_1)
	v_cmp_ne_u32_e32 vcc_lo, 0x7f800000, v101
	v_mov_b32_e32 v101, 0x80
	s_and_saveexec_b32 s23, vcc_lo
	s_cbranch_execz .LBB4_3808
; %bb.3801:                             ;   in Loop: Header=BB4_2983 Depth=2
	v_mov_b32_e32 v101, 0
	s_mov_b32 s24, exec_lo
	v_cmpx_ne_u32_e32 0, v117
	s_cbranch_execz .LBB4_3807
; %bb.3802:                             ;   in Loop: Header=BB4_2983 Depth=2
	v_bfe_u32 v101, v117, 23, 8
	v_and_b32_e32 v129, 0x7fffff, v117
	s_delay_alu instid0(VALU_DEP_2) | instskip(SKIP_1) | instid1(VALU_DEP_3)
	v_sub_nc_u32_e32 v135, 0x78, v101
	v_cmp_gt_u32_e32 vcc_lo, 0x79, v101
	v_or_b32_e32 v147, 0x800000, v129
	s_delay_alu instid0(VALU_DEP_3) | instskip(SKIP_2) | instid1(VALU_DEP_3)
	v_cndmask_b32_e32 v135, 0, v135, vcc_lo
	v_cmp_eq_u32_e32 vcc_lo, 0, v101
	v_add_nc_u32_e32 v101, 0xffffff89, v101
	v_cndmask_b32_e64 v135, v135, 0x77, vcc_lo
	v_cndmask_b32_e32 v129, v147, v129, vcc_lo
	s_delay_alu instid0(VALU_DEP_3) | instskip(NEXT) | instid1(VALU_DEP_3)
	v_cndmask_b32_e64 v101, v101, 0xffffff8a, vcc_lo
	v_lshl_add_u32 v147, 0x100000, v135, -1
	s_delay_alu instid0(VALU_DEP_3) | instskip(SKIP_1) | instid1(VALU_DEP_4)
	v_lshrrev_b32_e32 v149, v135, v129
	v_lshlrev_b32_e64 v151, v135, 0x80000
	v_add_nc_u32_e32 v135, v135, v101
	s_delay_alu instid0(VALU_DEP_4) | instskip(NEXT) | instid1(VALU_DEP_4)
	v_and_b32_e32 v129, v147, v129
	v_bfe_u32 v150, v149, 20, 1
	s_delay_alu instid0(VALU_DEP_2) | instskip(NEXT) | instid1(VALU_DEP_2)
	v_cmp_eq_u32_e64 s7, v129, v151
	v_add_nc_u32_e32 v147, -1, v150
	s_delay_alu instid0(VALU_DEP_1) | instskip(SKIP_2) | instid1(VALU_DEP_2)
	v_cndmask_b32_e64 v129, 0, v147, s7
	v_lshrrev_b32_e32 v147, 23, v149
	s_mov_b32 s7, exec_lo
	v_add_nc_u32_e32 v129, v129, v149
	s_delay_alu instid0(VALU_DEP_2) | instskip(NEXT) | instid1(VALU_DEP_2)
	v_xor_b32_e32 v147, 1, v147
	v_and_b32_e32 v101, 0xfffff, v129
	s_delay_alu instid0(VALU_DEP_1) | instskip(NEXT) | instid1(VALU_DEP_3)
	v_add_nc_u32_e32 v129, v101, v149
                                        ; implicit-def: $vgpr101
	v_cmpx_ne_u32_e64 v135, v147
	s_xor_b32 s7, exec_lo, s7
; %bb.3803:                             ;   in Loop: Header=BB4_2983 Depth=2
	s_delay_alu instid0(VALU_DEP_2) | instskip(SKIP_2) | instid1(VALU_DEP_2)
	v_cmp_lt_u32_e32 vcc_lo, 0xffffff, v129
	v_sub_nc_u32_e32 v101, v135, v147
	v_cndmask_b32_e64 v135, 0, 1, vcc_lo
	v_add_co_ci_u32_e32 v101, vcc_lo, 0, v101, vcc_lo
	s_delay_alu instid0(VALU_DEP_2)
	v_lshrrev_b32_e32 v129, v135, v129
; %bb.3804:                             ;   in Loop: Header=BB4_2983 Depth=2
	s_and_not1_saveexec_b32 s7, s7
; %bb.3805:                             ;   in Loop: Header=BB4_2983 Depth=2
	s_delay_alu instid0(VALU_DEP_1)
	v_bfe_u32 v101, v129, 23, 1
; %bb.3806:                             ;   in Loop: Header=BB4_2983 Depth=2
	s_or_b32 exec_lo, exec_lo, s7
	v_lshrrev_b32_e32 v129, 20, v129
	s_delay_alu instid0(VALU_DEP_2) | instskip(SKIP_2) | instid1(VALU_DEP_4)
	v_cmp_gt_i32_e32 vcc_lo, 16, v101
	v_lshrrev_b32_e32 v117, 24, v117
	v_min_i32_e32 v135, 15, v101
	v_cndmask_b32_e32 v129, 7, v129, vcc_lo
	s_delay_alu instid0(VALU_DEP_3) | instskip(NEXT) | instid1(VALU_DEP_3)
	v_and_b32_e32 v117, 0x80, v117
	v_lshlrev_b32_e32 v135, 3, v135
	s_delay_alu instid0(VALU_DEP_3) | instskip(SKIP_1) | instid1(VALU_DEP_2)
	v_and_b32_e32 v147, 7, v129
	v_or_b32_e32 v101, v101, v129
	v_or3_b32 v117, v135, v117, v147
	s_delay_alu instid0(VALU_DEP_2) | instskip(NEXT) | instid1(VALU_DEP_2)
	v_cmp_ne_u32_e32 vcc_lo, 0, v101
	v_cndmask_b32_e32 v101, 0, v117, vcc_lo
.LBB4_3807:                             ;   in Loop: Header=BB4_2983 Depth=2
	s_or_b32 exec_lo, exec_lo, s24
.LBB4_3808:                             ;   in Loop: Header=BB4_2983 Depth=2
	s_delay_alu instid0(SALU_CYCLE_1) | instskip(SKIP_3) | instid1(VALU_DEP_1)
	s_or_b32 exec_lo, exec_lo, s23
	v_and_b32_e32 v129, 0xff, v98
	s_mov_b32 s7, 0
	s_mov_b32 s24, exec_lo
                                        ; implicit-def: $sgpr23
	v_cmpx_lt_i16_e64 0x7f, v129
	s_xor_b32 s24, exec_lo, s24
	s_cbranch_execnz .LBB4_4230
; %bb.3809:                             ;   in Loop: Header=BB4_2983 Depth=2
	s_or_saveexec_b32 s24, s24
	v_mov_b32_e32 v117, s23
	s_xor_b32 exec_lo, exec_lo, s24
	s_cbranch_execnz .LBB4_4233
.LBB4_3810:                             ;   in Loop: Header=BB4_2983 Depth=2
	s_or_b32 exec_lo, exec_lo, s24
	s_and_saveexec_b32 s23, s7
	s_cbranch_execz .LBB4_3812
.LBB4_3811:                             ;   in Loop: Header=BB4_2983 Depth=2
	v_lshlrev_b32_e32 v98, 8, v98
	s_delay_alu instid0(VALU_DEP_1) | instskip(SKIP_1) | instid1(VALU_DEP_2)
	v_and_b32_e32 v117, 0xff00, v98
	v_bfe_u32 v98, v98, 11, 4
	v_bfe_u32 v135, v117, 8, 3
	s_delay_alu instid0(VALU_DEP_2) | instskip(NEXT) | instid1(VALU_DEP_2)
	v_cmp_eq_u32_e32 vcc_lo, 0, v98
	v_clz_i32_u32_e32 v147, v135
	s_delay_alu instid0(VALU_DEP_1) | instskip(NEXT) | instid1(VALU_DEP_1)
	v_min_u32_e32 v147, 32, v147
	v_subrev_nc_u32_e32 v149, 28, v147
	v_sub_nc_u32_e32 v147, 29, v147
	s_delay_alu instid0(VALU_DEP_1) | instskip(SKIP_1) | instid1(VALU_DEP_2)
	v_dual_cndmask_b32 v98, v98, v147 :: v_dual_lshlrev_b32 v129, v149, v129
	v_lshlrev_b32_e32 v117, 16, v117
	v_and_b32_e32 v129, 7, v129
	s_delay_alu instid0(VALU_DEP_3) | instskip(NEXT) | instid1(VALU_DEP_3)
	v_lshl_add_u32 v98, v98, 23, 0x3b800000
	v_and_b32_e32 v117, 0x80000000, v117
	s_delay_alu instid0(VALU_DEP_3) | instskip(NEXT) | instid1(VALU_DEP_1)
	v_cndmask_b32_e32 v129, v135, v129, vcc_lo
	v_lshlrev_b32_e32 v129, 20, v129
	s_delay_alu instid0(VALU_DEP_1)
	v_or3_b32 v117, v117, v98, v129
.LBB4_3812:                             ;   in Loop: Header=BB4_2983 Depth=2
	s_or_b32 exec_lo, exec_lo, s23
	v_lshrrev_b32_e32 v98, 24, v12
	s_mov_b32 s7, 0
	s_mov_b32 s24, exec_lo
                                        ; implicit-def: $sgpr23
	s_delay_alu instid0(VALU_DEP_1)
	v_cmpx_lt_i16_e32 0x7f, v98
	s_xor_b32 s24, exec_lo, s24
	s_cbranch_execnz .LBB4_4234
; %bb.3813:                             ;   in Loop: Header=BB4_2983 Depth=2
	s_or_saveexec_b32 s24, s24
	v_mov_b32_e32 v129, s23
	s_xor_b32 exec_lo, exec_lo, s24
	s_cbranch_execnz .LBB4_4237
.LBB4_3814:                             ;   in Loop: Header=BB4_2983 Depth=2
	s_or_b32 exec_lo, exec_lo, s24
	s_and_saveexec_b32 s23, s7
	s_cbranch_execz .LBB4_3816
.LBB4_3815:                             ;   in Loop: Header=BB4_2983 Depth=2
	v_bfe_u32 v129, v12, 24, 3
	s_delay_alu instid0(VALU_DEP_1) | instskip(NEXT) | instid1(VALU_DEP_1)
	v_clz_i32_u32_e32 v135, v129
	v_min_u32_e32 v135, 32, v135
	s_delay_alu instid0(VALU_DEP_1) | instskip(SKIP_1) | instid1(VALU_DEP_2)
	v_subrev_nc_u32_e32 v147, 28, v135
	v_sub_nc_u32_e32 v135, 29, v135
	v_lshlrev_b32_e32 v98, v147, v98
	v_bfe_u32 v147, v12, 27, 4
	v_and_b32_e32 v12, 0x80000000, v12
	s_delay_alu instid0(VALU_DEP_2) | instskip(NEXT) | instid1(VALU_DEP_4)
	v_cmp_eq_u32_e32 vcc_lo, 0, v147
	v_dual_cndmask_b32 v135, v147, v135 :: v_dual_and_b32 v98, 7, v98
	s_delay_alu instid0(VALU_DEP_1) | instskip(NEXT) | instid1(VALU_DEP_2)
	v_cndmask_b32_e32 v98, v129, v98, vcc_lo
	v_lshl_add_u32 v129, v135, 23, 0x3b800000
	s_delay_alu instid0(VALU_DEP_2) | instskip(NEXT) | instid1(VALU_DEP_1)
	v_lshlrev_b32_e32 v98, 20, v98
	v_or3_b32 v129, v12, v129, v98
.LBB4_3816:                             ;   in Loop: Header=BB4_2983 Depth=2
	s_or_b32 exec_lo, exec_lo, s23
	s_delay_alu instid0(VALU_DEP_1) | instskip(NEXT) | instid1(VALU_DEP_1)
	v_add_f32_e32 v98, v117, v129
	v_and_b32_e32 v12, 0x7f800000, v98
	s_delay_alu instid0(VALU_DEP_1)
	v_cmp_ne_u32_e32 vcc_lo, 0x7f800000, v12
	v_mov_b32_e32 v12, 0x80
	s_and_saveexec_b32 s23, vcc_lo
	s_cbranch_execz .LBB4_3824
; %bb.3817:                             ;   in Loop: Header=BB4_2983 Depth=2
	v_mov_b32_e32 v12, 0
	s_mov_b32 s24, exec_lo
	v_cmpx_ne_u32_e32 0, v98
	s_cbranch_execz .LBB4_3823
; %bb.3818:                             ;   in Loop: Header=BB4_2983 Depth=2
	v_bfe_u32 v12, v98, 23, 8
	v_and_b32_e32 v117, 0x7fffff, v98
	s_delay_alu instid0(VALU_DEP_2) | instskip(SKIP_1) | instid1(VALU_DEP_3)
	v_sub_nc_u32_e32 v129, 0x78, v12
	v_cmp_gt_u32_e32 vcc_lo, 0x79, v12
	v_or_b32_e32 v135, 0x800000, v117
	s_delay_alu instid0(VALU_DEP_3) | instskip(SKIP_2) | instid1(VALU_DEP_3)
	v_cndmask_b32_e32 v129, 0, v129, vcc_lo
	v_cmp_eq_u32_e32 vcc_lo, 0, v12
	v_add_nc_u32_e32 v12, 0xffffff89, v12
	v_cndmask_b32_e64 v129, v129, 0x77, vcc_lo
	v_cndmask_b32_e32 v117, v135, v117, vcc_lo
	s_delay_alu instid0(VALU_DEP_3) | instskip(NEXT) | instid1(VALU_DEP_3)
	v_cndmask_b32_e64 v12, v12, 0xffffff8a, vcc_lo
	v_lshl_add_u32 v135, 0x100000, v129, -1
	s_delay_alu instid0(VALU_DEP_3) | instskip(SKIP_1) | instid1(VALU_DEP_4)
	v_lshrrev_b32_e32 v147, v129, v117
	v_lshlrev_b32_e64 v150, v129, 0x80000
	v_add_nc_u32_e32 v129, v129, v12
	s_delay_alu instid0(VALU_DEP_4) | instskip(NEXT) | instid1(VALU_DEP_4)
	v_and_b32_e32 v117, v135, v117
	v_bfe_u32 v149, v147, 20, 1
	s_delay_alu instid0(VALU_DEP_2) | instskip(NEXT) | instid1(VALU_DEP_2)
	v_cmp_eq_u32_e64 s7, v117, v150
	v_add_nc_u32_e32 v135, -1, v149
	s_delay_alu instid0(VALU_DEP_1) | instskip(SKIP_2) | instid1(VALU_DEP_2)
	v_cndmask_b32_e64 v117, 0, v135, s7
	v_lshrrev_b32_e32 v135, 23, v147
	s_mov_b32 s7, exec_lo
	v_add_nc_u32_e32 v117, v117, v147
	s_delay_alu instid0(VALU_DEP_2) | instskip(NEXT) | instid1(VALU_DEP_2)
	v_xor_b32_e32 v135, 1, v135
	v_and_b32_e32 v12, 0xfffff, v117
	s_delay_alu instid0(VALU_DEP_1) | instskip(NEXT) | instid1(VALU_DEP_3)
	v_add_nc_u32_e32 v117, v12, v147
                                        ; implicit-def: $vgpr12
	v_cmpx_ne_u32_e64 v129, v135
	s_xor_b32 s7, exec_lo, s7
; %bb.3819:                             ;   in Loop: Header=BB4_2983 Depth=2
	s_delay_alu instid0(VALU_DEP_2) | instskip(SKIP_2) | instid1(VALU_DEP_2)
	v_cmp_lt_u32_e32 vcc_lo, 0xffffff, v117
	v_sub_nc_u32_e32 v12, v129, v135
	v_cndmask_b32_e64 v129, 0, 1, vcc_lo
	v_add_co_ci_u32_e32 v12, vcc_lo, 0, v12, vcc_lo
	s_delay_alu instid0(VALU_DEP_2)
	v_lshrrev_b32_e32 v117, v129, v117
; %bb.3820:                             ;   in Loop: Header=BB4_2983 Depth=2
	s_and_not1_saveexec_b32 s7, s7
; %bb.3821:                             ;   in Loop: Header=BB4_2983 Depth=2
	s_delay_alu instid0(VALU_DEP_1)
	v_bfe_u32 v12, v117, 23, 1
; %bb.3822:                             ;   in Loop: Header=BB4_2983 Depth=2
	s_or_b32 exec_lo, exec_lo, s7
	v_lshrrev_b32_e32 v117, 20, v117
	s_delay_alu instid0(VALU_DEP_2) | instskip(SKIP_2) | instid1(VALU_DEP_2)
	v_cmp_gt_i32_e32 vcc_lo, 16, v12
	v_lshrrev_b32_e32 v98, 24, v98
	v_min_i32_e32 v129, 15, v12
	v_dual_cndmask_b32 v117, 7, v117 :: v_dual_and_b32 v98, 0x80, v98
	s_delay_alu instid0(VALU_DEP_2) | instskip(NEXT) | instid1(VALU_DEP_2)
	v_lshlrev_b32_e32 v129, 3, v129
	v_or_b32_e32 v12, v12, v117
	s_delay_alu instid0(VALU_DEP_1) | instskip(SKIP_1) | instid1(VALU_DEP_1)
	v_cmp_ne_u32_e32 vcc_lo, 0, v12
	v_and_b32_e32 v135, 7, v117
	v_or3_b32 v98, v129, v98, v135
	s_delay_alu instid0(VALU_DEP_1)
	v_cndmask_b32_e32 v12, 0, v98, vcc_lo
.LBB4_3823:                             ;   in Loop: Header=BB4_2983 Depth=2
	s_or_b32 exec_lo, exec_lo, s24
.LBB4_3824:                             ;   in Loop: Header=BB4_2983 Depth=2
	s_delay_alu instid0(SALU_CYCLE_1) | instskip(SKIP_3) | instid1(VALU_DEP_1)
	s_or_b32 exec_lo, exec_lo, s23
	v_or_b32_e32 v103, v103, v97
	s_mov_b32 s7, 0
	s_mov_b32 s24, exec_lo
                                        ; implicit-def: $sgpr23
	v_and_b32_e32 v98, 0xff, v103
	s_delay_alu instid0(VALU_DEP_1)
	v_cmpx_lt_i16_e32 0x7f, v98
	s_xor_b32 s24, exec_lo, s24
	s_cbranch_execnz .LBB4_4238
; %bb.3825:                             ;   in Loop: Header=BB4_2983 Depth=2
	s_or_saveexec_b32 s24, s24
	v_mov_b32_e32 v97, s23
	s_xor_b32 exec_lo, exec_lo, s24
	s_cbranch_execnz .LBB4_4241
.LBB4_3826:                             ;   in Loop: Header=BB4_2983 Depth=2
	s_or_b32 exec_lo, exec_lo, s24
	s_and_saveexec_b32 s23, s7
	s_cbranch_execz .LBB4_3828
.LBB4_3827:                             ;   in Loop: Header=BB4_2983 Depth=2
	v_bfe_u32 v129, v103, 3, 4
	v_lshlrev_b32_e32 v135, 24, v103
	s_delay_alu instid0(VALU_DEP_2) | instskip(SKIP_1) | instid1(VALU_DEP_1)
	v_cmp_eq_u32_e32 vcc_lo, 0, v129
	v_and_b32_e32 v97, 7, v103
	v_clz_i32_u32_e32 v98, v97
	s_delay_alu instid0(VALU_DEP_1) | instskip(NEXT) | instid1(VALU_DEP_1)
	v_min_u32_e32 v98, 32, v98
	v_subrev_nc_u32_e32 v117, 28, v98
	v_sub_nc_u32_e32 v98, 29, v98
	s_delay_alu instid0(VALU_DEP_2) | instskip(NEXT) | instid1(VALU_DEP_1)
	v_lshlrev_b32_e32 v117, v117, v103
	v_dual_cndmask_b32 v98, v129, v98 :: v_dual_and_b32 v117, 7, v117
	s_delay_alu instid0(VALU_DEP_1) | instskip(NEXT) | instid1(VALU_DEP_2)
	v_lshl_add_u32 v98, v98, 23, 0x3b800000
	v_cndmask_b32_e32 v97, v97, v117, vcc_lo
	v_and_b32_e32 v117, 0x80000000, v135
	s_delay_alu instid0(VALU_DEP_2) | instskip(NEXT) | instid1(VALU_DEP_1)
	v_lshlrev_b32_e32 v97, 20, v97
	v_or3_b32 v97, v117, v98, v97
.LBB4_3828:                             ;   in Loop: Header=BB4_2983 Depth=2
	s_or_b32 exec_lo, exec_lo, s23
	v_and_b32_e32 v117, 0xff, v13
	s_mov_b32 s7, 0
	s_mov_b32 s24, exec_lo
                                        ; implicit-def: $sgpr23
	s_delay_alu instid0(VALU_DEP_1)
	v_cmpx_lt_i16_e32 0x7f, v117
	s_xor_b32 s24, exec_lo, s24
	s_cbranch_execnz .LBB4_4242
; %bb.3829:                             ;   in Loop: Header=BB4_2983 Depth=2
	s_or_saveexec_b32 s24, s24
	v_mov_b32_e32 v98, s23
	s_xor_b32 exec_lo, exec_lo, s24
	s_cbranch_execnz .LBB4_4245
.LBB4_3830:                             ;   in Loop: Header=BB4_2983 Depth=2
	s_or_b32 exec_lo, exec_lo, s24
	s_and_saveexec_b32 s23, s7
	s_cbranch_execz .LBB4_3832
.LBB4_3831:                             ;   in Loop: Header=BB4_2983 Depth=2
	v_and_b32_e32 v98, 7, v13
	v_bfe_u32 v135, v13, 3, 4
	v_lshlrev_b32_e32 v147, 24, v13
	s_delay_alu instid0(VALU_DEP_3) | instskip(NEXT) | instid1(VALU_DEP_3)
	v_clz_i32_u32_e32 v117, v98
	v_cmp_eq_u32_e32 vcc_lo, 0, v135
	s_delay_alu instid0(VALU_DEP_2) | instskip(NEXT) | instid1(VALU_DEP_1)
	v_min_u32_e32 v117, 32, v117
	v_subrev_nc_u32_e32 v129, 28, v117
	v_sub_nc_u32_e32 v117, 29, v117
	s_delay_alu instid0(VALU_DEP_2) | instskip(NEXT) | instid1(VALU_DEP_1)
	v_lshlrev_b32_e32 v129, v129, v13
	v_and_b32_e32 v129, 7, v129
	s_delay_alu instid0(VALU_DEP_1) | instskip(NEXT) | instid1(VALU_DEP_1)
	v_dual_cndmask_b32 v98, v98, v129 :: v_dual_and_b32 v129, 0x80000000, v147
	v_dual_cndmask_b32 v117, v135, v117 :: v_dual_lshlrev_b32 v98, 20, v98
	s_delay_alu instid0(VALU_DEP_1) | instskip(NEXT) | instid1(VALU_DEP_1)
	v_lshl_add_u32 v117, v117, 23, 0x3b800000
	v_or3_b32 v98, v129, v117, v98
.LBB4_3832:                             ;   in Loop: Header=BB4_2983 Depth=2
	s_or_b32 exec_lo, exec_lo, s23
	s_delay_alu instid0(VALU_DEP_1) | instskip(NEXT) | instid1(VALU_DEP_1)
	v_add_f32_e32 v98, v97, v98
	v_and_b32_e32 v97, 0x7f800000, v98
	s_delay_alu instid0(VALU_DEP_1)
	v_cmp_ne_u32_e32 vcc_lo, 0x7f800000, v97
	v_mov_b32_e32 v97, 0x80
	s_and_saveexec_b32 s23, vcc_lo
	s_cbranch_execz .LBB4_3840
; %bb.3833:                             ;   in Loop: Header=BB4_2983 Depth=2
	v_mov_b32_e32 v97, 0
	s_mov_b32 s24, exec_lo
	v_cmpx_ne_u32_e32 0, v98
	s_cbranch_execz .LBB4_3839
; %bb.3834:                             ;   in Loop: Header=BB4_2983 Depth=2
	v_bfe_u32 v97, v98, 23, 8
	v_and_b32_e32 v117, 0x7fffff, v98
	s_delay_alu instid0(VALU_DEP_2) | instskip(SKIP_1) | instid1(VALU_DEP_3)
	v_sub_nc_u32_e32 v129, 0x78, v97
	v_cmp_gt_u32_e32 vcc_lo, 0x79, v97
	v_or_b32_e32 v135, 0x800000, v117
	s_delay_alu instid0(VALU_DEP_3) | instskip(SKIP_2) | instid1(VALU_DEP_3)
	v_cndmask_b32_e32 v129, 0, v129, vcc_lo
	v_cmp_eq_u32_e32 vcc_lo, 0, v97
	v_add_nc_u32_e32 v97, 0xffffff89, v97
	v_cndmask_b32_e64 v129, v129, 0x77, vcc_lo
	v_cndmask_b32_e32 v117, v135, v117, vcc_lo
	s_delay_alu instid0(VALU_DEP_3) | instskip(NEXT) | instid1(VALU_DEP_3)
	v_cndmask_b32_e64 v97, v97, 0xffffff8a, vcc_lo
	v_lshl_add_u32 v135, 0x100000, v129, -1
	s_delay_alu instid0(VALU_DEP_3) | instskip(SKIP_1) | instid1(VALU_DEP_4)
	v_lshrrev_b32_e32 v147, v129, v117
	v_lshlrev_b32_e64 v150, v129, 0x80000
	v_add_nc_u32_e32 v129, v129, v97
	s_delay_alu instid0(VALU_DEP_4) | instskip(NEXT) | instid1(VALU_DEP_4)
	v_and_b32_e32 v117, v135, v117
	v_bfe_u32 v149, v147, 20, 1
	s_delay_alu instid0(VALU_DEP_2) | instskip(NEXT) | instid1(VALU_DEP_2)
	v_cmp_eq_u32_e64 s7, v117, v150
	v_add_nc_u32_e32 v135, -1, v149
	s_delay_alu instid0(VALU_DEP_1) | instskip(SKIP_2) | instid1(VALU_DEP_2)
	v_cndmask_b32_e64 v117, 0, v135, s7
	v_lshrrev_b32_e32 v135, 23, v147
	s_mov_b32 s7, exec_lo
	v_add_nc_u32_e32 v117, v117, v147
	s_delay_alu instid0(VALU_DEP_2) | instskip(NEXT) | instid1(VALU_DEP_2)
	v_xor_b32_e32 v135, 1, v135
	v_and_b32_e32 v97, 0xfffff, v117
	s_delay_alu instid0(VALU_DEP_1) | instskip(NEXT) | instid1(VALU_DEP_3)
	v_add_nc_u32_e32 v117, v97, v147
                                        ; implicit-def: $vgpr97
	v_cmpx_ne_u32_e64 v129, v135
	s_xor_b32 s7, exec_lo, s7
; %bb.3835:                             ;   in Loop: Header=BB4_2983 Depth=2
	s_delay_alu instid0(VALU_DEP_2) | instskip(SKIP_2) | instid1(VALU_DEP_2)
	v_cmp_lt_u32_e32 vcc_lo, 0xffffff, v117
	v_sub_nc_u32_e32 v97, v129, v135
	v_cndmask_b32_e64 v129, 0, 1, vcc_lo
	v_add_co_ci_u32_e32 v97, vcc_lo, 0, v97, vcc_lo
	s_delay_alu instid0(VALU_DEP_2)
	v_lshrrev_b32_e32 v117, v129, v117
; %bb.3836:                             ;   in Loop: Header=BB4_2983 Depth=2
	s_and_not1_saveexec_b32 s7, s7
; %bb.3837:                             ;   in Loop: Header=BB4_2983 Depth=2
	s_delay_alu instid0(VALU_DEP_1)
	v_bfe_u32 v97, v117, 23, 1
; %bb.3838:                             ;   in Loop: Header=BB4_2983 Depth=2
	s_or_b32 exec_lo, exec_lo, s7
	v_lshrrev_b32_e32 v117, 20, v117
	s_delay_alu instid0(VALU_DEP_2) | instskip(SKIP_2) | instid1(VALU_DEP_2)
	v_cmp_gt_i32_e32 vcc_lo, 16, v97
	v_lshrrev_b32_e32 v98, 24, v98
	v_min_i32_e32 v129, 15, v97
	v_dual_cndmask_b32 v117, 7, v117 :: v_dual_and_b32 v98, 0x80, v98
	s_delay_alu instid0(VALU_DEP_2) | instskip(NEXT) | instid1(VALU_DEP_2)
	v_lshlrev_b32_e32 v129, 3, v129
	v_and_b32_e32 v135, 7, v117
	v_or_b32_e32 v97, v97, v117
	s_delay_alu instid0(VALU_DEP_2) | instskip(NEXT) | instid1(VALU_DEP_2)
	v_or3_b32 v98, v129, v98, v135
	v_cmp_ne_u32_e32 vcc_lo, 0, v97
	s_delay_alu instid0(VALU_DEP_2)
	v_cndmask_b32_e32 v97, 0, v98, vcc_lo
.LBB4_3839:                             ;   in Loop: Header=BB4_2983 Depth=2
	s_or_b32 exec_lo, exec_lo, s24
.LBB4_3840:                             ;   in Loop: Header=BB4_2983 Depth=2
	s_delay_alu instid0(SALU_CYCLE_1) | instskip(SKIP_3) | instid1(VALU_DEP_1)
	s_or_b32 exec_lo, exec_lo, s23
	v_lshrrev_b16 v117, 8, v103
	s_mov_b32 s7, 0
	s_mov_b32 s24, exec_lo
                                        ; implicit-def: $sgpr23
	v_cmpx_lt_i16_e32 0x7f, v117
	s_xor_b32 s24, exec_lo, s24
	s_cbranch_execnz .LBB4_4246
; %bb.3841:                             ;   in Loop: Header=BB4_2983 Depth=2
	s_or_saveexec_b32 s24, s24
	v_mov_b32_e32 v98, s23
	s_xor_b32 exec_lo, exec_lo, s24
	s_cbranch_execnz .LBB4_4249
.LBB4_3842:                             ;   in Loop: Header=BB4_2983 Depth=2
	s_or_b32 exec_lo, exec_lo, s24
	s_and_saveexec_b32 s23, s7
	s_cbranch_execz .LBB4_3844
.LBB4_3843:                             ;   in Loop: Header=BB4_2983 Depth=2
	v_and_b32_e32 v98, 0xffff, v117
	v_lshlrev_b32_e32 v117, 24, v117
	s_delay_alu instid0(VALU_DEP_2) | instskip(NEXT) | instid1(VALU_DEP_2)
	v_and_b32_e32 v129, 7, v98
	v_and_b32_e32 v117, 0x80000000, v117
	s_delay_alu instid0(VALU_DEP_2) | instskip(NEXT) | instid1(VALU_DEP_1)
	v_clz_i32_u32_e32 v135, v129
	v_min_u32_e32 v135, 32, v135
	s_delay_alu instid0(VALU_DEP_1) | instskip(SKIP_1) | instid1(VALU_DEP_2)
	v_subrev_nc_u32_e32 v147, 28, v135
	v_sub_nc_u32_e32 v135, 29, v135
	v_lshlrev_b32_e32 v147, v147, v98
	v_bfe_u32 v98, v98, 3, 4
	s_delay_alu instid0(VALU_DEP_2) | instskip(NEXT) | instid1(VALU_DEP_2)
	v_and_b32_e32 v147, 7, v147
	v_cmp_eq_u32_e32 vcc_lo, 0, v98
	v_cndmask_b32_e32 v98, v98, v135, vcc_lo
	s_delay_alu instid0(VALU_DEP_3) | instskip(NEXT) | instid1(VALU_DEP_2)
	v_cndmask_b32_e32 v129, v129, v147, vcc_lo
	v_lshl_add_u32 v98, v98, 23, 0x3b800000
	s_delay_alu instid0(VALU_DEP_2) | instskip(NEXT) | instid1(VALU_DEP_1)
	v_lshlrev_b32_e32 v129, 20, v129
	v_or3_b32 v98, v117, v98, v129
.LBB4_3844:                             ;   in Loop: Header=BB4_2983 Depth=2
	s_or_b32 exec_lo, exec_lo, s23
	v_lshrrev_b16 v117, 8, v13
	s_mov_b32 s7, 0
	s_mov_b32 s24, exec_lo
                                        ; implicit-def: $sgpr23
	s_delay_alu instid0(VALU_DEP_1)
	v_cmpx_lt_i16_e32 0x7f, v117
	s_xor_b32 s24, exec_lo, s24
	s_cbranch_execnz .LBB4_4250
; %bb.3845:                             ;   in Loop: Header=BB4_2983 Depth=2
	s_or_saveexec_b32 s24, s24
	v_mov_b32_e32 v129, s23
	s_xor_b32 exec_lo, exec_lo, s24
	s_cbranch_execnz .LBB4_4253
.LBB4_3846:                             ;   in Loop: Header=BB4_2983 Depth=2
	s_or_b32 exec_lo, exec_lo, s24
	s_and_saveexec_b32 s23, s7
	s_cbranch_execz .LBB4_3848
.LBB4_3847:                             ;   in Loop: Header=BB4_2983 Depth=2
	v_and_b32_e32 v129, 0xffff, v117
	v_lshlrev_b32_e32 v117, 24, v117
	s_delay_alu instid0(VALU_DEP_2) | instskip(NEXT) | instid1(VALU_DEP_2)
	v_and_b32_e32 v135, 7, v129
	v_and_b32_e32 v117, 0x80000000, v117
	s_delay_alu instid0(VALU_DEP_2) | instskip(NEXT) | instid1(VALU_DEP_1)
	v_clz_i32_u32_e32 v147, v135
	v_min_u32_e32 v147, 32, v147
	s_delay_alu instid0(VALU_DEP_1) | instskip(SKIP_1) | instid1(VALU_DEP_2)
	v_subrev_nc_u32_e32 v149, 28, v147
	v_sub_nc_u32_e32 v147, 29, v147
	v_lshlrev_b32_e32 v149, v149, v129
	v_bfe_u32 v129, v129, 3, 4
	s_delay_alu instid0(VALU_DEP_2) | instskip(NEXT) | instid1(VALU_DEP_2)
	v_and_b32_e32 v149, 7, v149
	v_cmp_eq_u32_e32 vcc_lo, 0, v129
	v_cndmask_b32_e32 v129, v129, v147, vcc_lo
	s_delay_alu instid0(VALU_DEP_3) | instskip(NEXT) | instid1(VALU_DEP_2)
	v_cndmask_b32_e32 v135, v135, v149, vcc_lo
	v_lshl_add_u32 v129, v129, 23, 0x3b800000
	s_delay_alu instid0(VALU_DEP_2) | instskip(NEXT) | instid1(VALU_DEP_1)
	v_lshlrev_b32_e32 v135, 20, v135
	v_or3_b32 v129, v117, v129, v135
.LBB4_3848:                             ;   in Loop: Header=BB4_2983 Depth=2
	s_or_b32 exec_lo, exec_lo, s23
	s_delay_alu instid0(VALU_DEP_1) | instskip(NEXT) | instid1(VALU_DEP_1)
	v_add_f32_e32 v117, v98, v129
	v_and_b32_e32 v98, 0x7f800000, v117
	s_delay_alu instid0(VALU_DEP_1)
	v_cmp_ne_u32_e32 vcc_lo, 0x7f800000, v98
	v_mov_b32_e32 v98, 0x8000
	s_and_saveexec_b32 s23, vcc_lo
	s_cbranch_execz .LBB4_3856
; %bb.3849:                             ;   in Loop: Header=BB4_2983 Depth=2
	v_mov_b32_e32 v98, 0
	s_mov_b32 s24, exec_lo
	v_cmpx_ne_u32_e32 0, v117
	s_cbranch_execz .LBB4_3855
; %bb.3850:                             ;   in Loop: Header=BB4_2983 Depth=2
	v_bfe_u32 v98, v117, 23, 8
	v_and_b32_e32 v129, 0x7fffff, v117
	s_delay_alu instid0(VALU_DEP_2) | instskip(SKIP_1) | instid1(VALU_DEP_3)
	v_sub_nc_u32_e32 v135, 0x78, v98
	v_cmp_gt_u32_e32 vcc_lo, 0x79, v98
	v_or_b32_e32 v147, 0x800000, v129
	s_delay_alu instid0(VALU_DEP_3) | instskip(SKIP_2) | instid1(VALU_DEP_3)
	v_cndmask_b32_e32 v135, 0, v135, vcc_lo
	v_cmp_eq_u32_e32 vcc_lo, 0, v98
	v_add_nc_u32_e32 v98, 0xffffff89, v98
	v_cndmask_b32_e64 v135, v135, 0x77, vcc_lo
	v_cndmask_b32_e32 v129, v147, v129, vcc_lo
	s_delay_alu instid0(VALU_DEP_3) | instskip(NEXT) | instid1(VALU_DEP_3)
	v_cndmask_b32_e64 v98, v98, 0xffffff8a, vcc_lo
	v_lshl_add_u32 v147, 0x100000, v135, -1
	s_delay_alu instid0(VALU_DEP_3) | instskip(SKIP_1) | instid1(VALU_DEP_4)
	v_lshrrev_b32_e32 v149, v135, v129
	v_lshlrev_b32_e64 v151, v135, 0x80000
	v_add_nc_u32_e32 v135, v135, v98
	s_delay_alu instid0(VALU_DEP_4) | instskip(NEXT) | instid1(VALU_DEP_4)
	v_and_b32_e32 v129, v147, v129
	v_bfe_u32 v150, v149, 20, 1
	s_delay_alu instid0(VALU_DEP_2) | instskip(NEXT) | instid1(VALU_DEP_2)
	v_cmp_eq_u32_e64 s7, v129, v151
	v_add_nc_u32_e32 v147, -1, v150
	s_delay_alu instid0(VALU_DEP_1) | instskip(SKIP_2) | instid1(VALU_DEP_2)
	v_cndmask_b32_e64 v129, 0, v147, s7
	v_lshrrev_b32_e32 v147, 23, v149
	s_mov_b32 s7, exec_lo
	v_add_nc_u32_e32 v129, v129, v149
	s_delay_alu instid0(VALU_DEP_2) | instskip(NEXT) | instid1(VALU_DEP_2)
	v_xor_b32_e32 v147, 1, v147
	v_and_b32_e32 v98, 0xfffff, v129
	s_delay_alu instid0(VALU_DEP_1) | instskip(NEXT) | instid1(VALU_DEP_3)
	v_add_nc_u32_e32 v129, v98, v149
                                        ; implicit-def: $vgpr98
	v_cmpx_ne_u32_e64 v135, v147
	s_xor_b32 s7, exec_lo, s7
; %bb.3851:                             ;   in Loop: Header=BB4_2983 Depth=2
	s_delay_alu instid0(VALU_DEP_2) | instskip(SKIP_2) | instid1(VALU_DEP_2)
	v_cmp_lt_u32_e32 vcc_lo, 0xffffff, v129
	v_sub_nc_u32_e32 v98, v135, v147
	v_cndmask_b32_e64 v135, 0, 1, vcc_lo
	v_add_co_ci_u32_e32 v98, vcc_lo, 0, v98, vcc_lo
	s_delay_alu instid0(VALU_DEP_2)
	v_lshrrev_b32_e32 v129, v135, v129
; %bb.3852:                             ;   in Loop: Header=BB4_2983 Depth=2
	s_and_not1_saveexec_b32 s7, s7
; %bb.3853:                             ;   in Loop: Header=BB4_2983 Depth=2
	s_delay_alu instid0(VALU_DEP_1)
	v_bfe_u32 v98, v129, 23, 1
; %bb.3854:                             ;   in Loop: Header=BB4_2983 Depth=2
	s_or_b32 exec_lo, exec_lo, s7
	v_lshrrev_b32_e32 v129, 20, v129
	s_delay_alu instid0(VALU_DEP_2) | instskip(SKIP_2) | instid1(VALU_DEP_4)
	v_cmp_gt_i32_e32 vcc_lo, 16, v98
	v_min_i32_e32 v135, 15, v98
	v_lshrrev_b32_e32 v117, 24, v117
	v_cndmask_b32_e32 v129, 7, v129, vcc_lo
	s_delay_alu instid0(VALU_DEP_2) | instskip(NEXT) | instid1(VALU_DEP_2)
	v_and_b32_e32 v117, 0x80, v117
	v_or_b32_e32 v98, v98, v129
	v_and_b32_e32 v147, 7, v129
	s_delay_alu instid0(VALU_DEP_2) | instskip(SKIP_1) | instid1(VALU_DEP_1)
	v_cmp_ne_u32_e32 vcc_lo, 0, v98
	v_lshlrev_b32_e32 v135, 3, v135
	v_and_b32_e32 v135, 0xf8, v135
	s_delay_alu instid0(VALU_DEP_1) | instskip(NEXT) | instid1(VALU_DEP_1)
	v_or3_b32 v117, v117, v135, v147
	v_lshlrev_b32_e32 v117, 8, v117
	s_delay_alu instid0(VALU_DEP_1)
	v_cndmask_b32_e32 v98, 0, v117, vcc_lo
.LBB4_3855:                             ;   in Loop: Header=BB4_2983 Depth=2
	s_or_b32 exec_lo, exec_lo, s24
.LBB4_3856:                             ;   in Loop: Header=BB4_2983 Depth=2
	s_delay_alu instid0(SALU_CYCLE_1) | instskip(SKIP_3) | instid1(VALU_DEP_1)
	s_or_b32 exec_lo, exec_lo, s23
	v_or_b32_e32 v100, v100, v96
	s_mov_b32 s7, 0
	s_mov_b32 s24, exec_lo
                                        ; implicit-def: $sgpr23
	v_and_b32_e32 v117, 0xff, v100
	s_delay_alu instid0(VALU_DEP_1)
	v_cmpx_lt_i16_e32 0x7f, v117
	s_xor_b32 s24, exec_lo, s24
	s_cbranch_execnz .LBB4_4254
; %bb.3857:                             ;   in Loop: Header=BB4_2983 Depth=2
	s_or_saveexec_b32 s24, s24
	v_mov_b32_e32 v96, s23
	s_xor_b32 exec_lo, exec_lo, s24
	s_cbranch_execnz .LBB4_4257
.LBB4_3858:                             ;   in Loop: Header=BB4_2983 Depth=2
	s_or_b32 exec_lo, exec_lo, s24
	v_lshl_or_b32 v100, v100, 16, v103
	s_and_saveexec_b32 s23, s7
	s_cbranch_execz .LBB4_3860
.LBB4_3859:                             ;   in Loop: Header=BB4_2983 Depth=2
	s_delay_alu instid0(VALU_DEP_1) | instskip(SKIP_1) | instid1(VALU_DEP_2)
	v_bfe_u32 v96, v100, 16, 3
	v_lshrrev_b32_e32 v117, 16, v100
	v_clz_i32_u32_e32 v103, v96
	s_delay_alu instid0(VALU_DEP_1) | instskip(NEXT) | instid1(VALU_DEP_1)
	v_min_u32_e32 v103, 32, v103
	v_subrev_nc_u32_e32 v129, 28, v103
	v_sub_nc_u32_e32 v103, 29, v103
	s_delay_alu instid0(VALU_DEP_2) | instskip(SKIP_1) | instid1(VALU_DEP_2)
	v_lshlrev_b32_e32 v117, v129, v117
	v_bfe_u32 v129, v100, 19, 4
	v_and_b32_e32 v117, 7, v117
	s_delay_alu instid0(VALU_DEP_2) | instskip(NEXT) | instid1(VALU_DEP_2)
	v_cmp_eq_u32_e32 vcc_lo, 0, v129
	v_dual_cndmask_b32 v96, v96, v117 :: v_dual_lshlrev_b32 v135, 8, v100
	v_cndmask_b32_e32 v103, v129, v103, vcc_lo
	s_delay_alu instid0(VALU_DEP_2) | instskip(NEXT) | instid1(VALU_DEP_3)
	v_and_b32_e32 v117, 0x80000000, v135
	v_lshlrev_b32_e32 v96, 20, v96
	s_delay_alu instid0(VALU_DEP_3) | instskip(NEXT) | instid1(VALU_DEP_1)
	v_lshl_add_u32 v103, v103, 23, 0x3b800000
	v_or3_b32 v96, v117, v103, v96
.LBB4_3860:                             ;   in Loop: Header=BB4_2983 Depth=2
	s_or_b32 exec_lo, exec_lo, s23
	v_lshrrev_b32_e32 v103, 16, v13
	s_mov_b32 s7, 0
	s_mov_b32 s24, exec_lo
                                        ; implicit-def: $sgpr23
	s_delay_alu instid0(VALU_DEP_1) | instskip(NEXT) | instid1(VALU_DEP_1)
	v_and_b32_e32 v129, 0xff, v103
	v_cmpx_lt_i16_e64 0x7f, v129
	s_xor_b32 s24, exec_lo, s24
	s_cbranch_execnz .LBB4_4258
; %bb.3861:                             ;   in Loop: Header=BB4_2983 Depth=2
	s_or_saveexec_b32 s24, s24
	v_mov_b32_e32 v117, s23
	s_xor_b32 exec_lo, exec_lo, s24
	s_cbranch_execnz .LBB4_4261
.LBB4_3862:                             ;   in Loop: Header=BB4_2983 Depth=2
	s_or_b32 exec_lo, exec_lo, s24
	s_and_saveexec_b32 s23, s7
	s_cbranch_execz .LBB4_3864
.LBB4_3863:                             ;   in Loop: Header=BB4_2983 Depth=2
	v_bfe_u32 v117, v13, 16, 3
	v_lshlrev_b32_e32 v147, 8, v13
	s_delay_alu instid0(VALU_DEP_2) | instskip(NEXT) | instid1(VALU_DEP_1)
	v_clz_i32_u32_e32 v129, v117
	v_min_u32_e32 v129, 32, v129
	s_delay_alu instid0(VALU_DEP_1) | instskip(SKIP_1) | instid1(VALU_DEP_2)
	v_subrev_nc_u32_e32 v135, 28, v129
	v_sub_nc_u32_e32 v129, 29, v129
	v_lshlrev_b32_e32 v103, v135, v103
	v_bfe_u32 v135, v13, 19, 4
	s_delay_alu instid0(VALU_DEP_2) | instskip(NEXT) | instid1(VALU_DEP_2)
	v_and_b32_e32 v103, 7, v103
	v_cmp_eq_u32_e32 vcc_lo, 0, v135
	v_cndmask_b32_e32 v129, v135, v129, vcc_lo
	s_delay_alu instid0(VALU_DEP_3) | instskip(SKIP_1) | instid1(VALU_DEP_3)
	v_cndmask_b32_e32 v103, v117, v103, vcc_lo
	v_and_b32_e32 v117, 0x80000000, v147
	v_lshl_add_u32 v129, v129, 23, 0x3b800000
	s_delay_alu instid0(VALU_DEP_3) | instskip(NEXT) | instid1(VALU_DEP_1)
	v_lshlrev_b32_e32 v103, 20, v103
	v_or3_b32 v117, v117, v129, v103
.LBB4_3864:                             ;   in Loop: Header=BB4_2983 Depth=2
	s_or_b32 exec_lo, exec_lo, s23
	s_delay_alu instid0(VALU_DEP_1) | instskip(NEXT) | instid1(VALU_DEP_1)
	v_add_f32_e32 v103, v96, v117
	v_and_b32_e32 v96, 0x7f800000, v103
	s_delay_alu instid0(VALU_DEP_1)
	v_cmp_ne_u32_e32 vcc_lo, 0x7f800000, v96
	v_mov_b32_e32 v96, 0x80
	s_and_saveexec_b32 s23, vcc_lo
	s_cbranch_execz .LBB4_3872
; %bb.3865:                             ;   in Loop: Header=BB4_2983 Depth=2
	v_mov_b32_e32 v96, 0
	s_mov_b32 s24, exec_lo
	v_cmpx_ne_u32_e32 0, v103
	s_cbranch_execz .LBB4_3871
; %bb.3866:                             ;   in Loop: Header=BB4_2983 Depth=2
	v_bfe_u32 v96, v103, 23, 8
	v_and_b32_e32 v117, 0x7fffff, v103
	s_delay_alu instid0(VALU_DEP_2) | instskip(SKIP_1) | instid1(VALU_DEP_3)
	v_sub_nc_u32_e32 v129, 0x78, v96
	v_cmp_gt_u32_e32 vcc_lo, 0x79, v96
	v_or_b32_e32 v135, 0x800000, v117
	s_delay_alu instid0(VALU_DEP_3) | instskip(SKIP_2) | instid1(VALU_DEP_3)
	v_cndmask_b32_e32 v129, 0, v129, vcc_lo
	v_cmp_eq_u32_e32 vcc_lo, 0, v96
	v_add_nc_u32_e32 v96, 0xffffff89, v96
	v_cndmask_b32_e64 v129, v129, 0x77, vcc_lo
	v_cndmask_b32_e32 v117, v135, v117, vcc_lo
	s_delay_alu instid0(VALU_DEP_3) | instskip(NEXT) | instid1(VALU_DEP_3)
	v_cndmask_b32_e64 v96, v96, 0xffffff8a, vcc_lo
	v_lshl_add_u32 v135, 0x100000, v129, -1
	s_delay_alu instid0(VALU_DEP_3) | instskip(SKIP_1) | instid1(VALU_DEP_4)
	v_lshrrev_b32_e32 v147, v129, v117
	v_lshlrev_b32_e64 v150, v129, 0x80000
	v_add_nc_u32_e32 v129, v129, v96
	s_delay_alu instid0(VALU_DEP_4) | instskip(NEXT) | instid1(VALU_DEP_4)
	v_and_b32_e32 v117, v135, v117
	v_bfe_u32 v149, v147, 20, 1
	s_delay_alu instid0(VALU_DEP_2) | instskip(NEXT) | instid1(VALU_DEP_2)
	v_cmp_eq_u32_e64 s7, v117, v150
	v_add_nc_u32_e32 v135, -1, v149
	s_delay_alu instid0(VALU_DEP_1) | instskip(SKIP_2) | instid1(VALU_DEP_2)
	v_cndmask_b32_e64 v117, 0, v135, s7
	v_lshrrev_b32_e32 v135, 23, v147
	s_mov_b32 s7, exec_lo
	v_add_nc_u32_e32 v117, v117, v147
	s_delay_alu instid0(VALU_DEP_2) | instskip(NEXT) | instid1(VALU_DEP_2)
	v_xor_b32_e32 v135, 1, v135
	v_and_b32_e32 v96, 0xfffff, v117
	s_delay_alu instid0(VALU_DEP_1) | instskip(NEXT) | instid1(VALU_DEP_3)
	v_add_nc_u32_e32 v117, v96, v147
                                        ; implicit-def: $vgpr96
	v_cmpx_ne_u32_e64 v129, v135
	s_xor_b32 s7, exec_lo, s7
; %bb.3867:                             ;   in Loop: Header=BB4_2983 Depth=2
	s_delay_alu instid0(VALU_DEP_2) | instskip(SKIP_2) | instid1(VALU_DEP_2)
	v_cmp_lt_u32_e32 vcc_lo, 0xffffff, v117
	v_sub_nc_u32_e32 v96, v129, v135
	v_cndmask_b32_e64 v129, 0, 1, vcc_lo
	v_add_co_ci_u32_e32 v96, vcc_lo, 0, v96, vcc_lo
	s_delay_alu instid0(VALU_DEP_2)
	v_lshrrev_b32_e32 v117, v129, v117
; %bb.3868:                             ;   in Loop: Header=BB4_2983 Depth=2
	s_and_not1_saveexec_b32 s7, s7
; %bb.3869:                             ;   in Loop: Header=BB4_2983 Depth=2
	s_delay_alu instid0(VALU_DEP_1)
	v_bfe_u32 v96, v117, 23, 1
; %bb.3870:                             ;   in Loop: Header=BB4_2983 Depth=2
	s_or_b32 exec_lo, exec_lo, s7
	v_lshrrev_b32_e32 v117, 20, v117
	s_delay_alu instid0(VALU_DEP_2) | instskip(SKIP_2) | instid1(VALU_DEP_3)
	v_min_i32_e32 v129, 15, v96
	v_cmp_gt_i32_e32 vcc_lo, 16, v96
	v_lshrrev_b32_e32 v103, 24, v103
	v_lshlrev_b32_e32 v129, 3, v129
	v_cndmask_b32_e32 v117, 7, v117, vcc_lo
	s_delay_alu instid0(VALU_DEP_3) | instskip(NEXT) | instid1(VALU_DEP_3)
	v_and_b32_e32 v103, 0x80, v103
	v_and_b32_e32 v129, 0xf8, v129
	s_delay_alu instid0(VALU_DEP_3) | instskip(SKIP_1) | instid1(VALU_DEP_2)
	v_and_b32_e32 v135, 7, v117
	v_or_b32_e32 v96, v96, v117
	v_or3_b32 v103, v129, v103, v135
	s_delay_alu instid0(VALU_DEP_2) | instskip(NEXT) | instid1(VALU_DEP_2)
	v_cmp_ne_u32_e32 vcc_lo, 0, v96
	v_cndmask_b32_e32 v96, 0, v103, vcc_lo
.LBB4_3871:                             ;   in Loop: Header=BB4_2983 Depth=2
	s_or_b32 exec_lo, exec_lo, s24
.LBB4_3872:                             ;   in Loop: Header=BB4_2983 Depth=2
	s_delay_alu instid0(SALU_CYCLE_1) | instskip(SKIP_3) | instid1(VALU_DEP_1)
	s_or_b32 exec_lo, exec_lo, s23
	v_lshrrev_b32_e32 v117, 24, v100
	s_mov_b32 s7, 0
	s_mov_b32 s24, exec_lo
                                        ; implicit-def: $sgpr23
	v_cmpx_lt_i16_e32 0x7f, v117
	s_xor_b32 s24, exec_lo, s24
	s_cbranch_execnz .LBB4_4262
; %bb.3873:                             ;   in Loop: Header=BB4_2983 Depth=2
	s_or_saveexec_b32 s24, s24
	v_mov_b32_e32 v103, s23
	s_xor_b32 exec_lo, exec_lo, s24
	s_cbranch_execnz .LBB4_4265
.LBB4_3874:                             ;   in Loop: Header=BB4_2983 Depth=2
	s_or_b32 exec_lo, exec_lo, s24
	s_and_saveexec_b32 s23, s7
	s_cbranch_execz .LBB4_3876
.LBB4_3875:                             ;   in Loop: Header=BB4_2983 Depth=2
	v_bfe_u32 v103, v100, 24, 3
	s_delay_alu instid0(VALU_DEP_1) | instskip(NEXT) | instid1(VALU_DEP_1)
	v_clz_i32_u32_e32 v129, v103
	v_min_u32_e32 v129, 32, v129
	s_delay_alu instid0(VALU_DEP_1) | instskip(SKIP_1) | instid1(VALU_DEP_2)
	v_subrev_nc_u32_e32 v135, 28, v129
	v_sub_nc_u32_e32 v129, 29, v129
	v_lshlrev_b32_e32 v117, v135, v117
	v_bfe_u32 v135, v100, 27, 4
	v_and_b32_e32 v100, 0x80000000, v100
	s_delay_alu instid0(VALU_DEP_3) | instskip(NEXT) | instid1(VALU_DEP_3)
	v_and_b32_e32 v117, 7, v117
	v_cmp_eq_u32_e32 vcc_lo, 0, v135
	v_cndmask_b32_e32 v129, v135, v129, vcc_lo
	s_delay_alu instid0(VALU_DEP_3) | instskip(NEXT) | instid1(VALU_DEP_2)
	v_cndmask_b32_e32 v103, v103, v117, vcc_lo
	v_lshl_add_u32 v117, v129, 23, 0x3b800000
	s_delay_alu instid0(VALU_DEP_2) | instskip(NEXT) | instid1(VALU_DEP_1)
	v_lshlrev_b32_e32 v103, 20, v103
	v_or3_b32 v103, v100, v117, v103
.LBB4_3876:                             ;   in Loop: Header=BB4_2983 Depth=2
	s_or_b32 exec_lo, exec_lo, s23
	v_lshrrev_b32_e32 v100, 24, v13
	s_mov_b32 s7, 0
	s_mov_b32 s24, exec_lo
                                        ; implicit-def: $sgpr23
	s_delay_alu instid0(VALU_DEP_1)
	v_cmpx_lt_i16_e32 0x7f, v100
	s_xor_b32 s24, exec_lo, s24
	s_cbranch_execnz .LBB4_4266
; %bb.3877:                             ;   in Loop: Header=BB4_2983 Depth=2
	s_or_saveexec_b32 s24, s24
	v_mov_b32_e32 v117, s23
	s_xor_b32 exec_lo, exec_lo, s24
	s_cbranch_execnz .LBB4_4269
.LBB4_3878:                             ;   in Loop: Header=BB4_2983 Depth=2
	s_or_b32 exec_lo, exec_lo, s24
	s_and_saveexec_b32 s23, s7
	s_cbranch_execz .LBB4_3880
.LBB4_3879:                             ;   in Loop: Header=BB4_2983 Depth=2
	v_bfe_u32 v117, v13, 24, 3
	s_delay_alu instid0(VALU_DEP_1) | instskip(NEXT) | instid1(VALU_DEP_1)
	v_clz_i32_u32_e32 v129, v117
	v_min_u32_e32 v129, 32, v129
	s_delay_alu instid0(VALU_DEP_1) | instskip(SKIP_1) | instid1(VALU_DEP_2)
	v_subrev_nc_u32_e32 v135, 28, v129
	v_sub_nc_u32_e32 v129, 29, v129
	v_lshlrev_b32_e32 v100, v135, v100
	v_bfe_u32 v135, v13, 27, 4
	v_and_b32_e32 v13, 0x80000000, v13
	s_delay_alu instid0(VALU_DEP_2) | instskip(NEXT) | instid1(VALU_DEP_4)
	v_cmp_eq_u32_e32 vcc_lo, 0, v135
	v_dual_cndmask_b32 v129, v135, v129 :: v_dual_and_b32 v100, 7, v100
	s_delay_alu instid0(VALU_DEP_1) | instskip(NEXT) | instid1(VALU_DEP_2)
	v_cndmask_b32_e32 v100, v117, v100, vcc_lo
	v_lshl_add_u32 v117, v129, 23, 0x3b800000
	s_delay_alu instid0(VALU_DEP_2) | instskip(NEXT) | instid1(VALU_DEP_1)
	v_lshlrev_b32_e32 v100, 20, v100
	v_or3_b32 v117, v13, v117, v100
.LBB4_3880:                             ;   in Loop: Header=BB4_2983 Depth=2
	s_or_b32 exec_lo, exec_lo, s23
	s_delay_alu instid0(VALU_DEP_1) | instskip(NEXT) | instid1(VALU_DEP_1)
	v_add_f32_e32 v13, v103, v117
	v_and_b32_e32 v100, 0x7f800000, v13
	s_delay_alu instid0(VALU_DEP_1)
	v_cmp_ne_u32_e32 vcc_lo, 0x7f800000, v100
	v_mov_b32_e32 v100, 0x8000
	s_and_saveexec_b32 s23, vcc_lo
	s_cbranch_execz .LBB4_2982
; %bb.3881:                             ;   in Loop: Header=BB4_2983 Depth=2
	v_mov_b32_e32 v100, 0
	s_mov_b32 s24, exec_lo
	v_cmpx_ne_u32_e32 0, v13
	s_cbranch_execz .LBB4_2981
; %bb.3882:                             ;   in Loop: Header=BB4_2983 Depth=2
	v_bfe_u32 v100, v13, 23, 8
	v_and_b32_e32 v103, 0x7fffff, v13
	s_delay_alu instid0(VALU_DEP_2) | instskip(SKIP_1) | instid1(VALU_DEP_3)
	v_sub_nc_u32_e32 v117, 0x78, v100
	v_cmp_gt_u32_e32 vcc_lo, 0x79, v100
	v_or_b32_e32 v129, 0x800000, v103
	s_delay_alu instid0(VALU_DEP_3) | instskip(SKIP_2) | instid1(VALU_DEP_3)
	v_cndmask_b32_e32 v117, 0, v117, vcc_lo
	v_cmp_eq_u32_e32 vcc_lo, 0, v100
	v_add_nc_u32_e32 v100, 0xffffff89, v100
	v_cndmask_b32_e64 v117, v117, 0x77, vcc_lo
	v_cndmask_b32_e32 v103, v129, v103, vcc_lo
	s_delay_alu instid0(VALU_DEP_3) | instskip(NEXT) | instid1(VALU_DEP_3)
	v_cndmask_b32_e64 v100, v100, 0xffffff8a, vcc_lo
	v_lshl_add_u32 v129, 0x100000, v117, -1
	s_delay_alu instid0(VALU_DEP_3) | instskip(SKIP_1) | instid1(VALU_DEP_4)
	v_lshrrev_b32_e32 v135, v117, v103
	v_lshlrev_b32_e64 v149, v117, 0x80000
	v_add_nc_u32_e32 v117, v117, v100
	s_delay_alu instid0(VALU_DEP_4) | instskip(NEXT) | instid1(VALU_DEP_4)
	v_and_b32_e32 v103, v129, v103
	v_bfe_u32 v147, v135, 20, 1
	s_delay_alu instid0(VALU_DEP_2) | instskip(NEXT) | instid1(VALU_DEP_2)
	v_cmp_eq_u32_e64 s7, v103, v149
	v_add_nc_u32_e32 v129, -1, v147
	s_delay_alu instid0(VALU_DEP_1) | instskip(SKIP_2) | instid1(VALU_DEP_2)
	v_cndmask_b32_e64 v103, 0, v129, s7
	v_lshrrev_b32_e32 v129, 23, v135
	s_mov_b32 s7, exec_lo
	v_add_nc_u32_e32 v103, v103, v135
	s_delay_alu instid0(VALU_DEP_2) | instskip(NEXT) | instid1(VALU_DEP_2)
	v_xor_b32_e32 v129, 1, v129
	v_and_b32_e32 v100, 0xfffff, v103
	s_delay_alu instid0(VALU_DEP_1) | instskip(NEXT) | instid1(VALU_DEP_3)
	v_add_nc_u32_e32 v103, v100, v135
                                        ; implicit-def: $vgpr100
	v_cmpx_ne_u32_e64 v117, v129
	s_xor_b32 s7, exec_lo, s7
; %bb.3883:                             ;   in Loop: Header=BB4_2983 Depth=2
	s_delay_alu instid0(VALU_DEP_2) | instskip(SKIP_2) | instid1(VALU_DEP_2)
	v_cmp_lt_u32_e32 vcc_lo, 0xffffff, v103
	v_sub_nc_u32_e32 v100, v117, v129
	v_cndmask_b32_e64 v117, 0, 1, vcc_lo
	v_add_co_ci_u32_e32 v100, vcc_lo, 0, v100, vcc_lo
	s_delay_alu instid0(VALU_DEP_2)
	v_lshrrev_b32_e32 v103, v117, v103
; %bb.3884:                             ;   in Loop: Header=BB4_2983 Depth=2
	s_and_not1_saveexec_b32 s7, s7
	s_cbranch_execz .LBB4_2980
; %bb.3885:                             ;   in Loop: Header=BB4_2983 Depth=2
	s_delay_alu instid0(VALU_DEP_1)
	v_bfe_u32 v100, v103, 23, 1
	s_branch .LBB4_2980
.LBB4_3886:                             ;   in Loop: Header=BB4_2983 Depth=2
	s_mov_b32 s7, -1
	s_mov_b32 s26, exec_lo
                                        ; implicit-def: $sgpr24
	v_cmpx_eq_u16_e32 0x80, v15
; %bb.3887:                             ;   in Loop: Header=BB4_2983 Depth=2
	s_mov_b32 s24, 0x7f800001
	s_xor_b32 s7, exec_lo, -1
; %bb.3888:                             ;   in Loop: Header=BB4_2983 Depth=2
	s_or_b32 exec_lo, exec_lo, s26
	s_delay_alu instid0(SALU_CYCLE_1)
	s_and_b32 s7, s7, exec_lo
                                        ; implicit-def: $vgpr15
	s_or_saveexec_b32 s25, s25
	v_mov_b32_e32 v14, s24
	s_xor_b32 exec_lo, exec_lo, s25
	s_cbranch_execz .LBB4_2994
.LBB4_3889:                             ;   in Loop: Header=BB4_2983 Depth=2
	v_cmp_ne_u16_e32 vcc_lo, 0, v15
	v_mov_b32_e32 v14, 0
	s_and_not1_b32 s7, s7, exec_lo
	s_and_b32 s24, vcc_lo, exec_lo
	s_delay_alu instid0(SALU_CYCLE_1)
	s_or_b32 s7, s7, s24
	s_or_b32 exec_lo, exec_lo, s25
	s_and_saveexec_b32 s24, s7
	s_cbranch_execnz .LBB4_2995
	s_branch .LBB4_2996
.LBB4_3890:                             ;   in Loop: Header=BB4_2983 Depth=2
	s_mov_b32 s7, -1
	s_mov_b32 s26, exec_lo
                                        ; implicit-def: $sgpr24
	v_cmpx_eq_u16_e32 0x80, v14
; %bb.3891:                             ;   in Loop: Header=BB4_2983 Depth=2
	s_mov_b32 s24, 0x7f800001
	s_xor_b32 s7, exec_lo, -1
; %bb.3892:                             ;   in Loop: Header=BB4_2983 Depth=2
	s_or_b32 exec_lo, exec_lo, s26
	s_delay_alu instid0(SALU_CYCLE_1)
	s_and_b32 s7, s7, exec_lo
	s_or_saveexec_b32 s25, s25
	v_mov_b32_e32 v15, s24
	s_xor_b32 exec_lo, exec_lo, s25
	s_cbranch_execz .LBB4_3006
.LBB4_3893:                             ;   in Loop: Header=BB4_2983 Depth=2
	v_cmp_ne_u16_e32 vcc_lo, 0, v14
	v_mov_b32_e32 v15, 0
	s_and_not1_b32 s7, s7, exec_lo
	s_and_b32 s24, vcc_lo, exec_lo
	s_delay_alu instid0(SALU_CYCLE_1)
	s_or_b32 s7, s7, s24
	s_or_b32 exec_lo, exec_lo, s25
	s_and_saveexec_b32 s24, s7
	s_cbranch_execnz .LBB4_3007
	s_branch .LBB4_3008
.LBB4_3894:                             ;   in Loop: Header=BB4_2983 Depth=2
	s_mov_b32 s7, -1
	s_mov_b32 s26, exec_lo
                                        ; implicit-def: $sgpr24
	v_cmpx_eq_u16_e32 0x80, v16
; %bb.3895:                             ;   in Loop: Header=BB4_2983 Depth=2
	s_mov_b32 s24, 0x7f800001
	s_xor_b32 s7, exec_lo, -1
; %bb.3896:                             ;   in Loop: Header=BB4_2983 Depth=2
	s_or_b32 exec_lo, exec_lo, s26
	s_delay_alu instid0(SALU_CYCLE_1)
	s_and_b32 s7, s7, exec_lo
                                        ; implicit-def: $vgpr16
	s_or_saveexec_b32 s25, s25
	v_mov_b32_e32 v15, s24
	s_xor_b32 exec_lo, exec_lo, s25
	s_cbranch_execz .LBB4_3018
.LBB4_3897:                             ;   in Loop: Header=BB4_2983 Depth=2
	v_cmp_ne_u16_e32 vcc_lo, 0, v16
	v_mov_b32_e32 v15, 0
	s_and_not1_b32 s7, s7, exec_lo
	s_and_b32 s24, vcc_lo, exec_lo
	s_delay_alu instid0(SALU_CYCLE_1)
	s_or_b32 s7, s7, s24
	s_or_b32 exec_lo, exec_lo, s25
	s_and_saveexec_b32 s24, s7
	s_cbranch_execnz .LBB4_3019
	s_branch .LBB4_3020
.LBB4_3898:                             ;   in Loop: Header=BB4_2983 Depth=2
	s_mov_b32 s7, -1
	s_mov_b32 s26, exec_lo
                                        ; implicit-def: $sgpr24
	v_cmpx_eq_u16_e32 0x80, v14
; %bb.3899:                             ;   in Loop: Header=BB4_2983 Depth=2
	s_mov_b32 s24, 0x7f800001
	s_xor_b32 s7, exec_lo, -1
; %bb.3900:                             ;   in Loop: Header=BB4_2983 Depth=2
	s_or_b32 exec_lo, exec_lo, s26
	s_delay_alu instid0(SALU_CYCLE_1)
	s_and_b32 s7, s7, exec_lo
	s_or_saveexec_b32 s25, s25
	v_mov_b32_e32 v15, s24
	s_xor_b32 exec_lo, exec_lo, s25
	s_cbranch_execz .LBB4_3030
.LBB4_3901:                             ;   in Loop: Header=BB4_2983 Depth=2
	v_cmp_ne_u16_e32 vcc_lo, 0, v14
	v_mov_b32_e32 v15, 0
	s_and_not1_b32 s7, s7, exec_lo
	s_and_b32 s24, vcc_lo, exec_lo
	s_delay_alu instid0(SALU_CYCLE_1)
	s_or_b32 s7, s7, s24
	s_or_b32 exec_lo, exec_lo, s25
	s_and_saveexec_b32 s24, s7
	s_cbranch_execnz .LBB4_3031
	s_branch .LBB4_3032
.LBB4_3902:                             ;   in Loop: Header=BB4_2983 Depth=2
	s_mov_b32 s7, -1
	s_mov_b32 s26, exec_lo
                                        ; implicit-def: $sgpr24
	v_cmpx_eq_u16_e32 0x80, v14
; %bb.3903:                             ;   in Loop: Header=BB4_2983 Depth=2
	s_mov_b32 s24, 0x7f800001
	s_xor_b32 s7, exec_lo, -1
; %bb.3904:                             ;   in Loop: Header=BB4_2983 Depth=2
	s_or_b32 exec_lo, exec_lo, s26
	s_delay_alu instid0(SALU_CYCLE_1)
	s_and_b32 s7, s7, exec_lo
                                        ; implicit-def: $vgpr14
	s_or_saveexec_b32 s25, s25
	v_mov_b32_e32 v10, s24
	s_xor_b32 exec_lo, exec_lo, s25
	s_cbranch_execz .LBB4_3042
.LBB4_3905:                             ;   in Loop: Header=BB4_2983 Depth=2
	v_cmp_ne_u16_e32 vcc_lo, 0, v14
	v_mov_b32_e32 v10, 0
	s_and_not1_b32 s7, s7, exec_lo
	s_and_b32 s24, vcc_lo, exec_lo
	s_delay_alu instid0(SALU_CYCLE_1)
	s_or_b32 s7, s7, s24
	s_or_b32 exec_lo, exec_lo, s25
	s_and_saveexec_b32 s24, s7
	s_cbranch_execnz .LBB4_3043
	s_branch .LBB4_3044
.LBB4_3906:                             ;   in Loop: Header=BB4_2983 Depth=2
	s_mov_b32 s7, -1
	s_mov_b32 s26, exec_lo
                                        ; implicit-def: $sgpr24
	v_cmpx_eq_u16_e32 0x80, v10
; %bb.3907:                             ;   in Loop: Header=BB4_2983 Depth=2
	s_mov_b32 s24, 0x7f800001
	s_xor_b32 s7, exec_lo, -1
; %bb.3908:                             ;   in Loop: Header=BB4_2983 Depth=2
	s_or_b32 exec_lo, exec_lo, s26
	s_delay_alu instid0(SALU_CYCLE_1)
	s_and_b32 s7, s7, exec_lo
	s_or_saveexec_b32 s25, s25
	v_mov_b32_e32 v14, s24
	s_xor_b32 exec_lo, exec_lo, s25
	s_cbranch_execz .LBB4_3054
.LBB4_3909:                             ;   in Loop: Header=BB4_2983 Depth=2
	v_cmp_ne_u16_e32 vcc_lo, 0, v10
	v_mov_b32_e32 v14, 0
	s_and_not1_b32 s7, s7, exec_lo
	s_and_b32 s24, vcc_lo, exec_lo
	s_delay_alu instid0(SALU_CYCLE_1)
	s_or_b32 s7, s7, s24
	s_or_b32 exec_lo, exec_lo, s25
	s_and_saveexec_b32 s24, s7
	s_cbranch_execnz .LBB4_3055
	s_branch .LBB4_3056
.LBB4_3910:                             ;   in Loop: Header=BB4_2983 Depth=2
	s_mov_b32 s7, -1
	s_mov_b32 s26, exec_lo
                                        ; implicit-def: $sgpr24
	v_cmpx_eq_u16_e32 0x80, v15
; %bb.3911:                             ;   in Loop: Header=BB4_2983 Depth=2
	s_mov_b32 s24, 0x7f800001
	s_xor_b32 s7, exec_lo, -1
; %bb.3912:                             ;   in Loop: Header=BB4_2983 Depth=2
	s_or_b32 exec_lo, exec_lo, s26
	s_delay_alu instid0(SALU_CYCLE_1)
	s_and_b32 s7, s7, exec_lo
                                        ; implicit-def: $vgpr15
	s_or_saveexec_b32 s25, s25
	v_mov_b32_e32 v14, s24
	s_xor_b32 exec_lo, exec_lo, s25
	s_cbranch_execz .LBB4_3066
.LBB4_3913:                             ;   in Loop: Header=BB4_2983 Depth=2
	v_cmp_ne_u16_e32 vcc_lo, 0, v15
	v_mov_b32_e32 v14, 0
	s_and_not1_b32 s7, s7, exec_lo
	s_and_b32 s24, vcc_lo, exec_lo
	s_delay_alu instid0(SALU_CYCLE_1)
	s_or_b32 s7, s7, s24
	s_or_b32 exec_lo, exec_lo, s25
	s_and_saveexec_b32 s24, s7
	s_cbranch_execnz .LBB4_3067
	s_branch .LBB4_3068
.LBB4_3914:                             ;   in Loop: Header=BB4_2983 Depth=2
	s_mov_b32 s7, -1
	s_mov_b32 s26, exec_lo
                                        ; implicit-def: $sgpr24
	v_cmpx_eq_u16_e32 0x80, v10
; %bb.3915:                             ;   in Loop: Header=BB4_2983 Depth=2
	s_mov_b32 s24, 0x7f800001
	s_xor_b32 s7, exec_lo, -1
; %bb.3916:                             ;   in Loop: Header=BB4_2983 Depth=2
	s_or_b32 exec_lo, exec_lo, s26
	s_delay_alu instid0(SALU_CYCLE_1)
	s_and_b32 s7, s7, exec_lo
	s_or_saveexec_b32 s25, s25
	v_mov_b32_e32 v14, s24
	s_xor_b32 exec_lo, exec_lo, s25
	s_cbranch_execz .LBB4_3078
.LBB4_3917:                             ;   in Loop: Header=BB4_2983 Depth=2
	v_cmp_ne_u16_e32 vcc_lo, 0, v10
	v_mov_b32_e32 v14, 0
	s_and_not1_b32 s7, s7, exec_lo
	s_and_b32 s24, vcc_lo, exec_lo
	s_delay_alu instid0(SALU_CYCLE_1)
	s_or_b32 s7, s7, s24
	s_or_b32 exec_lo, exec_lo, s25
	s_and_saveexec_b32 s24, s7
	s_cbranch_execnz .LBB4_3079
	s_branch .LBB4_3080
.LBB4_3918:                             ;   in Loop: Header=BB4_2983 Depth=2
	s_mov_b32 s7, -1
	s_mov_b32 s26, exec_lo
                                        ; implicit-def: $sgpr24
	v_cmpx_eq_u16_e32 0x80, v11
; %bb.3919:                             ;   in Loop: Header=BB4_2983 Depth=2
	s_mov_b32 s24, 0x7f800001
	s_xor_b32 s7, exec_lo, -1
; %bb.3920:                             ;   in Loop: Header=BB4_2983 Depth=2
	s_or_b32 exec_lo, exec_lo, s26
	s_delay_alu instid0(SALU_CYCLE_1)
	s_and_b32 s7, s7, exec_lo
                                        ; implicit-def: $vgpr11
	s_or_saveexec_b32 s25, s25
	v_mov_b32_e32 v10, s24
	s_xor_b32 exec_lo, exec_lo, s25
	s_cbranch_execz .LBB4_3090
.LBB4_3921:                             ;   in Loop: Header=BB4_2983 Depth=2
	v_cmp_ne_u16_e32 vcc_lo, 0, v11
	v_mov_b32_e32 v10, 0
	s_and_not1_b32 s7, s7, exec_lo
	s_and_b32 s24, vcc_lo, exec_lo
	s_delay_alu instid0(SALU_CYCLE_1)
	s_or_b32 s7, s7, s24
	s_or_b32 exec_lo, exec_lo, s25
	s_and_saveexec_b32 s24, s7
	s_cbranch_execnz .LBB4_3091
	s_branch .LBB4_3092
.LBB4_3922:                             ;   in Loop: Header=BB4_2983 Depth=2
	s_mov_b32 s7, -1
	s_mov_b32 s26, exec_lo
                                        ; implicit-def: $sgpr24
	v_cmpx_eq_u16_e32 0x80, v10
; %bb.3923:                             ;   in Loop: Header=BB4_2983 Depth=2
	s_mov_b32 s24, 0x7f800001
	s_xor_b32 s7, exec_lo, -1
; %bb.3924:                             ;   in Loop: Header=BB4_2983 Depth=2
	s_or_b32 exec_lo, exec_lo, s26
	s_delay_alu instid0(SALU_CYCLE_1)
	s_and_b32 s7, s7, exec_lo
	s_or_saveexec_b32 s25, s25
	v_mov_b32_e32 v11, s24
	s_xor_b32 exec_lo, exec_lo, s25
	s_cbranch_execz .LBB4_3102
.LBB4_3925:                             ;   in Loop: Header=BB4_2983 Depth=2
	v_cmp_ne_u16_e32 vcc_lo, 0, v10
	v_mov_b32_e32 v11, 0
	s_and_not1_b32 s7, s7, exec_lo
	s_and_b32 s24, vcc_lo, exec_lo
	s_delay_alu instid0(SALU_CYCLE_1)
	s_or_b32 s7, s7, s24
	s_or_b32 exec_lo, exec_lo, s25
	s_and_saveexec_b32 s24, s7
	s_cbranch_execnz .LBB4_3103
	s_branch .LBB4_3104
.LBB4_3926:                             ;   in Loop: Header=BB4_2983 Depth=2
	s_mov_b32 s7, -1
	s_mov_b32 s26, exec_lo
                                        ; implicit-def: $sgpr24
	v_cmpx_eq_u16_e32 0x80, v14
; %bb.3927:                             ;   in Loop: Header=BB4_2983 Depth=2
	s_mov_b32 s24, 0x7f800001
	s_xor_b32 s7, exec_lo, -1
; %bb.3928:                             ;   in Loop: Header=BB4_2983 Depth=2
	s_or_b32 exec_lo, exec_lo, s26
	s_delay_alu instid0(SALU_CYCLE_1)
	s_and_b32 s7, s7, exec_lo
                                        ; implicit-def: $vgpr14
	s_or_saveexec_b32 s25, s25
	v_mov_b32_e32 v11, s24
	s_xor_b32 exec_lo, exec_lo, s25
	s_cbranch_execz .LBB4_3114
.LBB4_3929:                             ;   in Loop: Header=BB4_2983 Depth=2
	v_cmp_ne_u16_e32 vcc_lo, 0, v14
	v_mov_b32_e32 v11, 0
	s_and_not1_b32 s7, s7, exec_lo
	s_and_b32 s24, vcc_lo, exec_lo
	s_delay_alu instid0(SALU_CYCLE_1)
	s_or_b32 s7, s7, s24
	s_or_b32 exec_lo, exec_lo, s25
	s_and_saveexec_b32 s24, s7
	s_cbranch_execnz .LBB4_3115
	s_branch .LBB4_3116
.LBB4_3930:                             ;   in Loop: Header=BB4_2983 Depth=2
	s_mov_b32 s7, -1
	s_mov_b32 s26, exec_lo
                                        ; implicit-def: $sgpr24
	v_cmpx_eq_u16_e32 0x80, v10
; %bb.3931:                             ;   in Loop: Header=BB4_2983 Depth=2
	s_mov_b32 s24, 0x7f800001
	s_xor_b32 s7, exec_lo, -1
; %bb.3932:                             ;   in Loop: Header=BB4_2983 Depth=2
	s_or_b32 exec_lo, exec_lo, s26
	s_delay_alu instid0(SALU_CYCLE_1)
	s_and_b32 s7, s7, exec_lo
	s_or_saveexec_b32 s25, s25
	v_mov_b32_e32 v11, s24
	s_xor_b32 exec_lo, exec_lo, s25
	s_cbranch_execz .LBB4_3126
.LBB4_3933:                             ;   in Loop: Header=BB4_2983 Depth=2
	v_cmp_ne_u16_e32 vcc_lo, 0, v10
	v_mov_b32_e32 v11, 0
	s_and_not1_b32 s7, s7, exec_lo
	s_and_b32 s24, vcc_lo, exec_lo
	s_delay_alu instid0(SALU_CYCLE_1)
	s_or_b32 s7, s7, s24
	s_or_b32 exec_lo, exec_lo, s25
	s_and_saveexec_b32 s24, s7
	s_cbranch_execnz .LBB4_3127
	s_branch .LBB4_3128
.LBB4_3934:                             ;   in Loop: Header=BB4_2983 Depth=2
	s_mov_b32 s7, -1
	s_mov_b32 s26, exec_lo
                                        ; implicit-def: $sgpr24
	v_cmpx_eq_u16_e32 0x80, v11
; %bb.3935:                             ;   in Loop: Header=BB4_2983 Depth=2
	s_mov_b32 s24, 0x7f800001
	s_xor_b32 s7, exec_lo, -1
; %bb.3936:                             ;   in Loop: Header=BB4_2983 Depth=2
	s_or_b32 exec_lo, exec_lo, s26
	s_delay_alu instid0(SALU_CYCLE_1)
	s_and_b32 s7, s7, exec_lo
                                        ; implicit-def: $vgpr11
	s_or_saveexec_b32 s25, s25
	v_mov_b32_e32 v10, s24
	s_xor_b32 exec_lo, exec_lo, s25
	s_cbranch_execz .LBB4_3138
.LBB4_3937:                             ;   in Loop: Header=BB4_2983 Depth=2
	v_cmp_ne_u16_e32 vcc_lo, 0, v11
	v_mov_b32_e32 v10, 0
	s_and_not1_b32 s7, s7, exec_lo
	s_and_b32 s24, vcc_lo, exec_lo
	s_delay_alu instid0(SALU_CYCLE_1)
	s_or_b32 s7, s7, s24
	s_or_b32 exec_lo, exec_lo, s25
	s_and_saveexec_b32 s24, s7
	s_cbranch_execnz .LBB4_3139
	s_branch .LBB4_3140
.LBB4_3938:                             ;   in Loop: Header=BB4_2983 Depth=2
	s_mov_b32 s7, -1
	s_mov_b32 s26, exec_lo
                                        ; implicit-def: $sgpr24
	v_cmpx_eq_u16_e32 0x80, v10
; %bb.3939:                             ;   in Loop: Header=BB4_2983 Depth=2
	s_mov_b32 s24, 0x7f800001
	s_xor_b32 s7, exec_lo, -1
; %bb.3940:                             ;   in Loop: Header=BB4_2983 Depth=2
	s_or_b32 exec_lo, exec_lo, s26
	s_delay_alu instid0(SALU_CYCLE_1)
	s_and_b32 s7, s7, exec_lo
	s_or_saveexec_b32 s25, s25
	v_mov_b32_e32 v11, s24
	s_xor_b32 exec_lo, exec_lo, s25
	s_cbranch_execz .LBB4_3150
.LBB4_3941:                             ;   in Loop: Header=BB4_2983 Depth=2
	v_cmp_ne_u16_e32 vcc_lo, 0, v10
	v_mov_b32_e32 v11, 0
	s_and_not1_b32 s7, s7, exec_lo
	s_and_b32 s24, vcc_lo, exec_lo
	s_delay_alu instid0(SALU_CYCLE_1)
	s_or_b32 s7, s7, s24
	s_or_b32 exec_lo, exec_lo, s25
	s_and_saveexec_b32 s24, s7
	s_cbranch_execnz .LBB4_3151
	s_branch .LBB4_3152
.LBB4_3942:                             ;   in Loop: Header=BB4_2983 Depth=2
	s_mov_b32 s7, -1
	s_mov_b32 s26, exec_lo
                                        ; implicit-def: $sgpr24
	v_cmpx_eq_u16_e32 0x80, v12
; %bb.3943:                             ;   in Loop: Header=BB4_2983 Depth=2
	s_mov_b32 s24, 0x7f800001
	s_xor_b32 s7, exec_lo, -1
; %bb.3944:                             ;   in Loop: Header=BB4_2983 Depth=2
	s_or_b32 exec_lo, exec_lo, s26
	s_delay_alu instid0(SALU_CYCLE_1)
	s_and_b32 s7, s7, exec_lo
                                        ; implicit-def: $vgpr12
	s_or_saveexec_b32 s25, s25
	v_mov_b32_e32 v11, s24
	s_xor_b32 exec_lo, exec_lo, s25
	s_cbranch_execz .LBB4_3162
.LBB4_3945:                             ;   in Loop: Header=BB4_2983 Depth=2
	v_cmp_ne_u16_e32 vcc_lo, 0, v12
	v_mov_b32_e32 v11, 0
	s_and_not1_b32 s7, s7, exec_lo
	s_and_b32 s24, vcc_lo, exec_lo
	s_delay_alu instid0(SALU_CYCLE_1)
	s_or_b32 s7, s7, s24
	s_or_b32 exec_lo, exec_lo, s25
	s_and_saveexec_b32 s24, s7
	s_cbranch_execnz .LBB4_3163
	s_branch .LBB4_3164
.LBB4_3946:                             ;   in Loop: Header=BB4_2983 Depth=2
	s_mov_b32 s7, -1
	s_mov_b32 s26, exec_lo
                                        ; implicit-def: $sgpr24
	v_cmpx_eq_u16_e32 0x80, v10
; %bb.3947:                             ;   in Loop: Header=BB4_2983 Depth=2
	s_mov_b32 s24, 0x7f800001
	s_xor_b32 s7, exec_lo, -1
; %bb.3948:                             ;   in Loop: Header=BB4_2983 Depth=2
	s_or_b32 exec_lo, exec_lo, s26
	s_delay_alu instid0(SALU_CYCLE_1)
	s_and_b32 s7, s7, exec_lo
	s_or_saveexec_b32 s25, s25
	v_mov_b32_e32 v11, s24
	s_xor_b32 exec_lo, exec_lo, s25
	s_cbranch_execz .LBB4_3174
.LBB4_3949:                             ;   in Loop: Header=BB4_2983 Depth=2
	v_cmp_ne_u16_e32 vcc_lo, 0, v10
	v_mov_b32_e32 v11, 0
	s_and_not1_b32 s7, s7, exec_lo
	s_and_b32 s24, vcc_lo, exec_lo
	s_delay_alu instid0(SALU_CYCLE_1)
	s_or_b32 s7, s7, s24
	s_or_b32 exec_lo, exec_lo, s25
	s_and_saveexec_b32 s24, s7
	s_cbranch_execnz .LBB4_3175
	s_branch .LBB4_3176
.LBB4_3950:                             ;   in Loop: Header=BB4_2983 Depth=2
	s_mov_b32 s7, -1
	s_mov_b32 s26, exec_lo
                                        ; implicit-def: $sgpr24
	v_cmpx_eq_u16_e32 0x80, v15
; %bb.3951:                             ;   in Loop: Header=BB4_2983 Depth=2
	s_mov_b32 s24, 0x7f800001
	s_xor_b32 s7, exec_lo, -1
; %bb.3952:                             ;   in Loop: Header=BB4_2983 Depth=2
	s_or_b32 exec_lo, exec_lo, s26
	s_delay_alu instid0(SALU_CYCLE_1)
	s_and_b32 s7, s7, exec_lo
                                        ; implicit-def: $vgpr15
	s_or_saveexec_b32 s25, s25
	v_mov_b32_e32 v14, s24
	s_xor_b32 exec_lo, exec_lo, s25
	s_cbranch_execz .LBB4_3186
.LBB4_3953:                             ;   in Loop: Header=BB4_2983 Depth=2
	v_cmp_ne_u16_e32 vcc_lo, 0, v15
	v_mov_b32_e32 v14, 0
	s_and_not1_b32 s7, s7, exec_lo
	s_and_b32 s24, vcc_lo, exec_lo
	s_delay_alu instid0(SALU_CYCLE_1)
	s_or_b32 s7, s7, s24
	s_or_b32 exec_lo, exec_lo, s25
	s_and_saveexec_b32 s24, s7
	s_cbranch_execnz .LBB4_3187
	s_branch .LBB4_3188
.LBB4_3954:                             ;   in Loop: Header=BB4_2983 Depth=2
	s_mov_b32 s7, -1
	s_mov_b32 s26, exec_lo
                                        ; implicit-def: $sgpr24
	v_cmpx_eq_u16_e32 0x80, v14
; %bb.3955:                             ;   in Loop: Header=BB4_2983 Depth=2
	s_mov_b32 s24, 0x7f800001
	s_xor_b32 s7, exec_lo, -1
; %bb.3956:                             ;   in Loop: Header=BB4_2983 Depth=2
	s_or_b32 exec_lo, exec_lo, s26
	s_delay_alu instid0(SALU_CYCLE_1)
	s_and_b32 s7, s7, exec_lo
	s_or_saveexec_b32 s25, s25
	v_mov_b32_e32 v15, s24
	s_xor_b32 exec_lo, exec_lo, s25
	s_cbranch_execz .LBB4_3198
.LBB4_3957:                             ;   in Loop: Header=BB4_2983 Depth=2
	v_cmp_ne_u16_e32 vcc_lo, 0, v14
	v_mov_b32_e32 v15, 0
	s_and_not1_b32 s7, s7, exec_lo
	s_and_b32 s24, vcc_lo, exec_lo
	s_delay_alu instid0(SALU_CYCLE_1)
	s_or_b32 s7, s7, s24
	s_or_b32 exec_lo, exec_lo, s25
	s_and_saveexec_b32 s24, s7
	s_cbranch_execnz .LBB4_3199
	s_branch .LBB4_3200
.LBB4_3958:                             ;   in Loop: Header=BB4_2983 Depth=2
	s_mov_b32 s7, -1
	s_mov_b32 s26, exec_lo
                                        ; implicit-def: $sgpr24
	v_cmpx_eq_u16_e32 0x80, v16
; %bb.3959:                             ;   in Loop: Header=BB4_2983 Depth=2
	s_mov_b32 s24, 0x7f800001
	s_xor_b32 s7, exec_lo, -1
; %bb.3960:                             ;   in Loop: Header=BB4_2983 Depth=2
	s_or_b32 exec_lo, exec_lo, s26
	s_delay_alu instid0(SALU_CYCLE_1)
	s_and_b32 s7, s7, exec_lo
                                        ; implicit-def: $vgpr16
	s_or_saveexec_b32 s25, s25
	v_mov_b32_e32 v15, s24
	s_xor_b32 exec_lo, exec_lo, s25
	s_cbranch_execz .LBB4_3210
.LBB4_3961:                             ;   in Loop: Header=BB4_2983 Depth=2
	v_cmp_ne_u16_e32 vcc_lo, 0, v16
	v_mov_b32_e32 v15, 0
	s_and_not1_b32 s7, s7, exec_lo
	s_and_b32 s24, vcc_lo, exec_lo
	s_delay_alu instid0(SALU_CYCLE_1)
	s_or_b32 s7, s7, s24
	s_or_b32 exec_lo, exec_lo, s25
	s_and_saveexec_b32 s24, s7
	s_cbranch_execnz .LBB4_3211
	s_branch .LBB4_3212
.LBB4_3962:                             ;   in Loop: Header=BB4_2983 Depth=2
	s_mov_b32 s7, -1
	s_mov_b32 s26, exec_lo
                                        ; implicit-def: $sgpr24
	v_cmpx_eq_u16_e32 0x80, v14
; %bb.3963:                             ;   in Loop: Header=BB4_2983 Depth=2
	s_mov_b32 s24, 0x7f800001
	s_xor_b32 s7, exec_lo, -1
; %bb.3964:                             ;   in Loop: Header=BB4_2983 Depth=2
	s_or_b32 exec_lo, exec_lo, s26
	s_delay_alu instid0(SALU_CYCLE_1)
	s_and_b32 s7, s7, exec_lo
	s_or_saveexec_b32 s25, s25
	v_mov_b32_e32 v15, s24
	s_xor_b32 exec_lo, exec_lo, s25
	s_cbranch_execz .LBB4_3222
.LBB4_3965:                             ;   in Loop: Header=BB4_2983 Depth=2
	v_cmp_ne_u16_e32 vcc_lo, 0, v14
	v_mov_b32_e32 v15, 0
	s_and_not1_b32 s7, s7, exec_lo
	s_and_b32 s24, vcc_lo, exec_lo
	s_delay_alu instid0(SALU_CYCLE_1)
	s_or_b32 s7, s7, s24
	s_or_b32 exec_lo, exec_lo, s25
	s_and_saveexec_b32 s24, s7
	s_cbranch_execnz .LBB4_3223
	s_branch .LBB4_3224
.LBB4_3966:                             ;   in Loop: Header=BB4_2983 Depth=2
	s_mov_b32 s7, -1
	s_mov_b32 s26, exec_lo
                                        ; implicit-def: $sgpr24
	v_cmpx_eq_u16_e32 0x80, v14
; %bb.3967:                             ;   in Loop: Header=BB4_2983 Depth=2
	s_mov_b32 s24, 0x7f800001
	s_xor_b32 s7, exec_lo, -1
; %bb.3968:                             ;   in Loop: Header=BB4_2983 Depth=2
	s_or_b32 exec_lo, exec_lo, s26
	s_delay_alu instid0(SALU_CYCLE_1)
	s_and_b32 s7, s7, exec_lo
                                        ; implicit-def: $vgpr14
	s_or_saveexec_b32 s25, s25
	v_mov_b32_e32 v10, s24
	s_xor_b32 exec_lo, exec_lo, s25
	s_cbranch_execz .LBB4_3234
.LBB4_3969:                             ;   in Loop: Header=BB4_2983 Depth=2
	v_cmp_ne_u16_e32 vcc_lo, 0, v14
	v_mov_b32_e32 v10, 0
	s_and_not1_b32 s7, s7, exec_lo
	s_and_b32 s24, vcc_lo, exec_lo
	s_delay_alu instid0(SALU_CYCLE_1)
	s_or_b32 s7, s7, s24
	s_or_b32 exec_lo, exec_lo, s25
	s_and_saveexec_b32 s24, s7
	s_cbranch_execnz .LBB4_3235
	s_branch .LBB4_3236
.LBB4_3970:                             ;   in Loop: Header=BB4_2983 Depth=2
	s_mov_b32 s7, -1
	s_mov_b32 s26, exec_lo
                                        ; implicit-def: $sgpr24
	v_cmpx_eq_u16_e32 0x80, v10
; %bb.3971:                             ;   in Loop: Header=BB4_2983 Depth=2
	s_mov_b32 s24, 0x7f800001
	s_xor_b32 s7, exec_lo, -1
; %bb.3972:                             ;   in Loop: Header=BB4_2983 Depth=2
	s_or_b32 exec_lo, exec_lo, s26
	s_delay_alu instid0(SALU_CYCLE_1)
	s_and_b32 s7, s7, exec_lo
	s_or_saveexec_b32 s25, s25
	v_mov_b32_e32 v14, s24
	s_xor_b32 exec_lo, exec_lo, s25
	s_cbranch_execz .LBB4_3246
.LBB4_3973:                             ;   in Loop: Header=BB4_2983 Depth=2
	v_cmp_ne_u16_e32 vcc_lo, 0, v10
	v_mov_b32_e32 v14, 0
	s_and_not1_b32 s7, s7, exec_lo
	s_and_b32 s24, vcc_lo, exec_lo
	s_delay_alu instid0(SALU_CYCLE_1)
	s_or_b32 s7, s7, s24
	s_or_b32 exec_lo, exec_lo, s25
	s_and_saveexec_b32 s24, s7
	s_cbranch_execnz .LBB4_3247
	s_branch .LBB4_3248
.LBB4_3974:                             ;   in Loop: Header=BB4_2983 Depth=2
	s_mov_b32 s7, -1
	s_mov_b32 s26, exec_lo
                                        ; implicit-def: $sgpr24
	v_cmpx_eq_u16_e32 0x80, v15
; %bb.3975:                             ;   in Loop: Header=BB4_2983 Depth=2
	s_mov_b32 s24, 0x7f800001
	s_xor_b32 s7, exec_lo, -1
; %bb.3976:                             ;   in Loop: Header=BB4_2983 Depth=2
	s_or_b32 exec_lo, exec_lo, s26
	s_delay_alu instid0(SALU_CYCLE_1)
	s_and_b32 s7, s7, exec_lo
                                        ; implicit-def: $vgpr15
	s_or_saveexec_b32 s25, s25
	v_mov_b32_e32 v14, s24
	s_xor_b32 exec_lo, exec_lo, s25
	s_cbranch_execz .LBB4_3258
.LBB4_3977:                             ;   in Loop: Header=BB4_2983 Depth=2
	v_cmp_ne_u16_e32 vcc_lo, 0, v15
	v_mov_b32_e32 v14, 0
	s_and_not1_b32 s7, s7, exec_lo
	s_and_b32 s24, vcc_lo, exec_lo
	s_delay_alu instid0(SALU_CYCLE_1)
	s_or_b32 s7, s7, s24
	s_or_b32 exec_lo, exec_lo, s25
	s_and_saveexec_b32 s24, s7
	s_cbranch_execnz .LBB4_3259
	s_branch .LBB4_3260
.LBB4_3978:                             ;   in Loop: Header=BB4_2983 Depth=2
	s_mov_b32 s7, -1
	s_mov_b32 s26, exec_lo
                                        ; implicit-def: $sgpr24
	v_cmpx_eq_u16_e32 0x80, v10
; %bb.3979:                             ;   in Loop: Header=BB4_2983 Depth=2
	s_mov_b32 s24, 0x7f800001
	s_xor_b32 s7, exec_lo, -1
; %bb.3980:                             ;   in Loop: Header=BB4_2983 Depth=2
	s_or_b32 exec_lo, exec_lo, s26
	s_delay_alu instid0(SALU_CYCLE_1)
	s_and_b32 s7, s7, exec_lo
	s_or_saveexec_b32 s25, s25
	v_mov_b32_e32 v14, s24
	s_xor_b32 exec_lo, exec_lo, s25
	s_cbranch_execz .LBB4_3270
.LBB4_3981:                             ;   in Loop: Header=BB4_2983 Depth=2
	v_cmp_ne_u16_e32 vcc_lo, 0, v10
	v_mov_b32_e32 v14, 0
	s_and_not1_b32 s7, s7, exec_lo
	s_and_b32 s24, vcc_lo, exec_lo
	s_delay_alu instid0(SALU_CYCLE_1)
	s_or_b32 s7, s7, s24
	s_or_b32 exec_lo, exec_lo, s25
	s_and_saveexec_b32 s24, s7
	s_cbranch_execnz .LBB4_3271
	s_branch .LBB4_3272
.LBB4_3982:                             ;   in Loop: Header=BB4_2983 Depth=2
	s_mov_b32 s7, -1
	s_mov_b32 s26, exec_lo
                                        ; implicit-def: $sgpr24
	v_cmpx_eq_u16_e32 0x80, v11
; %bb.3983:                             ;   in Loop: Header=BB4_2983 Depth=2
	s_mov_b32 s24, 0x7f800001
	s_xor_b32 s7, exec_lo, -1
; %bb.3984:                             ;   in Loop: Header=BB4_2983 Depth=2
	s_or_b32 exec_lo, exec_lo, s26
	s_delay_alu instid0(SALU_CYCLE_1)
	s_and_b32 s7, s7, exec_lo
                                        ; implicit-def: $vgpr11
	s_or_saveexec_b32 s25, s25
	v_mov_b32_e32 v10, s24
	s_xor_b32 exec_lo, exec_lo, s25
	s_cbranch_execz .LBB4_3282
.LBB4_3985:                             ;   in Loop: Header=BB4_2983 Depth=2
	v_cmp_ne_u16_e32 vcc_lo, 0, v11
	v_mov_b32_e32 v10, 0
	s_and_not1_b32 s7, s7, exec_lo
	s_and_b32 s24, vcc_lo, exec_lo
	s_delay_alu instid0(SALU_CYCLE_1)
	s_or_b32 s7, s7, s24
	s_or_b32 exec_lo, exec_lo, s25
	s_and_saveexec_b32 s24, s7
	s_cbranch_execnz .LBB4_3283
	s_branch .LBB4_3284
.LBB4_3986:                             ;   in Loop: Header=BB4_2983 Depth=2
	s_mov_b32 s7, -1
	s_mov_b32 s26, exec_lo
                                        ; implicit-def: $sgpr24
	v_cmpx_eq_u16_e32 0x80, v10
; %bb.3987:                             ;   in Loop: Header=BB4_2983 Depth=2
	s_mov_b32 s24, 0x7f800001
	s_xor_b32 s7, exec_lo, -1
; %bb.3988:                             ;   in Loop: Header=BB4_2983 Depth=2
	s_or_b32 exec_lo, exec_lo, s26
	s_delay_alu instid0(SALU_CYCLE_1)
	s_and_b32 s7, s7, exec_lo
	s_or_saveexec_b32 s25, s25
	v_mov_b32_e32 v11, s24
	s_xor_b32 exec_lo, exec_lo, s25
	s_cbranch_execz .LBB4_3294
.LBB4_3989:                             ;   in Loop: Header=BB4_2983 Depth=2
	v_cmp_ne_u16_e32 vcc_lo, 0, v10
	v_mov_b32_e32 v11, 0
	s_and_not1_b32 s7, s7, exec_lo
	s_and_b32 s24, vcc_lo, exec_lo
	s_delay_alu instid0(SALU_CYCLE_1)
	s_or_b32 s7, s7, s24
	s_or_b32 exec_lo, exec_lo, s25
	s_and_saveexec_b32 s24, s7
	s_cbranch_execnz .LBB4_3295
	s_branch .LBB4_3296
.LBB4_3990:                             ;   in Loop: Header=BB4_2983 Depth=2
	s_mov_b32 s7, -1
	s_mov_b32 s26, exec_lo
                                        ; implicit-def: $sgpr24
	v_cmpx_eq_u16_e32 0x80, v14
; %bb.3991:                             ;   in Loop: Header=BB4_2983 Depth=2
	s_mov_b32 s24, 0x7f800001
	s_xor_b32 s7, exec_lo, -1
; %bb.3992:                             ;   in Loop: Header=BB4_2983 Depth=2
	s_or_b32 exec_lo, exec_lo, s26
	s_delay_alu instid0(SALU_CYCLE_1)
	s_and_b32 s7, s7, exec_lo
                                        ; implicit-def: $vgpr14
	s_or_saveexec_b32 s25, s25
	v_mov_b32_e32 v11, s24
	s_xor_b32 exec_lo, exec_lo, s25
	s_cbranch_execz .LBB4_3306
.LBB4_3993:                             ;   in Loop: Header=BB4_2983 Depth=2
	v_cmp_ne_u16_e32 vcc_lo, 0, v14
	v_mov_b32_e32 v11, 0
	s_and_not1_b32 s7, s7, exec_lo
	s_and_b32 s24, vcc_lo, exec_lo
	s_delay_alu instid0(SALU_CYCLE_1)
	s_or_b32 s7, s7, s24
	s_or_b32 exec_lo, exec_lo, s25
	s_and_saveexec_b32 s24, s7
	s_cbranch_execnz .LBB4_3307
	s_branch .LBB4_3308
.LBB4_3994:                             ;   in Loop: Header=BB4_2983 Depth=2
	s_mov_b32 s7, -1
	s_mov_b32 s26, exec_lo
                                        ; implicit-def: $sgpr24
	v_cmpx_eq_u16_e32 0x80, v10
; %bb.3995:                             ;   in Loop: Header=BB4_2983 Depth=2
	s_mov_b32 s24, 0x7f800001
	s_xor_b32 s7, exec_lo, -1
; %bb.3996:                             ;   in Loop: Header=BB4_2983 Depth=2
	s_or_b32 exec_lo, exec_lo, s26
	s_delay_alu instid0(SALU_CYCLE_1)
	s_and_b32 s7, s7, exec_lo
	s_or_saveexec_b32 s25, s25
	v_mov_b32_e32 v11, s24
	s_xor_b32 exec_lo, exec_lo, s25
	s_cbranch_execz .LBB4_3318
.LBB4_3997:                             ;   in Loop: Header=BB4_2983 Depth=2
	v_cmp_ne_u16_e32 vcc_lo, 0, v10
	v_mov_b32_e32 v11, 0
	s_and_not1_b32 s7, s7, exec_lo
	s_and_b32 s24, vcc_lo, exec_lo
	s_delay_alu instid0(SALU_CYCLE_1)
	s_or_b32 s7, s7, s24
	s_or_b32 exec_lo, exec_lo, s25
	s_and_saveexec_b32 s24, s7
	s_cbranch_execnz .LBB4_3319
	s_branch .LBB4_3320
.LBB4_3998:                             ;   in Loop: Header=BB4_2983 Depth=2
	s_mov_b32 s7, -1
	s_mov_b32 s26, exec_lo
                                        ; implicit-def: $sgpr24
	v_cmpx_eq_u16_e32 0x80, v11
; %bb.3999:                             ;   in Loop: Header=BB4_2983 Depth=2
	s_mov_b32 s24, 0x7f800001
	s_xor_b32 s7, exec_lo, -1
; %bb.4000:                             ;   in Loop: Header=BB4_2983 Depth=2
	s_or_b32 exec_lo, exec_lo, s26
	s_delay_alu instid0(SALU_CYCLE_1)
	s_and_b32 s7, s7, exec_lo
                                        ; implicit-def: $vgpr11
	s_or_saveexec_b32 s25, s25
	v_mov_b32_e32 v10, s24
	s_xor_b32 exec_lo, exec_lo, s25
	s_cbranch_execz .LBB4_3330
.LBB4_4001:                             ;   in Loop: Header=BB4_2983 Depth=2
	v_cmp_ne_u16_e32 vcc_lo, 0, v11
	v_mov_b32_e32 v10, 0
	s_and_not1_b32 s7, s7, exec_lo
	s_and_b32 s24, vcc_lo, exec_lo
	s_delay_alu instid0(SALU_CYCLE_1)
	s_or_b32 s7, s7, s24
	s_or_b32 exec_lo, exec_lo, s25
	s_and_saveexec_b32 s24, s7
	s_cbranch_execnz .LBB4_3331
	s_branch .LBB4_3332
.LBB4_4002:                             ;   in Loop: Header=BB4_2983 Depth=2
	s_mov_b32 s7, -1
	s_mov_b32 s26, exec_lo
                                        ; implicit-def: $sgpr24
	v_cmpx_eq_u16_e32 0x80, v10
; %bb.4003:                             ;   in Loop: Header=BB4_2983 Depth=2
	s_mov_b32 s24, 0x7f800001
	s_xor_b32 s7, exec_lo, -1
; %bb.4004:                             ;   in Loop: Header=BB4_2983 Depth=2
	s_or_b32 exec_lo, exec_lo, s26
	s_delay_alu instid0(SALU_CYCLE_1)
	s_and_b32 s7, s7, exec_lo
	s_or_saveexec_b32 s25, s25
	v_mov_b32_e32 v11, s24
	s_xor_b32 exec_lo, exec_lo, s25
	s_cbranch_execz .LBB4_3342
.LBB4_4005:                             ;   in Loop: Header=BB4_2983 Depth=2
	v_cmp_ne_u16_e32 vcc_lo, 0, v10
	v_mov_b32_e32 v11, 0
	s_and_not1_b32 s7, s7, exec_lo
	s_and_b32 s24, vcc_lo, exec_lo
	s_delay_alu instid0(SALU_CYCLE_1)
	s_or_b32 s7, s7, s24
	s_or_b32 exec_lo, exec_lo, s25
	s_and_saveexec_b32 s24, s7
	s_cbranch_execnz .LBB4_3343
	s_branch .LBB4_3344
.LBB4_4006:                             ;   in Loop: Header=BB4_2983 Depth=2
	s_mov_b32 s7, -1
	s_mov_b32 s26, exec_lo
                                        ; implicit-def: $sgpr24
	v_cmpx_eq_u16_e32 0x80, v12
; %bb.4007:                             ;   in Loop: Header=BB4_2983 Depth=2
	s_mov_b32 s24, 0x7f800001
	s_xor_b32 s7, exec_lo, -1
; %bb.4008:                             ;   in Loop: Header=BB4_2983 Depth=2
	s_or_b32 exec_lo, exec_lo, s26
	s_delay_alu instid0(SALU_CYCLE_1)
	s_and_b32 s7, s7, exec_lo
                                        ; implicit-def: $vgpr12
	s_or_saveexec_b32 s25, s25
	v_mov_b32_e32 v11, s24
	s_xor_b32 exec_lo, exec_lo, s25
	s_cbranch_execz .LBB4_3354
.LBB4_4009:                             ;   in Loop: Header=BB4_2983 Depth=2
	v_cmp_ne_u16_e32 vcc_lo, 0, v12
	v_mov_b32_e32 v11, 0
	s_and_not1_b32 s7, s7, exec_lo
	s_and_b32 s24, vcc_lo, exec_lo
	s_delay_alu instid0(SALU_CYCLE_1)
	s_or_b32 s7, s7, s24
	s_or_b32 exec_lo, exec_lo, s25
	s_and_saveexec_b32 s24, s7
	s_cbranch_execnz .LBB4_3355
	s_branch .LBB4_3356
.LBB4_4010:                             ;   in Loop: Header=BB4_2983 Depth=2
	s_mov_b32 s7, -1
	s_mov_b32 s26, exec_lo
                                        ; implicit-def: $sgpr24
	v_cmpx_eq_u16_e32 0x80, v10
; %bb.4011:                             ;   in Loop: Header=BB4_2983 Depth=2
	s_mov_b32 s24, 0x7f800001
	s_xor_b32 s7, exec_lo, -1
; %bb.4012:                             ;   in Loop: Header=BB4_2983 Depth=2
	s_or_b32 exec_lo, exec_lo, s26
	s_delay_alu instid0(SALU_CYCLE_1)
	s_and_b32 s7, s7, exec_lo
	s_or_saveexec_b32 s25, s25
	v_mov_b32_e32 v11, s24
	s_xor_b32 exec_lo, exec_lo, s25
	s_cbranch_execz .LBB4_3366
.LBB4_4013:                             ;   in Loop: Header=BB4_2983 Depth=2
	v_cmp_ne_u16_e32 vcc_lo, 0, v10
	v_mov_b32_e32 v11, 0
	s_and_not1_b32 s7, s7, exec_lo
	s_and_b32 s24, vcc_lo, exec_lo
	s_delay_alu instid0(SALU_CYCLE_1)
	s_or_b32 s7, s7, s24
	s_or_b32 exec_lo, exec_lo, s25
	s_and_saveexec_b32 s24, s7
	s_cbranch_execnz .LBB4_3367
	s_branch .LBB4_3368
.LBB4_4014:                             ;   in Loop: Header=BB4_2983 Depth=2
	s_mov_b32 s7, -1
	s_mov_b32 s25, exec_lo
                                        ; implicit-def: $sgpr23
	v_cmpx_eq_u16_e64 0x80, v160
; %bb.4015:                             ;   in Loop: Header=BB4_2983 Depth=2
	s_mov_b32 s23, 0x7f800001
	s_xor_b32 s7, exec_lo, -1
; %bb.4016:                             ;   in Loop: Header=BB4_2983 Depth=2
	s_or_b32 exec_lo, exec_lo, s25
	s_delay_alu instid0(SALU_CYCLE_1)
	s_and_b32 s7, s7, exec_lo
                                        ; implicit-def: $vgpr160
	s_or_saveexec_b32 s24, s24
	v_mov_b32_e32 v151, s23
	s_xor_b32 exec_lo, exec_lo, s24
	s_cbranch_execz .LBB4_3378
.LBB4_4017:                             ;   in Loop: Header=BB4_2983 Depth=2
	v_cmp_ne_u16_e64 vcc_lo, 0, v160
	v_mov_b32_e32 v151, 0
	s_and_not1_b32 s7, s7, exec_lo
	s_delay_alu instid0(VALU_DEP_2) | instskip(NEXT) | instid1(SALU_CYCLE_1)
	s_and_b32 s23, vcc_lo, exec_lo
	s_or_b32 s7, s7, s23
	s_or_b32 exec_lo, exec_lo, s24
	s_and_saveexec_b32 s23, s7
	s_cbranch_execnz .LBB4_3379
	s_branch .LBB4_3380
.LBB4_4018:                             ;   in Loop: Header=BB4_2983 Depth=2
	s_mov_b32 s7, -1
	s_mov_b32 s25, exec_lo
                                        ; implicit-def: $sgpr23
	v_cmpx_eq_u16_e64 0x80, v160
; %bb.4019:                             ;   in Loop: Header=BB4_2983 Depth=2
	s_mov_b32 s23, 0x7f800001
	s_xor_b32 s7, exec_lo, -1
; %bb.4020:                             ;   in Loop: Header=BB4_2983 Depth=2
	s_or_b32 exec_lo, exec_lo, s25
	s_delay_alu instid0(SALU_CYCLE_1)
	s_and_b32 s7, s7, exec_lo
                                        ; implicit-def: $vgpr160
	s_or_saveexec_b32 s24, s24
	v_mov_b32_e32 v87, s23
	s_xor_b32 exec_lo, exec_lo, s24
	s_cbranch_execz .LBB4_3382
.LBB4_4021:                             ;   in Loop: Header=BB4_2983 Depth=2
	v_cmp_ne_u16_e64 vcc_lo, 0, v160
	v_mov_b32_e32 v87, 0
	s_and_not1_b32 s7, s7, exec_lo
	s_delay_alu instid0(VALU_DEP_2) | instskip(NEXT) | instid1(SALU_CYCLE_1)
	s_and_b32 s23, vcc_lo, exec_lo
	s_or_b32 s7, s7, s23
	s_or_b32 exec_lo, exec_lo, s24
	s_and_saveexec_b32 s23, s7
	s_cbranch_execnz .LBB4_3383
	s_branch .LBB4_3384
.LBB4_4022:                             ;   in Loop: Header=BB4_2983 Depth=2
	s_mov_b32 s7, -1
	s_mov_b32 s25, exec_lo
                                        ; implicit-def: $sgpr23
	v_cmpx_eq_u16_e64 0x80, v160
; %bb.4023:                             ;   in Loop: Header=BB4_2983 Depth=2
	s_mov_b32 s23, 0x7f800001
	s_xor_b32 s7, exec_lo, -1
; %bb.4024:                             ;   in Loop: Header=BB4_2983 Depth=2
	s_or_b32 exec_lo, exec_lo, s25
	s_delay_alu instid0(SALU_CYCLE_1)
	s_and_b32 s7, s7, exec_lo
                                        ; implicit-def: $vgpr160
	s_or_saveexec_b32 s24, s24
	v_mov_b32_e32 v151, s23
	s_xor_b32 exec_lo, exec_lo, s24
	s_cbranch_execz .LBB4_3394
.LBB4_4025:                             ;   in Loop: Header=BB4_2983 Depth=2
	v_cmp_ne_u16_e64 vcc_lo, 0, v160
	v_mov_b32_e32 v151, 0
	s_and_not1_b32 s7, s7, exec_lo
	s_delay_alu instid0(VALU_DEP_2) | instskip(NEXT) | instid1(SALU_CYCLE_1)
	s_and_b32 s23, vcc_lo, exec_lo
	s_or_b32 s7, s7, s23
	s_or_b32 exec_lo, exec_lo, s24
	s_and_saveexec_b32 s23, s7
	s_cbranch_execnz .LBB4_3395
	s_branch .LBB4_3396
.LBB4_4026:                             ;   in Loop: Header=BB4_2983 Depth=2
	s_mov_b32 s7, -1
	s_mov_b32 s25, exec_lo
                                        ; implicit-def: $sgpr23
	v_cmpx_eq_u16_e32 0x80, v99
; %bb.4027:                             ;   in Loop: Header=BB4_2983 Depth=2
	s_mov_b32 s23, 0x7f800001
	s_xor_b32 s7, exec_lo, -1
; %bb.4028:                             ;   in Loop: Header=BB4_2983 Depth=2
	s_or_b32 exec_lo, exec_lo, s25
	s_delay_alu instid0(SALU_CYCLE_1)
	s_and_b32 s7, s7, exec_lo
	s_or_saveexec_b32 s24, s24
	v_mov_b32_e32 v160, s23
	s_xor_b32 exec_lo, exec_lo, s24
	s_cbranch_execz .LBB4_3398
.LBB4_4029:                             ;   in Loop: Header=BB4_2983 Depth=2
	v_cmp_ne_u16_e32 vcc_lo, 0, v99
	v_mov_b32_e32 v160, 0
	s_and_not1_b32 s7, s7, exec_lo
	s_and_b32 s23, vcc_lo, exec_lo
	s_delay_alu instid0(SALU_CYCLE_1)
	s_or_b32 s7, s7, s23
	s_or_b32 exec_lo, exec_lo, s24
	s_and_saveexec_b32 s23, s7
	s_cbranch_execnz .LBB4_3399
	s_branch .LBB4_3400
.LBB4_4030:                             ;   in Loop: Header=BB4_2983 Depth=2
	s_mov_b32 s7, -1
	s_mov_b32 s25, exec_lo
                                        ; implicit-def: $sgpr23
	v_cmpx_eq_u16_e64 0x80, v160
; %bb.4031:                             ;   in Loop: Header=BB4_2983 Depth=2
	s_mov_b32 s23, 0x7f800001
	s_xor_b32 s7, exec_lo, -1
; %bb.4032:                             ;   in Loop: Header=BB4_2983 Depth=2
	s_or_b32 exec_lo, exec_lo, s25
	s_delay_alu instid0(SALU_CYCLE_1)
	s_and_b32 s7, s7, exec_lo
                                        ; implicit-def: $vgpr160
	s_or_saveexec_b32 s24, s24
	v_mov_b32_e32 v151, s23
	s_xor_b32 exec_lo, exec_lo, s24
	s_cbranch_execz .LBB4_3410
.LBB4_4033:                             ;   in Loop: Header=BB4_2983 Depth=2
	v_cmp_ne_u16_e64 vcc_lo, 0, v160
	v_mov_b32_e32 v151, 0
	s_and_not1_b32 s7, s7, exec_lo
	s_delay_alu instid0(VALU_DEP_2) | instskip(NEXT) | instid1(SALU_CYCLE_1)
	s_and_b32 s23, vcc_lo, exec_lo
	s_or_b32 s7, s7, s23
	s_or_b32 exec_lo, exec_lo, s24
	s_and_saveexec_b32 s23, s7
	s_cbranch_execnz .LBB4_3411
	s_branch .LBB4_3412
.LBB4_4034:                             ;   in Loop: Header=BB4_2983 Depth=2
	s_mov_b32 s7, -1
	s_mov_b32 s25, exec_lo
                                        ; implicit-def: $sgpr23
	v_cmpx_eq_u16_e64 0x80, v161
; %bb.4035:                             ;   in Loop: Header=BB4_2983 Depth=2
	s_mov_b32 s23, 0x7f800001
	s_xor_b32 s7, exec_lo, -1
; %bb.4036:                             ;   in Loop: Header=BB4_2983 Depth=2
	s_or_b32 exec_lo, exec_lo, s25
	s_delay_alu instid0(SALU_CYCLE_1)
	s_and_b32 s7, s7, exec_lo
                                        ; implicit-def: $vgpr161
	s_or_saveexec_b32 s24, s24
	v_mov_b32_e32 v160, s23
	s_xor_b32 exec_lo, exec_lo, s24
	s_cbranch_execz .LBB4_3414
.LBB4_4037:                             ;   in Loop: Header=BB4_2983 Depth=2
	v_cmp_ne_u16_e64 vcc_lo, 0, v161
	v_mov_b32_e32 v160, 0
	s_and_not1_b32 s7, s7, exec_lo
	s_delay_alu instid0(VALU_DEP_2) | instskip(NEXT) | instid1(SALU_CYCLE_1)
	s_and_b32 s23, vcc_lo, exec_lo
	s_or_b32 s7, s7, s23
	s_or_b32 exec_lo, exec_lo, s24
	s_and_saveexec_b32 s23, s7
	s_cbranch_execnz .LBB4_3415
	s_branch .LBB4_3416
.LBB4_4038:                             ;   in Loop: Header=BB4_2983 Depth=2
	s_mov_b32 s7, -1
	s_mov_b32 s25, exec_lo
                                        ; implicit-def: $sgpr23
	v_cmpx_eq_u16_e64 0x80, v160
; %bb.4039:                             ;   in Loop: Header=BB4_2983 Depth=2
	s_mov_b32 s23, 0x7f800001
	s_xor_b32 s7, exec_lo, -1
; %bb.4040:                             ;   in Loop: Header=BB4_2983 Depth=2
	s_or_b32 exec_lo, exec_lo, s25
	s_delay_alu instid0(SALU_CYCLE_1)
	s_and_b32 s7, s7, exec_lo
	s_or_saveexec_b32 s24, s24
	v_mov_b32_e32 v151, s23
	s_xor_b32 exec_lo, exec_lo, s24
	s_cbranch_execz .LBB4_3426
.LBB4_4041:                             ;   in Loop: Header=BB4_2983 Depth=2
	v_cmp_ne_u16_e64 vcc_lo, 0, v160
	v_mov_b32_e32 v151, 0
	s_and_not1_b32 s7, s7, exec_lo
	s_delay_alu instid0(VALU_DEP_2) | instskip(NEXT) | instid1(SALU_CYCLE_1)
	s_and_b32 s23, vcc_lo, exec_lo
	s_or_b32 s7, s7, s23
	s_or_b32 exec_lo, exec_lo, s24
	s_and_saveexec_b32 s23, s7
	s_cbranch_execnz .LBB4_3427
	s_branch .LBB4_3428
.LBB4_4042:                             ;   in Loop: Header=BB4_2983 Depth=2
	s_mov_b32 s7, -1
	s_mov_b32 s25, exec_lo
                                        ; implicit-def: $sgpr23
	v_cmpx_eq_u16_e64 0x80, v131
; %bb.4043:                             ;   in Loop: Header=BB4_2983 Depth=2
	s_mov_b32 s23, 0x7f800001
	s_xor_b32 s7, exec_lo, -1
; %bb.4044:                             ;   in Loop: Header=BB4_2983 Depth=2
	s_or_b32 exec_lo, exec_lo, s25
	s_delay_alu instid0(SALU_CYCLE_1)
	s_and_b32 s7, s7, exec_lo
	s_or_saveexec_b32 s24, s24
	v_mov_b32_e32 v160, s23
	s_xor_b32 exec_lo, exec_lo, s24
	s_cbranch_execz .LBB4_3430
.LBB4_4045:                             ;   in Loop: Header=BB4_2983 Depth=2
	v_cmp_ne_u16_e64 vcc_lo, 0, v131
	v_mov_b32_e32 v160, 0
	s_and_not1_b32 s7, s7, exec_lo
	s_delay_alu instid0(VALU_DEP_2) | instskip(NEXT) | instid1(SALU_CYCLE_1)
	s_and_b32 s23, vcc_lo, exec_lo
	s_or_b32 s7, s7, s23
	s_or_b32 exec_lo, exec_lo, s24
	s_and_saveexec_b32 s23, s7
	s_cbranch_execnz .LBB4_3431
	s_branch .LBB4_3432
.LBB4_4046:                             ;   in Loop: Header=BB4_2983 Depth=2
	s_mov_b32 s7, -1
	s_mov_b32 s25, exec_lo
                                        ; implicit-def: $sgpr23
	v_cmpx_eq_u16_e64 0x80, v131
; %bb.4047:                             ;   in Loop: Header=BB4_2983 Depth=2
	s_mov_b32 s23, 0x7f800001
	s_xor_b32 s7, exec_lo, -1
; %bb.4048:                             ;   in Loop: Header=BB4_2983 Depth=2
	s_or_b32 exec_lo, exec_lo, s25
	s_delay_alu instid0(SALU_CYCLE_1)
	s_and_b32 s7, s7, exec_lo
                                        ; implicit-def: $vgpr131
	s_or_saveexec_b32 s24, s24
	v_mov_b32_e32 v128, s23
	s_xor_b32 exec_lo, exec_lo, s24
	s_cbranch_execz .LBB4_3442
.LBB4_4049:                             ;   in Loop: Header=BB4_2983 Depth=2
	v_cmp_ne_u16_e64 vcc_lo, 0, v131
	v_mov_b32_e32 v128, 0
	s_and_not1_b32 s7, s7, exec_lo
	s_delay_alu instid0(VALU_DEP_2) | instskip(NEXT) | instid1(SALU_CYCLE_1)
	s_and_b32 s23, vcc_lo, exec_lo
	s_or_b32 s7, s7, s23
	s_or_b32 exec_lo, exec_lo, s24
	s_and_saveexec_b32 s23, s7
	s_cbranch_execnz .LBB4_3443
	s_branch .LBB4_3444
.LBB4_4050:                             ;   in Loop: Header=BB4_2983 Depth=2
	s_mov_b32 s7, -1
	s_mov_b32 s25, exec_lo
                                        ; implicit-def: $sgpr23
	v_cmpx_eq_u16_e64 0x80, v151
; %bb.4051:                             ;   in Loop: Header=BB4_2983 Depth=2
	s_mov_b32 s23, 0x7f800001
	s_xor_b32 s7, exec_lo, -1
; %bb.4052:                             ;   in Loop: Header=BB4_2983 Depth=2
	s_or_b32 exec_lo, exec_lo, s25
	s_delay_alu instid0(SALU_CYCLE_1)
	s_and_b32 s7, s7, exec_lo
                                        ; implicit-def: $vgpr151
	s_or_saveexec_b32 s24, s24
	v_mov_b32_e32 v131, s23
	s_xor_b32 exec_lo, exec_lo, s24
	s_cbranch_execz .LBB4_3446
.LBB4_4053:                             ;   in Loop: Header=BB4_2983 Depth=2
	v_cmp_ne_u16_e64 vcc_lo, 0, v151
	v_mov_b32_e32 v131, 0
	s_and_not1_b32 s7, s7, exec_lo
	s_delay_alu instid0(VALU_DEP_2) | instskip(NEXT) | instid1(SALU_CYCLE_1)
	s_and_b32 s23, vcc_lo, exec_lo
	s_or_b32 s7, s7, s23
	s_or_b32 exec_lo, exec_lo, s24
	s_and_saveexec_b32 s23, s7
	s_cbranch_execnz .LBB4_3447
	s_branch .LBB4_3448
.LBB4_4054:                             ;   in Loop: Header=BB4_2983 Depth=2
	s_mov_b32 s7, -1
	s_mov_b32 s25, exec_lo
                                        ; implicit-def: $sgpr23
	v_cmpx_eq_u16_e64 0x80, v151
; %bb.4055:                             ;   in Loop: Header=BB4_2983 Depth=2
	s_mov_b32 s23, 0x7f800001
	s_xor_b32 s7, exec_lo, -1
; %bb.4056:                             ;   in Loop: Header=BB4_2983 Depth=2
	s_or_b32 exec_lo, exec_lo, s25
	s_delay_alu instid0(SALU_CYCLE_1)
	s_and_b32 s7, s7, exec_lo
	s_or_saveexec_b32 s24, s24
	v_mov_b32_e32 v131, s23
	s_xor_b32 exec_lo, exec_lo, s24
	s_cbranch_execz .LBB4_3458
.LBB4_4057:                             ;   in Loop: Header=BB4_2983 Depth=2
	v_cmp_ne_u16_e64 vcc_lo, 0, v151
	v_mov_b32_e32 v131, 0
	s_and_not1_b32 s7, s7, exec_lo
	s_delay_alu instid0(VALU_DEP_2) | instskip(NEXT) | instid1(SALU_CYCLE_1)
	s_and_b32 s23, vcc_lo, exec_lo
	s_or_b32 s7, s7, s23
	s_or_b32 exec_lo, exec_lo, s24
	s_and_saveexec_b32 s23, s7
	s_cbranch_execnz .LBB4_3459
	s_branch .LBB4_3460
.LBB4_4058:                             ;   in Loop: Header=BB4_2983 Depth=2
	s_mov_b32 s7, -1
	s_mov_b32 s25, exec_lo
                                        ; implicit-def: $sgpr23
	v_cmpx_eq_u16_e64 0x80, v151
; %bb.4059:                             ;   in Loop: Header=BB4_2983 Depth=2
	s_mov_b32 s23, 0x7f800001
	s_xor_b32 s7, exec_lo, -1
; %bb.4060:                             ;   in Loop: Header=BB4_2983 Depth=2
	s_or_b32 exec_lo, exec_lo, s25
	s_delay_alu instid0(SALU_CYCLE_1)
	s_and_b32 s7, s7, exec_lo
	s_or_saveexec_b32 s24, s24
	v_mov_b32_e32 v160, s23
	s_xor_b32 exec_lo, exec_lo, s24
	s_cbranch_execz .LBB4_3462
.LBB4_4061:                             ;   in Loop: Header=BB4_2983 Depth=2
	v_cmp_ne_u16_e64 vcc_lo, 0, v151
	v_mov_b32_e32 v160, 0
	s_and_not1_b32 s7, s7, exec_lo
	s_delay_alu instid0(VALU_DEP_2) | instskip(NEXT) | instid1(SALU_CYCLE_1)
	s_and_b32 s23, vcc_lo, exec_lo
	s_or_b32 s7, s7, s23
	s_or_b32 exec_lo, exec_lo, s24
	s_and_saveexec_b32 s23, s7
	s_cbranch_execnz .LBB4_3463
	s_branch .LBB4_3464
.LBB4_4062:                             ;   in Loop: Header=BB4_2983 Depth=2
	s_mov_b32 s7, -1
	s_mov_b32 s25, exec_lo
                                        ; implicit-def: $sgpr23
	v_cmpx_eq_u16_e64 0x80, v151
; %bb.4063:                             ;   in Loop: Header=BB4_2983 Depth=2
	s_mov_b32 s23, 0x7f800001
	s_xor_b32 s7, exec_lo, -1
; %bb.4064:                             ;   in Loop: Header=BB4_2983 Depth=2
	s_or_b32 exec_lo, exec_lo, s25
	s_delay_alu instid0(SALU_CYCLE_1)
	s_and_b32 s7, s7, exec_lo
                                        ; implicit-def: $vgpr151
	s_or_saveexec_b32 s24, s24
	v_mov_b32_e32 v144, s23
	s_xor_b32 exec_lo, exec_lo, s24
	s_cbranch_execz .LBB4_3474
.LBB4_4065:                             ;   in Loop: Header=BB4_2983 Depth=2
	v_cmp_ne_u16_e64 vcc_lo, 0, v151
	v_mov_b32_e32 v144, 0
	s_and_not1_b32 s7, s7, exec_lo
	s_delay_alu instid0(VALU_DEP_2) | instskip(NEXT) | instid1(SALU_CYCLE_1)
	s_and_b32 s23, vcc_lo, exec_lo
	s_or_b32 s7, s7, s23
	s_or_b32 exec_lo, exec_lo, s24
	v_lshl_or_b32 v149, v149, 16, v150
	s_and_saveexec_b32 s23, s7
	s_cbranch_execnz .LBB4_3475
	s_branch .LBB4_3476
.LBB4_4066:                             ;   in Loop: Header=BB4_2983 Depth=2
	s_mov_b32 s7, -1
	s_mov_b32 s25, exec_lo
                                        ; implicit-def: $sgpr23
	v_cmpx_eq_u16_e64 0x80, v160
; %bb.4067:                             ;   in Loop: Header=BB4_2983 Depth=2
	s_mov_b32 s23, 0x7f800001
	s_xor_b32 s7, exec_lo, -1
; %bb.4068:                             ;   in Loop: Header=BB4_2983 Depth=2
	s_or_b32 exec_lo, exec_lo, s25
	s_delay_alu instid0(SALU_CYCLE_1)
	s_and_b32 s7, s7, exec_lo
                                        ; implicit-def: $vgpr160
	s_or_saveexec_b32 s24, s24
	v_mov_b32_e32 v151, s23
	s_xor_b32 exec_lo, exec_lo, s24
	s_cbranch_execz .LBB4_3478
.LBB4_4069:                             ;   in Loop: Header=BB4_2983 Depth=2
	v_cmp_ne_u16_e64 vcc_lo, 0, v160
	v_mov_b32_e32 v151, 0
	s_and_not1_b32 s7, s7, exec_lo
	s_delay_alu instid0(VALU_DEP_2) | instskip(NEXT) | instid1(SALU_CYCLE_1)
	s_and_b32 s23, vcc_lo, exec_lo
	s_or_b32 s7, s7, s23
	s_or_b32 exec_lo, exec_lo, s24
	s_and_saveexec_b32 s23, s7
	s_cbranch_execnz .LBB4_3479
	s_branch .LBB4_3480
.LBB4_4070:                             ;   in Loop: Header=BB4_2983 Depth=2
	s_mov_b32 s7, -1
	s_mov_b32 s25, exec_lo
                                        ; implicit-def: $sgpr23
	v_cmpx_eq_u16_e64 0x80, v151
; %bb.4071:                             ;   in Loop: Header=BB4_2983 Depth=2
	s_mov_b32 s23, 0x7f800001
	s_xor_b32 s7, exec_lo, -1
; %bb.4072:                             ;   in Loop: Header=BB4_2983 Depth=2
	s_or_b32 exec_lo, exec_lo, s25
	s_delay_alu instid0(SALU_CYCLE_1)
	s_and_b32 s7, s7, exec_lo
	s_or_saveexec_b32 s24, s24
	v_mov_b32_e32 v150, s23
	s_xor_b32 exec_lo, exec_lo, s24
	s_cbranch_execz .LBB4_3490
.LBB4_4073:                             ;   in Loop: Header=BB4_2983 Depth=2
	v_cmp_ne_u16_e64 vcc_lo, 0, v151
	v_mov_b32_e32 v150, 0
	s_and_not1_b32 s7, s7, exec_lo
	s_delay_alu instid0(VALU_DEP_2) | instskip(NEXT) | instid1(SALU_CYCLE_1)
	s_and_b32 s23, vcc_lo, exec_lo
	s_or_b32 s7, s7, s23
	s_or_b32 exec_lo, exec_lo, s24
	s_and_saveexec_b32 s23, s7
	s_cbranch_execnz .LBB4_3491
	s_branch .LBB4_3492
.LBB4_4074:                             ;   in Loop: Header=BB4_2983 Depth=2
	s_mov_b32 s7, -1
	s_mov_b32 s25, exec_lo
                                        ; implicit-def: $sgpr23
	v_cmpx_eq_u16_e64 0x80, v149
; %bb.4075:                             ;   in Loop: Header=BB4_2983 Depth=2
	s_mov_b32 s23, 0x7f800001
	s_xor_b32 s7, exec_lo, -1
; %bb.4076:                             ;   in Loop: Header=BB4_2983 Depth=2
	s_or_b32 exec_lo, exec_lo, s25
	s_delay_alu instid0(SALU_CYCLE_1)
	s_and_b32 s7, s7, exec_lo
	s_or_saveexec_b32 s24, s24
	v_mov_b32_e32 v151, s23
	s_xor_b32 exec_lo, exec_lo, s24
	s_cbranch_execz .LBB4_3494
.LBB4_4077:                             ;   in Loop: Header=BB4_2983 Depth=2
	v_cmp_ne_u16_e64 vcc_lo, 0, v149
	v_mov_b32_e32 v151, 0
	s_and_not1_b32 s7, s7, exec_lo
	s_delay_alu instid0(VALU_DEP_2) | instskip(NEXT) | instid1(SALU_CYCLE_1)
	s_and_b32 s23, vcc_lo, exec_lo
	s_or_b32 s7, s7, s23
	s_or_b32 exec_lo, exec_lo, s24
	s_and_saveexec_b32 s23, s7
	s_cbranch_execnz .LBB4_3495
	s_branch .LBB4_3496
.LBB4_4078:                             ;   in Loop: Header=BB4_2983 Depth=2
	s_mov_b32 s7, -1
	s_mov_b32 s25, exec_lo
                                        ; implicit-def: $sgpr23
	v_cmpx_eq_u16_e64 0x80, v150
; %bb.4079:                             ;   in Loop: Header=BB4_2983 Depth=2
	s_mov_b32 s23, 0x7f800001
	s_xor_b32 s7, exec_lo, -1
; %bb.4080:                             ;   in Loop: Header=BB4_2983 Depth=2
	s_or_b32 exec_lo, exec_lo, s25
	s_delay_alu instid0(SALU_CYCLE_1)
	s_and_b32 s7, s7, exec_lo
                                        ; implicit-def: $vgpr150
	s_or_saveexec_b32 s24, s24
	v_mov_b32_e32 v149, s23
	s_xor_b32 exec_lo, exec_lo, s24
	s_cbranch_execz .LBB4_3506
.LBB4_4081:                             ;   in Loop: Header=BB4_2983 Depth=2
	v_cmp_ne_u16_e64 vcc_lo, 0, v150
	v_mov_b32_e32 v149, 0
	s_and_not1_b32 s7, s7, exec_lo
	s_delay_alu instid0(VALU_DEP_2) | instskip(NEXT) | instid1(SALU_CYCLE_1)
	s_and_b32 s23, vcc_lo, exec_lo
	s_or_b32 s7, s7, s23
	s_or_b32 exec_lo, exec_lo, s24
	s_and_saveexec_b32 s23, s7
	s_cbranch_execnz .LBB4_3507
	s_branch .LBB4_3508
.LBB4_4082:                             ;   in Loop: Header=BB4_2983 Depth=2
	s_mov_b32 s7, -1
	s_mov_b32 s25, exec_lo
                                        ; implicit-def: $sgpr23
	v_cmpx_eq_u16_e64 0x80, v150
; %bb.4083:                             ;   in Loop: Header=BB4_2983 Depth=2
	s_mov_b32 s23, 0x7f800001
	s_xor_b32 s7, exec_lo, -1
; %bb.4084:                             ;   in Loop: Header=BB4_2983 Depth=2
	s_or_b32 exec_lo, exec_lo, s25
	s_delay_alu instid0(SALU_CYCLE_1)
	s_and_b32 s7, s7, exec_lo
                                        ; implicit-def: $vgpr150
	s_or_saveexec_b32 s24, s24
	v_mov_b32_e32 v148, s23
	s_xor_b32 exec_lo, exec_lo, s24
	s_cbranch_execz .LBB4_3510
.LBB4_4085:                             ;   in Loop: Header=BB4_2983 Depth=2
	v_cmp_ne_u16_e64 vcc_lo, 0, v150
	v_mov_b32_e32 v148, 0
	s_and_not1_b32 s7, s7, exec_lo
	s_delay_alu instid0(VALU_DEP_2) | instskip(NEXT) | instid1(SALU_CYCLE_1)
	s_and_b32 s23, vcc_lo, exec_lo
	s_or_b32 s7, s7, s23
	s_or_b32 exec_lo, exec_lo, s24
	s_and_saveexec_b32 s23, s7
	s_cbranch_execnz .LBB4_3511
	s_branch .LBB4_3512
.LBB4_4086:                             ;   in Loop: Header=BB4_2983 Depth=2
	s_mov_b32 s7, -1
	s_mov_b32 s25, exec_lo
                                        ; implicit-def: $sgpr23
	v_cmpx_eq_u16_e64 0x80, v150
; %bb.4087:                             ;   in Loop: Header=BB4_2983 Depth=2
	s_mov_b32 s23, 0x7f800001
	s_xor_b32 s7, exec_lo, -1
; %bb.4088:                             ;   in Loop: Header=BB4_2983 Depth=2
	s_or_b32 exec_lo, exec_lo, s25
	s_delay_alu instid0(SALU_CYCLE_1)
	s_and_b32 s7, s7, exec_lo
                                        ; implicit-def: $vgpr150
	s_or_saveexec_b32 s24, s24
	v_mov_b32_e32 v149, s23
	s_xor_b32 exec_lo, exec_lo, s24
	s_cbranch_execz .LBB4_3522
.LBB4_4089:                             ;   in Loop: Header=BB4_2983 Depth=2
	v_cmp_ne_u16_e64 vcc_lo, 0, v150
	v_mov_b32_e32 v149, 0
	s_and_not1_b32 s7, s7, exec_lo
	s_delay_alu instid0(VALU_DEP_2) | instskip(NEXT) | instid1(SALU_CYCLE_1)
	s_and_b32 s23, vcc_lo, exec_lo
	s_or_b32 s7, s7, s23
	s_or_b32 exec_lo, exec_lo, s24
	s_and_saveexec_b32 s23, s7
	s_cbranch_execnz .LBB4_3523
	s_branch .LBB4_3524
.LBB4_4090:                             ;   in Loop: Header=BB4_2983 Depth=2
	s_mov_b32 s7, -1
	s_mov_b32 s25, exec_lo
                                        ; implicit-def: $sgpr23
	v_cmpx_eq_u16_e64 0x80, v146
; %bb.4091:                             ;   in Loop: Header=BB4_2983 Depth=2
	s_mov_b32 s23, 0x7f800001
	s_xor_b32 s7, exec_lo, -1
; %bb.4092:                             ;   in Loop: Header=BB4_2983 Depth=2
	s_or_b32 exec_lo, exec_lo, s25
	s_delay_alu instid0(SALU_CYCLE_1)
	s_and_b32 s7, s7, exec_lo
	s_or_saveexec_b32 s24, s24
	v_mov_b32_e32 v150, s23
	s_xor_b32 exec_lo, exec_lo, s24
	s_cbranch_execz .LBB4_3526
.LBB4_4093:                             ;   in Loop: Header=BB4_2983 Depth=2
	v_cmp_ne_u16_e64 vcc_lo, 0, v146
	v_mov_b32_e32 v150, 0
	s_and_not1_b32 s7, s7, exec_lo
	s_delay_alu instid0(VALU_DEP_2) | instskip(NEXT) | instid1(SALU_CYCLE_1)
	s_and_b32 s23, vcc_lo, exec_lo
	s_or_b32 s7, s7, s23
	s_or_b32 exec_lo, exec_lo, s24
	s_and_saveexec_b32 s23, s7
	s_cbranch_execnz .LBB4_3527
	s_branch .LBB4_3528
.LBB4_4094:                             ;   in Loop: Header=BB4_2983 Depth=2
	s_mov_b32 s7, -1
	s_mov_b32 s25, exec_lo
                                        ; implicit-def: $sgpr23
	v_cmpx_eq_u16_e64 0x80, v150
; %bb.4095:                             ;   in Loop: Header=BB4_2983 Depth=2
	s_mov_b32 s23, 0x7f800001
	s_xor_b32 s7, exec_lo, -1
; %bb.4096:                             ;   in Loop: Header=BB4_2983 Depth=2
	s_or_b32 exec_lo, exec_lo, s25
	s_delay_alu instid0(SALU_CYCLE_1)
	s_and_b32 s7, s7, exec_lo
                                        ; implicit-def: $vgpr150
	s_or_saveexec_b32 s24, s24
	v_mov_b32_e32 v149, s23
	s_xor_b32 exec_lo, exec_lo, s24
	s_cbranch_execz .LBB4_3538
.LBB4_4097:                             ;   in Loop: Header=BB4_2983 Depth=2
	v_cmp_ne_u16_e64 vcc_lo, 0, v150
	v_mov_b32_e32 v149, 0
	s_and_not1_b32 s7, s7, exec_lo
	s_delay_alu instid0(VALU_DEP_2) | instskip(NEXT) | instid1(SALU_CYCLE_1)
	s_and_b32 s23, vcc_lo, exec_lo
	s_or_b32 s7, s7, s23
	s_or_b32 exec_lo, exec_lo, s24
	s_and_saveexec_b32 s23, s7
	s_cbranch_execnz .LBB4_3539
	s_branch .LBB4_3540
.LBB4_4098:                             ;   in Loop: Header=BB4_2983 Depth=2
	s_mov_b32 s7, -1
	s_mov_b32 s25, exec_lo
                                        ; implicit-def: $sgpr23
	v_cmpx_eq_u16_e64 0x80, v151
; %bb.4099:                             ;   in Loop: Header=BB4_2983 Depth=2
	s_mov_b32 s23, 0x7f800001
	s_xor_b32 s7, exec_lo, -1
; %bb.4100:                             ;   in Loop: Header=BB4_2983 Depth=2
	s_or_b32 exec_lo, exec_lo, s25
	s_delay_alu instid0(SALU_CYCLE_1)
	s_and_b32 s7, s7, exec_lo
                                        ; implicit-def: $vgpr151
	s_or_saveexec_b32 s24, s24
	v_mov_b32_e32 v150, s23
	s_xor_b32 exec_lo, exec_lo, s24
	s_cbranch_execz .LBB4_3542
.LBB4_4101:                             ;   in Loop: Header=BB4_2983 Depth=2
	v_cmp_ne_u16_e64 vcc_lo, 0, v151
	v_mov_b32_e32 v150, 0
	s_and_not1_b32 s7, s7, exec_lo
	s_delay_alu instid0(VALU_DEP_2) | instskip(NEXT) | instid1(SALU_CYCLE_1)
	s_and_b32 s23, vcc_lo, exec_lo
	s_or_b32 s7, s7, s23
	s_or_b32 exec_lo, exec_lo, s24
	s_and_saveexec_b32 s23, s7
	s_cbranch_execnz .LBB4_3543
	s_branch .LBB4_3544
.LBB4_4102:                             ;   in Loop: Header=BB4_2983 Depth=2
	s_mov_b32 s7, -1
	s_mov_b32 s25, exec_lo
                                        ; implicit-def: $sgpr23
	v_cmpx_eq_u16_e64 0x80, v150
; %bb.4103:                             ;   in Loop: Header=BB4_2983 Depth=2
	s_mov_b32 s23, 0x7f800001
	s_xor_b32 s7, exec_lo, -1
; %bb.4104:                             ;   in Loop: Header=BB4_2983 Depth=2
	s_or_b32 exec_lo, exec_lo, s25
	s_delay_alu instid0(SALU_CYCLE_1)
	s_and_b32 s7, s7, exec_lo
	s_or_saveexec_b32 s24, s24
	v_mov_b32_e32 v149, s23
	s_xor_b32 exec_lo, exec_lo, s24
	s_cbranch_execz .LBB4_3554
.LBB4_4105:                             ;   in Loop: Header=BB4_2983 Depth=2
	v_cmp_ne_u16_e64 vcc_lo, 0, v150
	v_mov_b32_e32 v149, 0
	s_and_not1_b32 s7, s7, exec_lo
	s_delay_alu instid0(VALU_DEP_2) | instskip(NEXT) | instid1(SALU_CYCLE_1)
	s_and_b32 s23, vcc_lo, exec_lo
	s_or_b32 s7, s7, s23
	s_or_b32 exec_lo, exec_lo, s24
	s_and_saveexec_b32 s23, s7
	s_cbranch_execnz .LBB4_3555
	s_branch .LBB4_3556
.LBB4_4106:                             ;   in Loop: Header=BB4_2983 Depth=2
	s_mov_b32 s7, -1
	s_mov_b32 s25, exec_lo
                                        ; implicit-def: $sgpr23
	v_cmpx_eq_u16_e64 0x80, v134
; %bb.4107:                             ;   in Loop: Header=BB4_2983 Depth=2
	s_mov_b32 s23, 0x7f800001
	s_xor_b32 s7, exec_lo, -1
; %bb.4108:                             ;   in Loop: Header=BB4_2983 Depth=2
	s_or_b32 exec_lo, exec_lo, s25
	s_delay_alu instid0(SALU_CYCLE_1)
	s_and_b32 s7, s7, exec_lo
	s_or_saveexec_b32 s24, s24
	v_mov_b32_e32 v150, s23
	s_xor_b32 exec_lo, exec_lo, s24
	s_cbranch_execz .LBB4_3558
.LBB4_4109:                             ;   in Loop: Header=BB4_2983 Depth=2
	v_cmp_ne_u16_e64 vcc_lo, 0, v134
	v_mov_b32_e32 v150, 0
	s_and_not1_b32 s7, s7, exec_lo
	s_delay_alu instid0(VALU_DEP_2) | instskip(NEXT) | instid1(SALU_CYCLE_1)
	s_and_b32 s23, vcc_lo, exec_lo
	s_or_b32 s7, s7, s23
	s_or_b32 exec_lo, exec_lo, s24
	s_and_saveexec_b32 s23, s7
	s_cbranch_execnz .LBB4_3559
	s_branch .LBB4_3560
.LBB4_4110:                             ;   in Loop: Header=BB4_2983 Depth=2
	s_mov_b32 s7, -1
	s_mov_b32 s25, exec_lo
                                        ; implicit-def: $sgpr23
	v_cmpx_eq_u16_e64 0x80, v134
; %bb.4111:                             ;   in Loop: Header=BB4_2983 Depth=2
	s_mov_b32 s23, 0x7f800001
	s_xor_b32 s7, exec_lo, -1
; %bb.4112:                             ;   in Loop: Header=BB4_2983 Depth=2
	s_or_b32 exec_lo, exec_lo, s25
	s_delay_alu instid0(SALU_CYCLE_1)
	s_and_b32 s7, s7, exec_lo
                                        ; implicit-def: $vgpr134
	s_or_saveexec_b32 s24, s24
	v_mov_b32_e32 v133, s23
	s_xor_b32 exec_lo, exec_lo, s24
	s_cbranch_execz .LBB4_3570
.LBB4_4113:                             ;   in Loop: Header=BB4_2983 Depth=2
	v_cmp_ne_u16_e64 vcc_lo, 0, v134
	v_mov_b32_e32 v133, 0
	s_and_not1_b32 s7, s7, exec_lo
	s_delay_alu instid0(VALU_DEP_2) | instskip(NEXT) | instid1(SALU_CYCLE_1)
	s_and_b32 s23, vcc_lo, exec_lo
	s_or_b32 s7, s7, s23
	s_or_b32 exec_lo, exec_lo, s24
	s_and_saveexec_b32 s23, s7
	s_cbranch_execnz .LBB4_3571
	s_branch .LBB4_3572
.LBB4_4114:                             ;   in Loop: Header=BB4_2983 Depth=2
	s_mov_b32 s7, -1
	s_mov_b32 s25, exec_lo
                                        ; implicit-def: $sgpr23
	v_cmpx_eq_u16_e64 0x80, v149
; %bb.4115:                             ;   in Loop: Header=BB4_2983 Depth=2
	s_mov_b32 s23, 0x7f800001
	s_xor_b32 s7, exec_lo, -1
; %bb.4116:                             ;   in Loop: Header=BB4_2983 Depth=2
	s_or_b32 exec_lo, exec_lo, s25
	s_delay_alu instid0(SALU_CYCLE_1)
	s_and_b32 s7, s7, exec_lo
                                        ; implicit-def: $vgpr149
	s_or_saveexec_b32 s24, s24
	v_mov_b32_e32 v134, s23
	s_xor_b32 exec_lo, exec_lo, s24
	s_cbranch_execz .LBB4_3574
.LBB4_4117:                             ;   in Loop: Header=BB4_2983 Depth=2
	v_cmp_ne_u16_e64 vcc_lo, 0, v149
	v_mov_b32_e32 v134, 0
	s_and_not1_b32 s7, s7, exec_lo
	s_delay_alu instid0(VALU_DEP_2) | instskip(NEXT) | instid1(SALU_CYCLE_1)
	s_and_b32 s23, vcc_lo, exec_lo
	s_or_b32 s7, s7, s23
	s_or_b32 exec_lo, exec_lo, s24
	s_and_saveexec_b32 s23, s7
	s_cbranch_execnz .LBB4_3575
	s_branch .LBB4_3576
.LBB4_4118:                             ;   in Loop: Header=BB4_2983 Depth=2
	s_mov_b32 s7, -1
	s_mov_b32 s25, exec_lo
                                        ; implicit-def: $sgpr23
	v_cmpx_eq_u16_e64 0x80, v149
; %bb.4119:                             ;   in Loop: Header=BB4_2983 Depth=2
	s_mov_b32 s23, 0x7f800001
	s_xor_b32 s7, exec_lo, -1
; %bb.4120:                             ;   in Loop: Header=BB4_2983 Depth=2
	s_or_b32 exec_lo, exec_lo, s25
	s_delay_alu instid0(SALU_CYCLE_1)
	s_and_b32 s7, s7, exec_lo
	s_or_saveexec_b32 s24, s24
	v_mov_b32_e32 v134, s23
	s_xor_b32 exec_lo, exec_lo, s24
	s_cbranch_execz .LBB4_3586
.LBB4_4121:                             ;   in Loop: Header=BB4_2983 Depth=2
	v_cmp_ne_u16_e64 vcc_lo, 0, v149
	v_mov_b32_e32 v134, 0
	s_and_not1_b32 s7, s7, exec_lo
	s_delay_alu instid0(VALU_DEP_2) | instskip(NEXT) | instid1(SALU_CYCLE_1)
	s_and_b32 s23, vcc_lo, exec_lo
	s_or_b32 s7, s7, s23
	s_or_b32 exec_lo, exec_lo, s24
	s_and_saveexec_b32 s23, s7
	s_cbranch_execnz .LBB4_3587
	s_branch .LBB4_3588
.LBB4_4122:                             ;   in Loop: Header=BB4_2983 Depth=2
	s_mov_b32 s7, -1
	s_mov_b32 s25, exec_lo
                                        ; implicit-def: $sgpr23
	v_cmpx_eq_u16_e64 0x80, v149
; %bb.4123:                             ;   in Loop: Header=BB4_2983 Depth=2
	s_mov_b32 s23, 0x7f800001
	s_xor_b32 s7, exec_lo, -1
; %bb.4124:                             ;   in Loop: Header=BB4_2983 Depth=2
	s_or_b32 exec_lo, exec_lo, s25
	s_delay_alu instid0(SALU_CYCLE_1)
	s_and_b32 s7, s7, exec_lo
	s_or_saveexec_b32 s24, s24
	v_mov_b32_e32 v150, s23
	s_xor_b32 exec_lo, exec_lo, s24
	s_cbranch_execz .LBB4_3590
.LBB4_4125:                             ;   in Loop: Header=BB4_2983 Depth=2
	v_cmp_ne_u16_e64 vcc_lo, 0, v149
	v_mov_b32_e32 v150, 0
	s_and_not1_b32 s7, s7, exec_lo
	s_delay_alu instid0(VALU_DEP_2) | instskip(NEXT) | instid1(SALU_CYCLE_1)
	s_and_b32 s23, vcc_lo, exec_lo
	s_or_b32 s7, s7, s23
	s_or_b32 exec_lo, exec_lo, s24
	s_and_saveexec_b32 s23, s7
	s_cbranch_execnz .LBB4_3591
	s_branch .LBB4_3592
.LBB4_4126:                             ;   in Loop: Header=BB4_2983 Depth=2
	s_mov_b32 s7, -1
	s_mov_b32 s25, exec_lo
                                        ; implicit-def: $sgpr23
	v_cmpx_eq_u16_e64 0x80, v149
; %bb.4127:                             ;   in Loop: Header=BB4_2983 Depth=2
	s_mov_b32 s23, 0x7f800001
	s_xor_b32 s7, exec_lo, -1
; %bb.4128:                             ;   in Loop: Header=BB4_2983 Depth=2
	s_or_b32 exec_lo, exec_lo, s25
	s_delay_alu instid0(SALU_CYCLE_1)
	s_and_b32 s7, s7, exec_lo
                                        ; implicit-def: $vgpr149
	s_or_saveexec_b32 s24, s24
	v_mov_b32_e32 v132, s23
	s_xor_b32 exec_lo, exec_lo, s24
	s_cbranch_execz .LBB4_3602
.LBB4_4129:                             ;   in Loop: Header=BB4_2983 Depth=2
	v_cmp_ne_u16_e64 vcc_lo, 0, v149
	v_mov_b32_e32 v132, 0
	s_and_not1_b32 s7, s7, exec_lo
	s_delay_alu instid0(VALU_DEP_2) | instskip(NEXT) | instid1(SALU_CYCLE_1)
	s_and_b32 s23, vcc_lo, exec_lo
	s_or_b32 s7, s7, s23
	s_or_b32 exec_lo, exec_lo, s24
	v_lshl_or_b32 v135, v135, 16, v147
	s_and_saveexec_b32 s23, s7
	s_cbranch_execnz .LBB4_3603
	s_branch .LBB4_3604
.LBB4_4130:                             ;   in Loop: Header=BB4_2983 Depth=2
	s_mov_b32 s7, -1
	s_mov_b32 s25, exec_lo
                                        ; implicit-def: $sgpr23
	v_cmpx_eq_u16_e64 0x80, v150
; %bb.4131:                             ;   in Loop: Header=BB4_2983 Depth=2
	s_mov_b32 s23, 0x7f800001
	s_xor_b32 s7, exec_lo, -1
; %bb.4132:                             ;   in Loop: Header=BB4_2983 Depth=2
	s_or_b32 exec_lo, exec_lo, s25
	s_delay_alu instid0(SALU_CYCLE_1)
	s_and_b32 s7, s7, exec_lo
                                        ; implicit-def: $vgpr150
	s_or_saveexec_b32 s24, s24
	v_mov_b32_e32 v149, s23
	s_xor_b32 exec_lo, exec_lo, s24
	s_cbranch_execz .LBB4_3606
.LBB4_4133:                             ;   in Loop: Header=BB4_2983 Depth=2
	v_cmp_ne_u16_e64 vcc_lo, 0, v150
	v_mov_b32_e32 v149, 0
	s_and_not1_b32 s7, s7, exec_lo
	s_delay_alu instid0(VALU_DEP_2) | instskip(NEXT) | instid1(SALU_CYCLE_1)
	s_and_b32 s23, vcc_lo, exec_lo
	s_or_b32 s7, s7, s23
	s_or_b32 exec_lo, exec_lo, s24
	s_and_saveexec_b32 s23, s7
	s_cbranch_execnz .LBB4_3607
	s_branch .LBB4_3608
.LBB4_4134:                             ;   in Loop: Header=BB4_2983 Depth=2
	s_mov_b32 s7, -1
	s_mov_b32 s25, exec_lo
                                        ; implicit-def: $sgpr23
	v_cmpx_eq_u16_e64 0x80, v149
; %bb.4135:                             ;   in Loop: Header=BB4_2983 Depth=2
	s_mov_b32 s23, 0x7f800001
	s_xor_b32 s7, exec_lo, -1
; %bb.4136:                             ;   in Loop: Header=BB4_2983 Depth=2
	s_or_b32 exec_lo, exec_lo, s25
	s_delay_alu instid0(SALU_CYCLE_1)
	s_and_b32 s7, s7, exec_lo
	s_or_saveexec_b32 s24, s24
	v_mov_b32_e32 v147, s23
	s_xor_b32 exec_lo, exec_lo, s24
	s_cbranch_execz .LBB4_3618
.LBB4_4137:                             ;   in Loop: Header=BB4_2983 Depth=2
	v_cmp_ne_u16_e64 vcc_lo, 0, v149
	v_mov_b32_e32 v147, 0
	s_and_not1_b32 s7, s7, exec_lo
	s_delay_alu instid0(VALU_DEP_2) | instskip(NEXT) | instid1(SALU_CYCLE_1)
	s_and_b32 s23, vcc_lo, exec_lo
	s_or_b32 s7, s7, s23
	s_or_b32 exec_lo, exec_lo, s24
	s_and_saveexec_b32 s23, s7
	s_cbranch_execnz .LBB4_3619
	s_branch .LBB4_3620
.LBB4_4138:                             ;   in Loop: Header=BB4_2983 Depth=2
	s_mov_b32 s7, -1
	s_mov_b32 s25, exec_lo
                                        ; implicit-def: $sgpr23
	v_cmpx_eq_u16_e64 0x80, v135
; %bb.4139:                             ;   in Loop: Header=BB4_2983 Depth=2
	s_mov_b32 s23, 0x7f800001
	s_xor_b32 s7, exec_lo, -1
; %bb.4140:                             ;   in Loop: Header=BB4_2983 Depth=2
	s_or_b32 exec_lo, exec_lo, s25
	s_delay_alu instid0(SALU_CYCLE_1)
	s_and_b32 s7, s7, exec_lo
	s_or_saveexec_b32 s24, s24
	v_mov_b32_e32 v149, s23
	s_xor_b32 exec_lo, exec_lo, s24
	s_cbranch_execz .LBB4_3622
.LBB4_4141:                             ;   in Loop: Header=BB4_2983 Depth=2
	v_cmp_ne_u16_e64 vcc_lo, 0, v135
	v_mov_b32_e32 v149, 0
	s_and_not1_b32 s7, s7, exec_lo
	s_delay_alu instid0(VALU_DEP_2) | instskip(NEXT) | instid1(SALU_CYCLE_1)
	s_and_b32 s23, vcc_lo, exec_lo
	s_or_b32 s7, s7, s23
	s_or_b32 exec_lo, exec_lo, s24
	s_and_saveexec_b32 s23, s7
	s_cbranch_execnz .LBB4_3623
	s_branch .LBB4_3624
.LBB4_4142:                             ;   in Loop: Header=BB4_2983 Depth=2
	s_mov_b32 s7, -1
	s_mov_b32 s25, exec_lo
                                        ; implicit-def: $sgpr23
	v_cmpx_eq_u16_e64 0x80, v147
; %bb.4143:                             ;   in Loop: Header=BB4_2983 Depth=2
	s_mov_b32 s23, 0x7f800001
	s_xor_b32 s7, exec_lo, -1
; %bb.4144:                             ;   in Loop: Header=BB4_2983 Depth=2
	s_or_b32 exec_lo, exec_lo, s25
	s_delay_alu instid0(SALU_CYCLE_1)
	s_and_b32 s7, s7, exec_lo
                                        ; implicit-def: $vgpr147
	s_or_saveexec_b32 s24, s24
	v_mov_b32_e32 v135, s23
	s_xor_b32 exec_lo, exec_lo, s24
	s_cbranch_execz .LBB4_3634
.LBB4_4145:                             ;   in Loop: Header=BB4_2983 Depth=2
	v_cmp_ne_u16_e64 vcc_lo, 0, v147
	v_mov_b32_e32 v135, 0
	s_and_not1_b32 s7, s7, exec_lo
	s_delay_alu instid0(VALU_DEP_2) | instskip(NEXT) | instid1(SALU_CYCLE_1)
	s_and_b32 s23, vcc_lo, exec_lo
	s_or_b32 s7, s7, s23
	s_or_b32 exec_lo, exec_lo, s24
	s_and_saveexec_b32 s23, s7
	s_cbranch_execnz .LBB4_3635
	s_branch .LBB4_3636
.LBB4_4146:                             ;   in Loop: Header=BB4_2983 Depth=2
	s_mov_b32 s7, -1
	s_mov_b32 s25, exec_lo
                                        ; implicit-def: $sgpr23
	v_cmpx_eq_u16_e64 0x80, v147
; %bb.4147:                             ;   in Loop: Header=BB4_2983 Depth=2
	s_mov_b32 s23, 0x7f800001
	s_xor_b32 s7, exec_lo, -1
; %bb.4148:                             ;   in Loop: Header=BB4_2983 Depth=2
	s_or_b32 exec_lo, exec_lo, s25
	s_delay_alu instid0(SALU_CYCLE_1)
	s_and_b32 s7, s7, exec_lo
                                        ; implicit-def: $vgpr147
	s_or_saveexec_b32 s24, s24
	v_mov_b32_e32 v130, s23
	s_xor_b32 exec_lo, exec_lo, s24
	s_cbranch_execz .LBB4_3638
.LBB4_4149:                             ;   in Loop: Header=BB4_2983 Depth=2
	v_cmp_ne_u16_e64 vcc_lo, 0, v147
	v_mov_b32_e32 v130, 0
	s_and_not1_b32 s7, s7, exec_lo
	s_delay_alu instid0(VALU_DEP_2) | instskip(NEXT) | instid1(SALU_CYCLE_1)
	s_and_b32 s23, vcc_lo, exec_lo
	s_or_b32 s7, s7, s23
	s_or_b32 exec_lo, exec_lo, s24
	s_and_saveexec_b32 s23, s7
	s_cbranch_execnz .LBB4_3639
	s_branch .LBB4_3640
.LBB4_4150:                             ;   in Loop: Header=BB4_2983 Depth=2
	s_mov_b32 s7, -1
	s_mov_b32 s25, exec_lo
                                        ; implicit-def: $sgpr23
	v_cmpx_eq_u16_e64 0x80, v147
; %bb.4151:                             ;   in Loop: Header=BB4_2983 Depth=2
	s_mov_b32 s23, 0x7f800001
	s_xor_b32 s7, exec_lo, -1
; %bb.4152:                             ;   in Loop: Header=BB4_2983 Depth=2
	s_or_b32 exec_lo, exec_lo, s25
	s_delay_alu instid0(SALU_CYCLE_1)
	s_and_b32 s7, s7, exec_lo
                                        ; implicit-def: $vgpr147
	s_or_saveexec_b32 s24, s24
	v_mov_b32_e32 v135, s23
	s_xor_b32 exec_lo, exec_lo, s24
	s_cbranch_execz .LBB4_3650
.LBB4_4153:                             ;   in Loop: Header=BB4_2983 Depth=2
	v_cmp_ne_u16_e64 vcc_lo, 0, v147
	v_mov_b32_e32 v135, 0
	s_and_not1_b32 s7, s7, exec_lo
	s_delay_alu instid0(VALU_DEP_2) | instskip(NEXT) | instid1(SALU_CYCLE_1)
	s_and_b32 s23, vcc_lo, exec_lo
	s_or_b32 s7, s7, s23
	s_or_b32 exec_lo, exec_lo, s24
	s_and_saveexec_b32 s23, s7
	s_cbranch_execnz .LBB4_3651
	s_branch .LBB4_3652
.LBB4_4154:                             ;   in Loop: Header=BB4_2983 Depth=2
	s_mov_b32 s7, -1
	s_mov_b32 s25, exec_lo
                                        ; implicit-def: $sgpr23
	v_cmpx_eq_u16_e32 0x80, v119
; %bb.4155:                             ;   in Loop: Header=BB4_2983 Depth=2
	s_mov_b32 s23, 0x7f800001
	s_xor_b32 s7, exec_lo, -1
; %bb.4156:                             ;   in Loop: Header=BB4_2983 Depth=2
	s_or_b32 exec_lo, exec_lo, s25
	s_delay_alu instid0(SALU_CYCLE_1)
	s_and_b32 s7, s7, exec_lo
	s_or_saveexec_b32 s24, s24
	v_mov_b32_e32 v147, s23
	s_xor_b32 exec_lo, exec_lo, s24
	s_cbranch_execz .LBB4_3654
.LBB4_4157:                             ;   in Loop: Header=BB4_2983 Depth=2
	v_cmp_ne_u16_e32 vcc_lo, 0, v119
	v_mov_b32_e32 v147, 0
	s_and_not1_b32 s7, s7, exec_lo
	s_and_b32 s23, vcc_lo, exec_lo
	s_delay_alu instid0(SALU_CYCLE_1)
	s_or_b32 s7, s7, s23
	s_or_b32 exec_lo, exec_lo, s24
	s_and_saveexec_b32 s23, s7
	s_cbranch_execnz .LBB4_3655
	s_branch .LBB4_3656
.LBB4_4158:                             ;   in Loop: Header=BB4_2983 Depth=2
	s_mov_b32 s7, -1
	s_mov_b32 s25, exec_lo
                                        ; implicit-def: $sgpr23
	v_cmpx_eq_u16_e64 0x80, v147
; %bb.4159:                             ;   in Loop: Header=BB4_2983 Depth=2
	s_mov_b32 s23, 0x7f800001
	s_xor_b32 s7, exec_lo, -1
; %bb.4160:                             ;   in Loop: Header=BB4_2983 Depth=2
	s_or_b32 exec_lo, exec_lo, s25
	s_delay_alu instid0(SALU_CYCLE_1)
	s_and_b32 s7, s7, exec_lo
                                        ; implicit-def: $vgpr147
	s_or_saveexec_b32 s24, s24
	v_mov_b32_e32 v135, s23
	s_xor_b32 exec_lo, exec_lo, s24
	s_cbranch_execz .LBB4_3666
.LBB4_4161:                             ;   in Loop: Header=BB4_2983 Depth=2
	v_cmp_ne_u16_e64 vcc_lo, 0, v147
	v_mov_b32_e32 v135, 0
	s_and_not1_b32 s7, s7, exec_lo
	s_delay_alu instid0(VALU_DEP_2) | instskip(NEXT) | instid1(SALU_CYCLE_1)
	s_and_b32 s23, vcc_lo, exec_lo
	s_or_b32 s7, s7, s23
	s_or_b32 exec_lo, exec_lo, s24
	s_and_saveexec_b32 s23, s7
	s_cbranch_execnz .LBB4_3667
	s_branch .LBB4_3668
.LBB4_4162:                             ;   in Loop: Header=BB4_2983 Depth=2
	s_mov_b32 s7, -1
	s_mov_b32 s25, exec_lo
                                        ; implicit-def: $sgpr23
	v_cmpx_eq_u16_e64 0x80, v149
; %bb.4163:                             ;   in Loop: Header=BB4_2983 Depth=2
	s_mov_b32 s23, 0x7f800001
	s_xor_b32 s7, exec_lo, -1
; %bb.4164:                             ;   in Loop: Header=BB4_2983 Depth=2
	s_or_b32 exec_lo, exec_lo, s25
	s_delay_alu instid0(SALU_CYCLE_1)
	s_and_b32 s7, s7, exec_lo
                                        ; implicit-def: $vgpr149
	s_or_saveexec_b32 s24, s24
	v_mov_b32_e32 v147, s23
	s_xor_b32 exec_lo, exec_lo, s24
	s_cbranch_execz .LBB4_3670
.LBB4_4165:                             ;   in Loop: Header=BB4_2983 Depth=2
	v_cmp_ne_u16_e64 vcc_lo, 0, v149
	v_mov_b32_e32 v147, 0
	s_and_not1_b32 s7, s7, exec_lo
	s_delay_alu instid0(VALU_DEP_2) | instskip(NEXT) | instid1(SALU_CYCLE_1)
	s_and_b32 s23, vcc_lo, exec_lo
	s_or_b32 s7, s7, s23
	s_or_b32 exec_lo, exec_lo, s24
	s_and_saveexec_b32 s23, s7
	s_cbranch_execnz .LBB4_3671
	s_branch .LBB4_3672
.LBB4_4166:                             ;   in Loop: Header=BB4_2983 Depth=2
	s_mov_b32 s7, -1
	s_mov_b32 s25, exec_lo
                                        ; implicit-def: $sgpr23
	v_cmpx_eq_u16_e64 0x80, v147
; %bb.4167:                             ;   in Loop: Header=BB4_2983 Depth=2
	s_mov_b32 s23, 0x7f800001
	s_xor_b32 s7, exec_lo, -1
; %bb.4168:                             ;   in Loop: Header=BB4_2983 Depth=2
	s_or_b32 exec_lo, exec_lo, s25
	s_delay_alu instid0(SALU_CYCLE_1)
	s_and_b32 s7, s7, exec_lo
	s_or_saveexec_b32 s24, s24
	v_mov_b32_e32 v135, s23
	s_xor_b32 exec_lo, exec_lo, s24
	s_cbranch_execz .LBB4_3682
.LBB4_4169:                             ;   in Loop: Header=BB4_2983 Depth=2
	v_cmp_ne_u16_e64 vcc_lo, 0, v147
	v_mov_b32_e32 v135, 0
	s_and_not1_b32 s7, s7, exec_lo
	s_delay_alu instid0(VALU_DEP_2) | instskip(NEXT) | instid1(SALU_CYCLE_1)
	s_and_b32 s23, vcc_lo, exec_lo
	s_or_b32 s7, s7, s23
	s_or_b32 exec_lo, exec_lo, s24
	s_and_saveexec_b32 s23, s7
	s_cbranch_execnz .LBB4_3683
	s_branch .LBB4_3684
.LBB4_4170:                             ;   in Loop: Header=BB4_2983 Depth=2
	s_mov_b32 s7, -1
	s_mov_b32 s25, exec_lo
                                        ; implicit-def: $sgpr23
	v_cmpx_eq_u16_e32 0x80, v116
; %bb.4171:                             ;   in Loop: Header=BB4_2983 Depth=2
	s_mov_b32 s23, 0x7f800001
	s_xor_b32 s7, exec_lo, -1
; %bb.4172:                             ;   in Loop: Header=BB4_2983 Depth=2
	s_or_b32 exec_lo, exec_lo, s25
	s_delay_alu instid0(SALU_CYCLE_1)
	s_and_b32 s7, s7, exec_lo
	s_or_saveexec_b32 s24, s24
	v_mov_b32_e32 v147, s23
	s_xor_b32 exec_lo, exec_lo, s24
	s_cbranch_execz .LBB4_3686
.LBB4_4173:                             ;   in Loop: Header=BB4_2983 Depth=2
	v_cmp_ne_u16_e32 vcc_lo, 0, v116
	v_mov_b32_e32 v147, 0
	s_and_not1_b32 s7, s7, exec_lo
	s_and_b32 s23, vcc_lo, exec_lo
	s_delay_alu instid0(SALU_CYCLE_1)
	s_or_b32 s7, s7, s23
	s_or_b32 exec_lo, exec_lo, s24
	s_and_saveexec_b32 s23, s7
	s_cbranch_execnz .LBB4_3687
	s_branch .LBB4_3688
.LBB4_4174:                             ;   in Loop: Header=BB4_2983 Depth=2
	s_mov_b32 s7, -1
	s_mov_b32 s25, exec_lo
                                        ; implicit-def: $sgpr23
	v_cmpx_eq_u16_e32 0x80, v116
; %bb.4175:                             ;   in Loop: Header=BB4_2983 Depth=2
	s_mov_b32 s23, 0x7f800001
	s_xor_b32 s7, exec_lo, -1
; %bb.4176:                             ;   in Loop: Header=BB4_2983 Depth=2
	s_or_b32 exec_lo, exec_lo, s25
	s_delay_alu instid0(SALU_CYCLE_1)
	s_and_b32 s7, s7, exec_lo
                                        ; implicit-def: $vgpr116
	s_or_saveexec_b32 s24, s24
	v_mov_b32_e32 v115, s23
	s_xor_b32 exec_lo, exec_lo, s24
	s_cbranch_execz .LBB4_3698
.LBB4_4177:                             ;   in Loop: Header=BB4_2983 Depth=2
	v_cmp_ne_u16_e32 vcc_lo, 0, v116
	v_mov_b32_e32 v115, 0
	s_and_not1_b32 s7, s7, exec_lo
	s_and_b32 s23, vcc_lo, exec_lo
	s_delay_alu instid0(SALU_CYCLE_1)
	s_or_b32 s7, s7, s23
	s_or_b32 exec_lo, exec_lo, s24
	s_and_saveexec_b32 s23, s7
	s_cbranch_execnz .LBB4_3699
	s_branch .LBB4_3700
.LBB4_4178:                             ;   in Loop: Header=BB4_2983 Depth=2
	s_mov_b32 s7, -1
	s_mov_b32 s25, exec_lo
                                        ; implicit-def: $sgpr23
	v_cmpx_eq_u16_e64 0x80, v135
; %bb.4179:                             ;   in Loop: Header=BB4_2983 Depth=2
	s_mov_b32 s23, 0x7f800001
	s_xor_b32 s7, exec_lo, -1
; %bb.4180:                             ;   in Loop: Header=BB4_2983 Depth=2
	s_or_b32 exec_lo, exec_lo, s25
	s_delay_alu instid0(SALU_CYCLE_1)
	s_and_b32 s7, s7, exec_lo
                                        ; implicit-def: $vgpr135
	s_or_saveexec_b32 s24, s24
	v_mov_b32_e32 v116, s23
	s_xor_b32 exec_lo, exec_lo, s24
	s_cbranch_execz .LBB4_3702
.LBB4_4181:                             ;   in Loop: Header=BB4_2983 Depth=2
	v_cmp_ne_u16_e64 vcc_lo, 0, v135
	v_mov_b32_e32 v116, 0
	s_and_not1_b32 s7, s7, exec_lo
	s_delay_alu instid0(VALU_DEP_2) | instskip(NEXT) | instid1(SALU_CYCLE_1)
	s_and_b32 s23, vcc_lo, exec_lo
	s_or_b32 s7, s7, s23
	s_or_b32 exec_lo, exec_lo, s24
	s_and_saveexec_b32 s23, s7
	s_cbranch_execnz .LBB4_3703
	s_branch .LBB4_3704
.LBB4_4182:                             ;   in Loop: Header=BB4_2983 Depth=2
	s_mov_b32 s7, -1
	s_mov_b32 s25, exec_lo
                                        ; implicit-def: $sgpr23
	v_cmpx_eq_u16_e64 0x80, v135
; %bb.4183:                             ;   in Loop: Header=BB4_2983 Depth=2
	s_mov_b32 s23, 0x7f800001
	s_xor_b32 s7, exec_lo, -1
; %bb.4184:                             ;   in Loop: Header=BB4_2983 Depth=2
	s_or_b32 exec_lo, exec_lo, s25
	s_delay_alu instid0(SALU_CYCLE_1)
	s_and_b32 s7, s7, exec_lo
	s_or_saveexec_b32 s24, s24
	v_mov_b32_e32 v116, s23
	s_xor_b32 exec_lo, exec_lo, s24
	s_cbranch_execz .LBB4_3714
.LBB4_4185:                             ;   in Loop: Header=BB4_2983 Depth=2
	v_cmp_ne_u16_e64 vcc_lo, 0, v135
	v_mov_b32_e32 v116, 0
	s_and_not1_b32 s7, s7, exec_lo
	s_delay_alu instid0(VALU_DEP_2) | instskip(NEXT) | instid1(SALU_CYCLE_1)
	s_and_b32 s23, vcc_lo, exec_lo
	s_or_b32 s7, s7, s23
	s_or_b32 exec_lo, exec_lo, s24
	s_and_saveexec_b32 s23, s7
	s_cbranch_execnz .LBB4_3715
	s_branch .LBB4_3716
.LBB4_4186:                             ;   in Loop: Header=BB4_2983 Depth=2
	s_mov_b32 s7, -1
	s_mov_b32 s25, exec_lo
                                        ; implicit-def: $sgpr23
	v_cmpx_eq_u16_e64 0x80, v135
; %bb.4187:                             ;   in Loop: Header=BB4_2983 Depth=2
	s_mov_b32 s23, 0x7f800001
	s_xor_b32 s7, exec_lo, -1
; %bb.4188:                             ;   in Loop: Header=BB4_2983 Depth=2
	s_or_b32 exec_lo, exec_lo, s25
	s_delay_alu instid0(SALU_CYCLE_1)
	s_and_b32 s7, s7, exec_lo
	s_or_saveexec_b32 s24, s24
	v_mov_b32_e32 v147, s23
	s_xor_b32 exec_lo, exec_lo, s24
	s_cbranch_execz .LBB4_3718
.LBB4_4189:                             ;   in Loop: Header=BB4_2983 Depth=2
	v_cmp_ne_u16_e64 vcc_lo, 0, v135
	v_mov_b32_e32 v147, 0
	s_and_not1_b32 s7, s7, exec_lo
	s_delay_alu instid0(VALU_DEP_2) | instskip(NEXT) | instid1(SALU_CYCLE_1)
	s_and_b32 s23, vcc_lo, exec_lo
	s_or_b32 s7, s7, s23
	s_or_b32 exec_lo, exec_lo, s24
	s_and_saveexec_b32 s23, s7
	s_cbranch_execnz .LBB4_3719
	s_branch .LBB4_3720
.LBB4_4190:                             ;   in Loop: Header=BB4_2983 Depth=2
	s_mov_b32 s7, -1
	s_mov_b32 s25, exec_lo
                                        ; implicit-def: $sgpr23
	v_cmpx_eq_u16_e64 0x80, v135
; %bb.4191:                             ;   in Loop: Header=BB4_2983 Depth=2
	s_mov_b32 s23, 0x7f800001
	s_xor_b32 s7, exec_lo, -1
; %bb.4192:                             ;   in Loop: Header=BB4_2983 Depth=2
	s_or_b32 exec_lo, exec_lo, s25
	s_delay_alu instid0(SALU_CYCLE_1)
	s_and_b32 s7, s7, exec_lo
                                        ; implicit-def: $vgpr135
	s_or_saveexec_b32 s24, s24
	v_mov_b32_e32 v114, s23
	s_xor_b32 exec_lo, exec_lo, s24
	s_cbranch_execz .LBB4_3730
.LBB4_4193:                             ;   in Loop: Header=BB4_2983 Depth=2
	v_cmp_ne_u16_e64 vcc_lo, 0, v135
	v_mov_b32_e32 v114, 0
	s_and_not1_b32 s7, s7, exec_lo
	s_delay_alu instid0(VALU_DEP_2) | instskip(NEXT) | instid1(SALU_CYCLE_1)
	s_and_b32 s23, vcc_lo, exec_lo
	s_or_b32 s7, s7, s23
	s_or_b32 exec_lo, exec_lo, s24
	v_lshl_or_b32 v117, v117, 16, v129
	s_and_saveexec_b32 s23, s7
	s_cbranch_execnz .LBB4_3731
	s_branch .LBB4_3732
.LBB4_4194:                             ;   in Loop: Header=BB4_2983 Depth=2
	s_mov_b32 s7, -1
	s_mov_b32 s25, exec_lo
                                        ; implicit-def: $sgpr23
	v_cmpx_eq_u16_e64 0x80, v147
; %bb.4195:                             ;   in Loop: Header=BB4_2983 Depth=2
	s_mov_b32 s23, 0x7f800001
	s_xor_b32 s7, exec_lo, -1
; %bb.4196:                             ;   in Loop: Header=BB4_2983 Depth=2
	s_or_b32 exec_lo, exec_lo, s25
	s_delay_alu instid0(SALU_CYCLE_1)
	s_and_b32 s7, s7, exec_lo
                                        ; implicit-def: $vgpr147
	s_or_saveexec_b32 s24, s24
	v_mov_b32_e32 v135, s23
	s_xor_b32 exec_lo, exec_lo, s24
	s_cbranch_execz .LBB4_3734
.LBB4_4197:                             ;   in Loop: Header=BB4_2983 Depth=2
	v_cmp_ne_u16_e64 vcc_lo, 0, v147
	v_mov_b32_e32 v135, 0
	s_and_not1_b32 s7, s7, exec_lo
	s_delay_alu instid0(VALU_DEP_2) | instskip(NEXT) | instid1(SALU_CYCLE_1)
	s_and_b32 s23, vcc_lo, exec_lo
	s_or_b32 s7, s7, s23
	s_or_b32 exec_lo, exec_lo, s24
	s_and_saveexec_b32 s23, s7
	s_cbranch_execnz .LBB4_3735
	s_branch .LBB4_3736
.LBB4_4198:                             ;   in Loop: Header=BB4_2983 Depth=2
	s_mov_b32 s7, -1
	s_mov_b32 s25, exec_lo
                                        ; implicit-def: $sgpr23
	v_cmpx_eq_u16_e64 0x80, v135
; %bb.4199:                             ;   in Loop: Header=BB4_2983 Depth=2
	s_mov_b32 s23, 0x7f800001
	s_xor_b32 s7, exec_lo, -1
; %bb.4200:                             ;   in Loop: Header=BB4_2983 Depth=2
	s_or_b32 exec_lo, exec_lo, s25
	s_delay_alu instid0(SALU_CYCLE_1)
	s_and_b32 s7, s7, exec_lo
	s_or_saveexec_b32 s24, s24
	v_mov_b32_e32 v129, s23
	s_xor_b32 exec_lo, exec_lo, s24
	s_cbranch_execz .LBB4_3746
.LBB4_4201:                             ;   in Loop: Header=BB4_2983 Depth=2
	v_cmp_ne_u16_e64 vcc_lo, 0, v135
	v_mov_b32_e32 v129, 0
	s_and_not1_b32 s7, s7, exec_lo
	s_delay_alu instid0(VALU_DEP_2) | instskip(NEXT) | instid1(SALU_CYCLE_1)
	s_and_b32 s23, vcc_lo, exec_lo
	s_or_b32 s7, s7, s23
	s_or_b32 exec_lo, exec_lo, s24
	s_and_saveexec_b32 s23, s7
	s_cbranch_execnz .LBB4_3747
	s_branch .LBB4_3748
.LBB4_4202:                             ;   in Loop: Header=BB4_2983 Depth=2
	s_mov_b32 s7, -1
	s_mov_b32 s25, exec_lo
                                        ; implicit-def: $sgpr23
	v_cmpx_eq_u16_e32 0x80, v117
; %bb.4203:                             ;   in Loop: Header=BB4_2983 Depth=2
	s_mov_b32 s23, 0x7f800001
	s_xor_b32 s7, exec_lo, -1
; %bb.4204:                             ;   in Loop: Header=BB4_2983 Depth=2
	s_or_b32 exec_lo, exec_lo, s25
	s_delay_alu instid0(SALU_CYCLE_1)
	s_and_b32 s7, s7, exec_lo
	s_or_saveexec_b32 s24, s24
	v_mov_b32_e32 v135, s23
	s_xor_b32 exec_lo, exec_lo, s24
	s_cbranch_execz .LBB4_3750
.LBB4_4205:                             ;   in Loop: Header=BB4_2983 Depth=2
	v_cmp_ne_u16_e32 vcc_lo, 0, v117
	v_mov_b32_e32 v135, 0
	s_and_not1_b32 s7, s7, exec_lo
	s_and_b32 s23, vcc_lo, exec_lo
	s_delay_alu instid0(SALU_CYCLE_1)
	s_or_b32 s7, s7, s23
	s_or_b32 exec_lo, exec_lo, s24
	s_and_saveexec_b32 s23, s7
	s_cbranch_execnz .LBB4_3751
	s_branch .LBB4_3752
.LBB4_4206:                             ;   in Loop: Header=BB4_2983 Depth=2
	s_mov_b32 s7, -1
	s_mov_b32 s25, exec_lo
                                        ; implicit-def: $sgpr23
	v_cmpx_eq_u16_e64 0x80, v129
; %bb.4207:                             ;   in Loop: Header=BB4_2983 Depth=2
	s_mov_b32 s23, 0x7f800001
	s_xor_b32 s7, exec_lo, -1
; %bb.4208:                             ;   in Loop: Header=BB4_2983 Depth=2
	s_or_b32 exec_lo, exec_lo, s25
	s_delay_alu instid0(SALU_CYCLE_1)
	s_and_b32 s7, s7, exec_lo
                                        ; implicit-def: $vgpr129
	s_or_saveexec_b32 s24, s24
	v_mov_b32_e32 v117, s23
	s_xor_b32 exec_lo, exec_lo, s24
	s_cbranch_execz .LBB4_3762
.LBB4_4209:                             ;   in Loop: Header=BB4_2983 Depth=2
	v_cmp_ne_u16_e64 vcc_lo, 0, v129
	v_mov_b32_e32 v117, 0
	s_and_not1_b32 s7, s7, exec_lo
	s_delay_alu instid0(VALU_DEP_2) | instskip(NEXT) | instid1(SALU_CYCLE_1)
	s_and_b32 s23, vcc_lo, exec_lo
	s_or_b32 s7, s7, s23
	s_or_b32 exec_lo, exec_lo, s24
	s_and_saveexec_b32 s23, s7
	s_cbranch_execnz .LBB4_3763
	s_branch .LBB4_3764
.LBB4_4210:                             ;   in Loop: Header=BB4_2983 Depth=2
	s_mov_b32 s7, -1
	s_mov_b32 s25, exec_lo
                                        ; implicit-def: $sgpr23
	v_cmpx_eq_u16_e64 0x80, v129
; %bb.4211:                             ;   in Loop: Header=BB4_2983 Depth=2
	s_mov_b32 s23, 0x7f800001
	s_xor_b32 s7, exec_lo, -1
; %bb.4212:                             ;   in Loop: Header=BB4_2983 Depth=2
	s_or_b32 exec_lo, exec_lo, s25
	s_delay_alu instid0(SALU_CYCLE_1)
	s_and_b32 s7, s7, exec_lo
                                        ; implicit-def: $vgpr129
	s_or_saveexec_b32 s24, s24
	v_mov_b32_e32 v112, s23
	s_xor_b32 exec_lo, exec_lo, s24
	s_cbranch_execz .LBB4_3766
.LBB4_4213:                             ;   in Loop: Header=BB4_2983 Depth=2
	v_cmp_ne_u16_e64 vcc_lo, 0, v129
	v_mov_b32_e32 v112, 0
	s_and_not1_b32 s7, s7, exec_lo
	s_delay_alu instid0(VALU_DEP_2) | instskip(NEXT) | instid1(SALU_CYCLE_1)
	s_and_b32 s23, vcc_lo, exec_lo
	s_or_b32 s7, s7, s23
	s_or_b32 exec_lo, exec_lo, s24
	s_and_saveexec_b32 s23, s7
	s_cbranch_execnz .LBB4_3767
	s_branch .LBB4_3768
.LBB4_4214:                             ;   in Loop: Header=BB4_2983 Depth=2
	s_mov_b32 s7, -1
	s_mov_b32 s25, exec_lo
                                        ; implicit-def: $sgpr23
	v_cmpx_eq_u16_e64 0x80, v129
; %bb.4215:                             ;   in Loop: Header=BB4_2983 Depth=2
	s_mov_b32 s23, 0x7f800001
	s_xor_b32 s7, exec_lo, -1
; %bb.4216:                             ;   in Loop: Header=BB4_2983 Depth=2
	s_or_b32 exec_lo, exec_lo, s25
	s_delay_alu instid0(SALU_CYCLE_1)
	s_and_b32 s7, s7, exec_lo
                                        ; implicit-def: $vgpr129
	s_or_saveexec_b32 s24, s24
	v_mov_b32_e32 v117, s23
	s_xor_b32 exec_lo, exec_lo, s24
	s_cbranch_execz .LBB4_3778
.LBB4_4217:                             ;   in Loop: Header=BB4_2983 Depth=2
	v_cmp_ne_u16_e64 vcc_lo, 0, v129
	v_mov_b32_e32 v117, 0
	s_and_not1_b32 s7, s7, exec_lo
	s_delay_alu instid0(VALU_DEP_2) | instskip(NEXT) | instid1(SALU_CYCLE_1)
	s_and_b32 s23, vcc_lo, exec_lo
	s_or_b32 s7, s7, s23
	s_or_b32 exec_lo, exec_lo, s24
	s_and_saveexec_b32 s23, s7
	s_cbranch_execnz .LBB4_3779
	s_branch .LBB4_3780
.LBB4_4218:                             ;   in Loop: Header=BB4_2983 Depth=2
	s_mov_b32 s7, -1
	s_mov_b32 s25, exec_lo
                                        ; implicit-def: $sgpr23
	v_cmpx_eq_u16_e32 0x80, v102
; %bb.4219:                             ;   in Loop: Header=BB4_2983 Depth=2
	s_mov_b32 s23, 0x7f800001
	s_xor_b32 s7, exec_lo, -1
; %bb.4220:                             ;   in Loop: Header=BB4_2983 Depth=2
	s_or_b32 exec_lo, exec_lo, s25
	s_delay_alu instid0(SALU_CYCLE_1)
	s_and_b32 s7, s7, exec_lo
	s_or_saveexec_b32 s24, s24
	v_mov_b32_e32 v129, s23
	s_xor_b32 exec_lo, exec_lo, s24
	s_cbranch_execz .LBB4_3782
.LBB4_4221:                             ;   in Loop: Header=BB4_2983 Depth=2
	v_cmp_ne_u16_e32 vcc_lo, 0, v102
	v_mov_b32_e32 v129, 0
	s_and_not1_b32 s7, s7, exec_lo
	s_and_b32 s23, vcc_lo, exec_lo
	s_delay_alu instid0(SALU_CYCLE_1)
	s_or_b32 s7, s7, s23
	s_or_b32 exec_lo, exec_lo, s24
	s_and_saveexec_b32 s23, s7
	s_cbranch_execnz .LBB4_3783
	s_branch .LBB4_3784
.LBB4_4222:                             ;   in Loop: Header=BB4_2983 Depth=2
	s_mov_b32 s7, -1
	s_mov_b32 s25, exec_lo
                                        ; implicit-def: $sgpr23
	v_cmpx_eq_u16_e64 0x80, v129
; %bb.4223:                             ;   in Loop: Header=BB4_2983 Depth=2
	s_mov_b32 s23, 0x7f800001
	s_xor_b32 s7, exec_lo, -1
; %bb.4224:                             ;   in Loop: Header=BB4_2983 Depth=2
	s_or_b32 exec_lo, exec_lo, s25
	s_delay_alu instid0(SALU_CYCLE_1)
	s_and_b32 s7, s7, exec_lo
                                        ; implicit-def: $vgpr129
	s_or_saveexec_b32 s24, s24
	v_mov_b32_e32 v117, s23
	s_xor_b32 exec_lo, exec_lo, s24
	s_cbranch_execz .LBB4_3794
.LBB4_4225:                             ;   in Loop: Header=BB4_2983 Depth=2
	v_cmp_ne_u16_e64 vcc_lo, 0, v129
	v_mov_b32_e32 v117, 0
	s_and_not1_b32 s7, s7, exec_lo
	s_delay_alu instid0(VALU_DEP_2) | instskip(NEXT) | instid1(SALU_CYCLE_1)
	s_and_b32 s23, vcc_lo, exec_lo
	s_or_b32 s7, s7, s23
	s_or_b32 exec_lo, exec_lo, s24
	s_and_saveexec_b32 s23, s7
	s_cbranch_execnz .LBB4_3795
	s_branch .LBB4_3796
.LBB4_4226:                             ;   in Loop: Header=BB4_2983 Depth=2
	s_mov_b32 s7, -1
	s_mov_b32 s25, exec_lo
                                        ; implicit-def: $sgpr23
	v_cmpx_eq_u16_e64 0x80, v135
; %bb.4227:                             ;   in Loop: Header=BB4_2983 Depth=2
	s_mov_b32 s23, 0x7f800001
	s_xor_b32 s7, exec_lo, -1
; %bb.4228:                             ;   in Loop: Header=BB4_2983 Depth=2
	s_or_b32 exec_lo, exec_lo, s25
	s_delay_alu instid0(SALU_CYCLE_1)
	s_and_b32 s7, s7, exec_lo
                                        ; implicit-def: $vgpr135
	s_or_saveexec_b32 s24, s24
	v_mov_b32_e32 v129, s23
	s_xor_b32 exec_lo, exec_lo, s24
	s_cbranch_execz .LBB4_3798
.LBB4_4229:                             ;   in Loop: Header=BB4_2983 Depth=2
	v_cmp_ne_u16_e64 vcc_lo, 0, v135
	v_mov_b32_e32 v129, 0
	s_and_not1_b32 s7, s7, exec_lo
	s_delay_alu instid0(VALU_DEP_2) | instskip(NEXT) | instid1(SALU_CYCLE_1)
	s_and_b32 s23, vcc_lo, exec_lo
	s_or_b32 s7, s7, s23
	s_or_b32 exec_lo, exec_lo, s24
	s_and_saveexec_b32 s23, s7
	s_cbranch_execnz .LBB4_3799
	s_branch .LBB4_3800
.LBB4_4230:                             ;   in Loop: Header=BB4_2983 Depth=2
	s_mov_b32 s7, -1
	s_mov_b32 s25, exec_lo
                                        ; implicit-def: $sgpr23
	v_cmpx_eq_u16_e64 0x80, v129
; %bb.4231:                             ;   in Loop: Header=BB4_2983 Depth=2
	s_mov_b32 s23, 0x7f800001
	s_xor_b32 s7, exec_lo, -1
; %bb.4232:                             ;   in Loop: Header=BB4_2983 Depth=2
	s_or_b32 exec_lo, exec_lo, s25
	s_delay_alu instid0(SALU_CYCLE_1)
	s_and_b32 s7, s7, exec_lo
	s_or_saveexec_b32 s24, s24
	v_mov_b32_e32 v117, s23
	s_xor_b32 exec_lo, exec_lo, s24
	s_cbranch_execz .LBB4_3810
.LBB4_4233:                             ;   in Loop: Header=BB4_2983 Depth=2
	v_cmp_ne_u16_e64 vcc_lo, 0, v129
	v_mov_b32_e32 v117, 0
	s_and_not1_b32 s7, s7, exec_lo
	s_delay_alu instid0(VALU_DEP_2) | instskip(NEXT) | instid1(SALU_CYCLE_1)
	s_and_b32 s23, vcc_lo, exec_lo
	s_or_b32 s7, s7, s23
	s_or_b32 exec_lo, exec_lo, s24
	s_and_saveexec_b32 s23, s7
	s_cbranch_execnz .LBB4_3811
	s_branch .LBB4_3812
.LBB4_4234:                             ;   in Loop: Header=BB4_2983 Depth=2
	s_mov_b32 s7, -1
	s_mov_b32 s25, exec_lo
                                        ; implicit-def: $sgpr23
	v_cmpx_eq_u16_e32 0x80, v98
; %bb.4235:                             ;   in Loop: Header=BB4_2983 Depth=2
	s_mov_b32 s23, 0x7f800001
	s_xor_b32 s7, exec_lo, -1
; %bb.4236:                             ;   in Loop: Header=BB4_2983 Depth=2
	s_or_b32 exec_lo, exec_lo, s25
	s_delay_alu instid0(SALU_CYCLE_1)
	s_and_b32 s7, s7, exec_lo
	s_or_saveexec_b32 s24, s24
	v_mov_b32_e32 v129, s23
	s_xor_b32 exec_lo, exec_lo, s24
	s_cbranch_execz .LBB4_3814
.LBB4_4237:                             ;   in Loop: Header=BB4_2983 Depth=2
	v_cmp_ne_u16_e32 vcc_lo, 0, v98
	v_mov_b32_e32 v129, 0
	s_and_not1_b32 s7, s7, exec_lo
	s_and_b32 s23, vcc_lo, exec_lo
	s_delay_alu instid0(SALU_CYCLE_1)
	s_or_b32 s7, s7, s23
	s_or_b32 exec_lo, exec_lo, s24
	s_and_saveexec_b32 s23, s7
	s_cbranch_execnz .LBB4_3815
	s_branch .LBB4_3816
.LBB4_4238:                             ;   in Loop: Header=BB4_2983 Depth=2
	s_mov_b32 s7, -1
	s_mov_b32 s25, exec_lo
                                        ; implicit-def: $sgpr23
	v_cmpx_eq_u16_e32 0x80, v98
; %bb.4239:                             ;   in Loop: Header=BB4_2983 Depth=2
	s_mov_b32 s23, 0x7f800001
	s_xor_b32 s7, exec_lo, -1
; %bb.4240:                             ;   in Loop: Header=BB4_2983 Depth=2
	s_or_b32 exec_lo, exec_lo, s25
	s_delay_alu instid0(SALU_CYCLE_1)
	s_and_b32 s7, s7, exec_lo
                                        ; implicit-def: $vgpr98
	s_or_saveexec_b32 s24, s24
	v_mov_b32_e32 v97, s23
	s_xor_b32 exec_lo, exec_lo, s24
	s_cbranch_execz .LBB4_3826
.LBB4_4241:                             ;   in Loop: Header=BB4_2983 Depth=2
	v_cmp_ne_u16_e32 vcc_lo, 0, v98
	v_mov_b32_e32 v97, 0
	s_and_not1_b32 s7, s7, exec_lo
	s_and_b32 s23, vcc_lo, exec_lo
	s_delay_alu instid0(SALU_CYCLE_1)
	s_or_b32 s7, s7, s23
	s_or_b32 exec_lo, exec_lo, s24
	s_and_saveexec_b32 s23, s7
	s_cbranch_execnz .LBB4_3827
	s_branch .LBB4_3828
.LBB4_4242:                             ;   in Loop: Header=BB4_2983 Depth=2
	s_mov_b32 s7, -1
	s_mov_b32 s25, exec_lo
                                        ; implicit-def: $sgpr23
	v_cmpx_eq_u16_e32 0x80, v117
; %bb.4243:                             ;   in Loop: Header=BB4_2983 Depth=2
	s_mov_b32 s23, 0x7f800001
	s_xor_b32 s7, exec_lo, -1
; %bb.4244:                             ;   in Loop: Header=BB4_2983 Depth=2
	s_or_b32 exec_lo, exec_lo, s25
	s_delay_alu instid0(SALU_CYCLE_1)
	s_and_b32 s7, s7, exec_lo
                                        ; implicit-def: $vgpr117
	s_or_saveexec_b32 s24, s24
	v_mov_b32_e32 v98, s23
	s_xor_b32 exec_lo, exec_lo, s24
	s_cbranch_execz .LBB4_3830
.LBB4_4245:                             ;   in Loop: Header=BB4_2983 Depth=2
	v_cmp_ne_u16_e32 vcc_lo, 0, v117
	v_mov_b32_e32 v98, 0
	s_and_not1_b32 s7, s7, exec_lo
	s_and_b32 s23, vcc_lo, exec_lo
	s_delay_alu instid0(SALU_CYCLE_1)
	s_or_b32 s7, s7, s23
	s_or_b32 exec_lo, exec_lo, s24
	s_and_saveexec_b32 s23, s7
	s_cbranch_execnz .LBB4_3831
	s_branch .LBB4_3832
.LBB4_4246:                             ;   in Loop: Header=BB4_2983 Depth=2
	s_mov_b32 s7, -1
	s_mov_b32 s25, exec_lo
                                        ; implicit-def: $sgpr23
	v_cmpx_eq_u16_e32 0x80, v117
; %bb.4247:                             ;   in Loop: Header=BB4_2983 Depth=2
	s_mov_b32 s23, 0x7f800001
	s_xor_b32 s7, exec_lo, -1
; %bb.4248:                             ;   in Loop: Header=BB4_2983 Depth=2
	s_or_b32 exec_lo, exec_lo, s25
	s_delay_alu instid0(SALU_CYCLE_1)
	s_and_b32 s7, s7, exec_lo
	s_or_saveexec_b32 s24, s24
	v_mov_b32_e32 v98, s23
	s_xor_b32 exec_lo, exec_lo, s24
	s_cbranch_execz .LBB4_3842
.LBB4_4249:                             ;   in Loop: Header=BB4_2983 Depth=2
	v_cmp_ne_u16_e32 vcc_lo, 0, v117
	v_mov_b32_e32 v98, 0
	s_and_not1_b32 s7, s7, exec_lo
	s_and_b32 s23, vcc_lo, exec_lo
	s_delay_alu instid0(SALU_CYCLE_1)
	s_or_b32 s7, s7, s23
	s_or_b32 exec_lo, exec_lo, s24
	s_and_saveexec_b32 s23, s7
	s_cbranch_execnz .LBB4_3843
	s_branch .LBB4_3844
.LBB4_4250:                             ;   in Loop: Header=BB4_2983 Depth=2
	s_mov_b32 s7, -1
	s_mov_b32 s25, exec_lo
                                        ; implicit-def: $sgpr23
	v_cmpx_eq_u16_e32 0x80, v117
; %bb.4251:                             ;   in Loop: Header=BB4_2983 Depth=2
	s_mov_b32 s23, 0x7f800001
	s_xor_b32 s7, exec_lo, -1
; %bb.4252:                             ;   in Loop: Header=BB4_2983 Depth=2
	s_or_b32 exec_lo, exec_lo, s25
	s_delay_alu instid0(SALU_CYCLE_1)
	s_and_b32 s7, s7, exec_lo
	s_or_saveexec_b32 s24, s24
	v_mov_b32_e32 v129, s23
	s_xor_b32 exec_lo, exec_lo, s24
	s_cbranch_execz .LBB4_3846
.LBB4_4253:                             ;   in Loop: Header=BB4_2983 Depth=2
	v_cmp_ne_u16_e32 vcc_lo, 0, v117
	v_mov_b32_e32 v129, 0
	s_and_not1_b32 s7, s7, exec_lo
	s_and_b32 s23, vcc_lo, exec_lo
	s_delay_alu instid0(SALU_CYCLE_1)
	s_or_b32 s7, s7, s23
	s_or_b32 exec_lo, exec_lo, s24
	s_and_saveexec_b32 s23, s7
	s_cbranch_execnz .LBB4_3847
	s_branch .LBB4_3848
.LBB4_4254:                             ;   in Loop: Header=BB4_2983 Depth=2
	s_mov_b32 s7, -1
	s_mov_b32 s25, exec_lo
                                        ; implicit-def: $sgpr23
	v_cmpx_eq_u16_e32 0x80, v117
; %bb.4255:                             ;   in Loop: Header=BB4_2983 Depth=2
	s_mov_b32 s23, 0x7f800001
	s_xor_b32 s7, exec_lo, -1
; %bb.4256:                             ;   in Loop: Header=BB4_2983 Depth=2
	s_or_b32 exec_lo, exec_lo, s25
	s_delay_alu instid0(SALU_CYCLE_1)
	s_and_b32 s7, s7, exec_lo
                                        ; implicit-def: $vgpr117
	s_or_saveexec_b32 s24, s24
	v_mov_b32_e32 v96, s23
	s_xor_b32 exec_lo, exec_lo, s24
	s_cbranch_execz .LBB4_3858
.LBB4_4257:                             ;   in Loop: Header=BB4_2983 Depth=2
	v_cmp_ne_u16_e32 vcc_lo, 0, v117
	v_mov_b32_e32 v96, 0
	s_and_not1_b32 s7, s7, exec_lo
	s_and_b32 s23, vcc_lo, exec_lo
	s_delay_alu instid0(SALU_CYCLE_1)
	s_or_b32 s7, s7, s23
	s_or_b32 exec_lo, exec_lo, s24
	v_lshl_or_b32 v100, v100, 16, v103
	s_and_saveexec_b32 s23, s7
	s_cbranch_execnz .LBB4_3859
	s_branch .LBB4_3860
.LBB4_4258:                             ;   in Loop: Header=BB4_2983 Depth=2
	s_mov_b32 s7, -1
	s_mov_b32 s25, exec_lo
                                        ; implicit-def: $sgpr23
	v_cmpx_eq_u16_e64 0x80, v129
; %bb.4259:                             ;   in Loop: Header=BB4_2983 Depth=2
	s_mov_b32 s23, 0x7f800001
	s_xor_b32 s7, exec_lo, -1
; %bb.4260:                             ;   in Loop: Header=BB4_2983 Depth=2
	s_or_b32 exec_lo, exec_lo, s25
	s_delay_alu instid0(SALU_CYCLE_1)
	s_and_b32 s7, s7, exec_lo
                                        ; implicit-def: $vgpr129
	s_or_saveexec_b32 s24, s24
	v_mov_b32_e32 v117, s23
	s_xor_b32 exec_lo, exec_lo, s24
	s_cbranch_execz .LBB4_3862
.LBB4_4261:                             ;   in Loop: Header=BB4_2983 Depth=2
	v_cmp_ne_u16_e64 vcc_lo, 0, v129
	v_mov_b32_e32 v117, 0
	s_and_not1_b32 s7, s7, exec_lo
	s_delay_alu instid0(VALU_DEP_2) | instskip(NEXT) | instid1(SALU_CYCLE_1)
	s_and_b32 s23, vcc_lo, exec_lo
	s_or_b32 s7, s7, s23
	s_or_b32 exec_lo, exec_lo, s24
	s_and_saveexec_b32 s23, s7
	s_cbranch_execnz .LBB4_3863
	s_branch .LBB4_3864
.LBB4_4262:                             ;   in Loop: Header=BB4_2983 Depth=2
	s_mov_b32 s7, -1
	s_mov_b32 s25, exec_lo
                                        ; implicit-def: $sgpr23
	v_cmpx_eq_u16_e32 0x80, v117
; %bb.4263:                             ;   in Loop: Header=BB4_2983 Depth=2
	s_mov_b32 s23, 0x7f800001
	s_xor_b32 s7, exec_lo, -1
; %bb.4264:                             ;   in Loop: Header=BB4_2983 Depth=2
	s_or_b32 exec_lo, exec_lo, s25
	s_delay_alu instid0(SALU_CYCLE_1)
	s_and_b32 s7, s7, exec_lo
	s_or_saveexec_b32 s24, s24
	v_mov_b32_e32 v103, s23
	s_xor_b32 exec_lo, exec_lo, s24
	s_cbranch_execz .LBB4_3874
.LBB4_4265:                             ;   in Loop: Header=BB4_2983 Depth=2
	v_cmp_ne_u16_e32 vcc_lo, 0, v117
	v_mov_b32_e32 v103, 0
	s_and_not1_b32 s7, s7, exec_lo
	s_and_b32 s23, vcc_lo, exec_lo
	s_delay_alu instid0(SALU_CYCLE_1)
	s_or_b32 s7, s7, s23
	s_or_b32 exec_lo, exec_lo, s24
	s_and_saveexec_b32 s23, s7
	s_cbranch_execnz .LBB4_3875
	s_branch .LBB4_3876
.LBB4_4266:                             ;   in Loop: Header=BB4_2983 Depth=2
	s_mov_b32 s7, -1
	s_mov_b32 s25, exec_lo
                                        ; implicit-def: $sgpr23
	v_cmpx_eq_u16_e32 0x80, v100
; %bb.4267:                             ;   in Loop: Header=BB4_2983 Depth=2
	s_mov_b32 s23, 0x7f800001
	s_xor_b32 s7, exec_lo, -1
; %bb.4268:                             ;   in Loop: Header=BB4_2983 Depth=2
	s_or_b32 exec_lo, exec_lo, s25
	s_delay_alu instid0(SALU_CYCLE_1)
	s_and_b32 s7, s7, exec_lo
	s_or_saveexec_b32 s24, s24
	v_mov_b32_e32 v117, s23
	s_xor_b32 exec_lo, exec_lo, s24
	s_cbranch_execz .LBB4_3878
.LBB4_4269:                             ;   in Loop: Header=BB4_2983 Depth=2
	v_cmp_ne_u16_e32 vcc_lo, 0, v100
	v_mov_b32_e32 v117, 0
	s_and_not1_b32 s7, s7, exec_lo
	s_and_b32 s23, vcc_lo, exec_lo
	s_delay_alu instid0(SALU_CYCLE_1)
	s_or_b32 s7, s7, s23
	s_or_b32 exec_lo, exec_lo, s24
	s_and_saveexec_b32 s23, s7
	s_cbranch_execnz .LBB4_3879
	s_branch .LBB4_3880
.LBB4_4270:                             ;   in Loop: Header=BB4_2897 Depth=1
	s_or_b32 exec_lo, exec_lo, s21
.LBB4_4271:                             ;   in Loop: Header=BB4_2897 Depth=1
	s_delay_alu instid0(SALU_CYCLE_1) | instskip(SKIP_3) | instid1(VALU_DEP_1)
	s_or_b32 exec_lo, exec_lo, s10
	v_dual_mov_b32 v48, 0 :: v_dual_and_b32 v11, 0x3ffffc00, v34
	s_mov_b32 s7, 0
	s_mov_b32 s21, exec_lo
                                        ; implicit-def: $vgpr49
                                        ; implicit-def: $vgpr50
                                        ; implicit-def: $vgpr10
	v_cmpx_ne_u32_e64 v11, v34
	s_cbranch_execz .LBB4_4929
; %bb.4272:                             ;   in Loop: Header=BB4_2897 Depth=1
	v_lshlrev_b32_e32 v10, 5, v85
	v_bfe_u32 v15, v34, 9, 1
	s_mov_b32 s22, exec_lo
	s_delay_alu instid0(VALU_DEP_2) | instskip(NEXT) | instid1(VALU_DEP_1)
	v_sub_nc_u32_e32 v10, v68, v10
	v_ashrrev_i32_e32 v12, 31, v10
	s_delay_alu instid0(VALU_DEP_1) | instskip(NEXT) | instid1(VALU_DEP_1)
	v_lshrrev_b32_e32 v12, 27, v12
	v_add_nc_u32_e32 v12, v10, v12
	s_delay_alu instid0(VALU_DEP_1) | instskip(SKIP_1) | instid1(VALU_DEP_2)
	v_and_b32_e32 v13, 0xffffffe0, v12
	v_ashrrev_i32_e32 v12, 5, v12
	v_sub_nc_u32_e32 v51, v10, v13
	v_and_b32_e32 v13, 0x3ff, v34
	v_and_b32_e32 v10, 0x200, v34
	s_delay_alu instid0(VALU_DEP_3) | instskip(NEXT) | instid1(VALU_DEP_2)
	v_lshlrev_b32_e32 v14, 4, v51
	v_sub_nc_u32_e32 v52, v13, v10
	s_delay_alu instid0(VALU_DEP_2) | instskip(NEXT) | instid1(VALU_DEP_2)
	v_lshl_add_u32 v10, v12, 9, v14
	v_cmp_lt_i32_e64 s7, 15, v52
	s_delay_alu instid0(VALU_DEP_2) | instskip(NEXT) | instid1(VALU_DEP_2)
	v_sub_nc_u32_e32 v50, v13, v10
	v_add_co_ci_u32_e64 v14, vcc_lo, 0, v15, s7
	s_delay_alu instid0(VALU_DEP_1) | instskip(NEXT) | instid1(VALU_DEP_3)
	v_sub_nc_u32_e32 v53, v14, v12
	v_cmpx_lt_i32_e32 15, v50
	s_cbranch_execz .LBB4_4926
; %bb.4273:                             ;   in Loop: Header=BB4_2897 Depth=1
	s_cbranch_execz .LBB4_4274
; %bb.7959:
	s_getpc_b64 s[34:35]
.Lpost_getpc115:
	s_add_u32 s34, s34, (.LBB4_7769-.Lpost_getpc115)&4294967295
	s_addc_u32 s35, s35, (.LBB4_7769-.Lpost_getpc115)>>32
	s_setpc_b64 s[34:35]
.LBB4_4274:                             ;   in Loop: Header=BB4_2897 Depth=1
	ds_load_b64 v[12:13], v0
	ds_load_b128 v[14:17], v0
	v_add_nc_u32_e32 v10, v10, v11
	s_delay_alu instid0(VALU_DEP_1)
	v_ashrrev_i32_e32 v11, 31, v10
	s_waitcnt lgkmcnt(1)
	v_readfirstlane_b32 s10, v12
	s_waitcnt lgkmcnt(0)
	v_add_co_u32 v14, vcc_lo, v14, v10
	v_add_co_ci_u32_e32 v15, vcc_lo, v15, v11, vcc_lo
	s_delay_alu instid0(VALU_DEP_3)
	s_and_b32 s23, s10, 7
	s_bfe_u32 s26, s10, 0x40003
	s_clz_i32_u32 s24, s23
	v_add_co_u32 v16, vcc_lo, v16, v10
	s_min_u32 s24, s24, 32
	v_add_co_ci_u32_e32 v17, vcc_lo, v17, v11, vcc_lo
	s_sub_i32 s25, s24, 28
	s_sub_i32 s24, 29, s24
	s_lshl_b32 s25, s10, s25
	v_add_co_u32 v48, vcc_lo, v12, v10
	s_and_b32 s25, s25, 7
	s_cmp_eq_u32 s26, 0
	v_add_co_ci_u32_e32 v49, vcc_lo, v13, v11, vcc_lo
	s_cselect_b32 s24, s24, s26
	s_cselect_b32 s23, s25, s23
	s_lshl_b32 s10, s10, 24
	s_lshl_b32 s25, s23, 20
	;; [unrolled: 1-line block ×3, first 2 shown]
	s_and_b32 s10, s10, 0x80000000
	s_add_i32 s23, s23, 0x3b800000
	v_and_b32_e32 v85, 0xff, v12
	s_or_b32 s10, s10, s23
	s_mov_b32 s23, 0
	s_or_b32 s24, s10, s25
	s_branch .LBB4_4278
.LBB4_4275:                             ;   in Loop: Header=BB4_4278 Depth=2
	s_or_b32 exec_lo, exec_lo, s10
	s_delay_alu instid0(VALU_DEP_1) | instskip(NEXT) | instid1(VALU_DEP_2)
	v_lshrrev_b32_e32 v99, 20, v99
	v_cmp_gt_i32_e32 vcc_lo, 16, v97
	v_min_i32_e32 v116, 15, v97
	v_lshrrev_b32_e32 v13, 24, v13
	s_delay_alu instid0(VALU_DEP_2) | instskip(NEXT) | instid1(VALU_DEP_2)
	v_dual_cndmask_b32 v99, 7, v99 :: v_dual_lshlrev_b32 v116, 3, v116
	v_and_b32_e32 v13, 0x80, v13
	s_delay_alu instid0(VALU_DEP_2) | instskip(SKIP_1) | instid1(VALU_DEP_2)
	v_or_b32_e32 v97, v97, v99
	v_and_b32_e32 v117, 7, v99
	v_cmp_ne_u32_e32 vcc_lo, 0, v97
	v_and_b32_e32 v116, 0xf8, v116
	s_delay_alu instid0(VALU_DEP_1) | instskip(NEXT) | instid1(VALU_DEP_1)
	v_or3_b32 v13, v13, v116, v117
	v_lshlrev_b32_e32 v13, 8, v13
	s_delay_alu instid0(VALU_DEP_1)
	v_cndmask_b32_e32 v97, 0, v13, vcc_lo
.LBB4_4276:                             ;   in Loop: Header=BB4_4278 Depth=2
	s_or_b32 exec_lo, exec_lo, s26
.LBB4_4277:                             ;   in Loop: Header=BB4_4278 Depth=2
	s_delay_alu instid0(SALU_CYCLE_1)
	s_or_b32 exec_lo, exec_lo, s25
	v_or_b32_e32 v11, v11, v113
	v_and_b32_e32 v13, 0xff, v112
	v_lshlrev_b32_e32 v98, 8, v98
	v_and_b32_e32 v100, 0xff, v100
	v_lshlrev_b32_e32 v101, 8, v101
	v_or_b32_e32 v87, v97, v87
	v_and_b32_e32 v99, 0xff, v114
	v_lshlrev_b32_e32 v10, 24, v10
	v_lshlrev_b32_e32 v11, 16, v11
	v_lshlrev_b32_e32 v13, 16, v13
	v_perm_b32 v86, v98, v86, 0xc0c0500
	v_lshlrev_b32_e32 v12, 24, v12
	v_lshlrev_b32_e32 v97, 16, v100
	v_perm_b32 v98, v101, v103, 0xc0c0500
	v_and_b32_e32 v96, 0xff, v96
	v_lshlrev_b32_e32 v87, 16, v87
	v_add_co_u32 v14, vcc_lo, v14, v81
	v_or3_b32 v11, v115, v99, v11
	v_or3_b32 v10, v10, v13, v86
	;; [unrolled: 1-line block ×4, first 2 shown]
	v_sub_nc_u32_e32 v50, v50, v67
	v_add_co_ci_u32_e32 v15, vcc_lo, v15, v82, vcc_lo
	v_add_co_u32 v16, vcc_lo, v16, v81
	v_add_co_ci_u32_e32 v17, vcc_lo, v17, v82, vcc_lo
	global_store_b128 v[48:49], v[10:13], off glc slc dlc
	v_cmp_gt_i32_e32 vcc_lo, 16, v50
	v_add_co_u32 v48, s10, v48, v81
	s_delay_alu instid0(VALU_DEP_1) | instskip(SKIP_2) | instid1(SALU_CYCLE_1)
	v_add_co_ci_u32_e64 v49, s10, v49, v82, s10
	v_sub_nc_u32_e32 v53, v53, v54
	s_or_b32 s23, vcc_lo, s23
	s_and_not1_b32 exec_lo, exec_lo, s23
	s_cbranch_execz .LBB4_4925
.LBB4_4278:                             ;   Parent Loop BB4_2897 Depth=1
                                        ; =>  This Inner Loop Header: Depth=2
	v_cmp_gt_i16_e32 vcc_lo, 0x80, v85
	s_cbranch_vccnz .LBB4_4282
; %bb.4279:                             ;   in Loop: Header=BB4_4278 Depth=2
	v_cmp_eq_u16_e32 vcc_lo, 0x80, v85
	s_mov_b32 s10, -1
                                        ; implicit-def: $sgpr25
	s_cbranch_vccz .LBB4_4281
; %bb.4280:                             ;   in Loop: Header=BB4_4278 Depth=2
	s_mov_b32 s10, 0
	s_mov_b32 s25, 0x7f800001
.LBB4_4281:                             ;   in Loop: Header=BB4_4278 Depth=2
	s_mov_b32 s26, 0
	s_branch .LBB4_4283
.LBB4_4282:                             ;   in Loop: Header=BB4_4278 Depth=2
	s_mov_b32 s26, -1
	s_mov_b32 s10, 0
                                        ; implicit-def: $sgpr25
.LBB4_4283:                             ;   in Loop: Header=BB4_4278 Depth=2
	s_and_b32 vcc_lo, exec_lo, s26
	s_cbranch_vccz .LBB4_4285
; %bb.4284:                             ;   in Loop: Header=BB4_4278 Depth=2
	v_cmp_ne_u16_e64 s10, 0, v85
	s_mov_b32 s25, 0
.LBB4_4285:                             ;   in Loop: Header=BB4_4278 Depth=2
	s_delay_alu instid0(VALU_DEP_1)
	s_and_not1_b32 vcc_lo, exec_lo, s10
	s_cbranch_vccnz .LBB4_4287
; %bb.4286:                             ;   in Loop: Header=BB4_4278 Depth=2
	s_mov_b32 s25, s24
.LBB4_4287:                             ;   in Loop: Header=BB4_4278 Depth=2
	global_load_b128 v[10:13], v[14:15], off slc dlc
	s_mov_b32 s10, 0
	s_mov_b32 s27, exec_lo
                                        ; implicit-def: $sgpr26
	s_waitcnt vmcnt(0)
	v_and_b32_e32 v87, 0xff, v10
	s_delay_alu instid0(VALU_DEP_1)
	v_cmpx_lt_i16_e32 0x7f, v87
	s_xor_b32 s27, exec_lo, s27
	s_cbranch_execnz .LBB4_4733
; %bb.4288:                             ;   in Loop: Header=BB4_4278 Depth=2
	s_or_saveexec_b32 s27, s27
	v_mov_b32_e32 v86, s26
	s_xor_b32 exec_lo, exec_lo, s27
	s_cbranch_execnz .LBB4_4736
.LBB4_4289:                             ;   in Loop: Header=BB4_4278 Depth=2
	s_or_b32 exec_lo, exec_lo, s27
	s_and_saveexec_b32 s26, s10
	s_cbranch_execz .LBB4_4291
.LBB4_4290:                             ;   in Loop: Header=BB4_4278 Depth=2
	v_bfe_u32 v97, v10, 3, 4
	v_lshlrev_b32_e32 v98, 24, v10
	s_delay_alu instid0(VALU_DEP_2) | instskip(SKIP_1) | instid1(VALU_DEP_1)
	v_cmp_eq_u32_e32 vcc_lo, 0, v97
	v_and_b32_e32 v86, 7, v10
	v_clz_i32_u32_e32 v87, v86
	s_delay_alu instid0(VALU_DEP_1) | instskip(NEXT) | instid1(VALU_DEP_1)
	v_min_u32_e32 v87, 32, v87
	v_subrev_nc_u32_e32 v96, 28, v87
	v_sub_nc_u32_e32 v87, 29, v87
	s_delay_alu instid0(VALU_DEP_1) | instskip(NEXT) | instid1(VALU_DEP_1)
	v_dual_cndmask_b32 v87, v97, v87 :: v_dual_lshlrev_b32 v96, v96, v10
	v_and_b32_e32 v96, 7, v96
	s_delay_alu instid0(VALU_DEP_2) | instskip(NEXT) | instid1(VALU_DEP_2)
	v_lshl_add_u32 v87, v87, 23, 0x3b800000
	v_cndmask_b32_e32 v86, v86, v96, vcc_lo
	v_and_b32_e32 v96, 0x80000000, v98
	s_delay_alu instid0(VALU_DEP_2) | instskip(NEXT) | instid1(VALU_DEP_1)
	v_lshlrev_b32_e32 v86, 20, v86
	v_or3_b32 v86, v96, v87, v86
.LBB4_4291:                             ;   in Loop: Header=BB4_4278 Depth=2
	s_or_b32 exec_lo, exec_lo, s26
	s_delay_alu instid0(VALU_DEP_1) | instskip(NEXT) | instid1(VALU_DEP_1)
	v_mul_f32_e32 v87, s25, v86
	v_and_b32_e32 v86, 0x7f800000, v87
	s_delay_alu instid0(VALU_DEP_1)
	v_cmp_ne_u32_e32 vcc_lo, 0x7f800000, v86
	v_mov_b32_e32 v86, 0x80
	s_and_saveexec_b32 s26, vcc_lo
	s_cbranch_execz .LBB4_4299
; %bb.4292:                             ;   in Loop: Header=BB4_4278 Depth=2
	v_mov_b32_e32 v86, 0
	s_mov_b32 s27, exec_lo
	v_cmpx_ne_u32_e32 0, v87
	s_cbranch_execz .LBB4_4298
; %bb.4293:                             ;   in Loop: Header=BB4_4278 Depth=2
	v_bfe_u32 v86, v87, 23, 8
	s_delay_alu instid0(VALU_DEP_1) | instskip(SKIP_1) | instid1(VALU_DEP_2)
	v_sub_nc_u32_e32 v97, 0x78, v86
	v_cmp_gt_u32_e32 vcc_lo, 0x79, v86
	v_dual_cndmask_b32 v97, 0, v97 :: v_dual_and_b32 v96, 0x7fffff, v87
	s_delay_alu instid0(VALU_DEP_1) | instskip(SKIP_2) | instid1(VALU_DEP_4)
	v_or_b32_e32 v98, 0x800000, v96
	v_cmp_eq_u32_e32 vcc_lo, 0, v86
	v_add_nc_u32_e32 v86, 0xffffff89, v86
	v_cndmask_b32_e64 v97, v97, 0x77, vcc_lo
	s_delay_alu instid0(VALU_DEP_2) | instskip(SKIP_1) | instid1(VALU_DEP_3)
	v_cndmask_b32_e64 v86, v86, 0xffffff8a, vcc_lo
	v_cndmask_b32_e32 v96, v98, v96, vcc_lo
	v_lshl_add_u32 v98, 0x100000, v97, -1
	v_lshlrev_b32_e64 v101, v97, 0x80000
	s_delay_alu instid0(VALU_DEP_3) | instskip(SKIP_1) | instid1(VALU_DEP_4)
	v_lshrrev_b32_e32 v99, v97, v96
	v_add_nc_u32_e32 v97, v97, v86
	v_and_b32_e32 v96, v98, v96
	s_delay_alu instid0(VALU_DEP_3) | instskip(NEXT) | instid1(VALU_DEP_2)
	v_bfe_u32 v100, v99, 20, 1
	v_cmp_eq_u32_e64 s10, v96, v101
	s_delay_alu instid0(VALU_DEP_2) | instskip(NEXT) | instid1(VALU_DEP_1)
	v_add_nc_u32_e32 v98, -1, v100
	v_cndmask_b32_e64 v96, 0, v98, s10
	v_lshrrev_b32_e32 v98, 23, v99
	s_mov_b32 s10, exec_lo
	s_delay_alu instid0(VALU_DEP_2) | instskip(NEXT) | instid1(VALU_DEP_2)
	v_add_nc_u32_e32 v96, v96, v99
	v_xor_b32_e32 v98, 1, v98
	s_delay_alu instid0(VALU_DEP_2) | instskip(NEXT) | instid1(VALU_DEP_1)
	v_and_b32_e32 v86, 0xfffff, v96
	v_add_nc_u32_e32 v96, v86, v99
                                        ; implicit-def: $vgpr86
	s_delay_alu instid0(VALU_DEP_3)
	v_cmpx_ne_u32_e64 v97, v98
	s_xor_b32 s10, exec_lo, s10
; %bb.4294:                             ;   in Loop: Header=BB4_4278 Depth=2
	s_delay_alu instid0(VALU_DEP_2) | instskip(SKIP_2) | instid1(VALU_DEP_2)
	v_cmp_lt_u32_e32 vcc_lo, 0xffffff, v96
	v_sub_nc_u32_e32 v86, v97, v98
	v_cndmask_b32_e64 v97, 0, 1, vcc_lo
	v_add_co_ci_u32_e32 v86, vcc_lo, 0, v86, vcc_lo
	s_delay_alu instid0(VALU_DEP_2)
	v_lshrrev_b32_e32 v96, v97, v96
; %bb.4295:                             ;   in Loop: Header=BB4_4278 Depth=2
	s_and_not1_saveexec_b32 s10, s10
; %bb.4296:                             ;   in Loop: Header=BB4_4278 Depth=2
	s_delay_alu instid0(VALU_DEP_1)
	v_bfe_u32 v86, v96, 23, 1
; %bb.4297:                             ;   in Loop: Header=BB4_4278 Depth=2
	s_or_b32 exec_lo, exec_lo, s10
	v_lshrrev_b32_e32 v96, 20, v96
	s_delay_alu instid0(VALU_DEP_2) | instskip(SKIP_2) | instid1(VALU_DEP_2)
	v_cmp_gt_i32_e32 vcc_lo, 16, v86
	v_lshrrev_b32_e32 v87, 24, v87
	v_min_i32_e32 v97, 15, v86
	v_dual_cndmask_b32 v96, 7, v96 :: v_dual_and_b32 v87, 0x80, v87
	s_delay_alu instid0(VALU_DEP_1) | instskip(SKIP_1) | instid1(VALU_DEP_2)
	v_or_b32_e32 v86, v86, v96
	v_and_b32_e32 v98, 7, v96
	v_cmp_ne_u32_e32 vcc_lo, 0, v86
	v_lshlrev_b32_e32 v97, 3, v97
	s_delay_alu instid0(VALU_DEP_1) | instskip(NEXT) | instid1(VALU_DEP_1)
	v_or3_b32 v87, v97, v87, v98
	v_cndmask_b32_e32 v86, 0, v87, vcc_lo
.LBB4_4298:                             ;   in Loop: Header=BB4_4278 Depth=2
	s_or_b32 exec_lo, exec_lo, s27
.LBB4_4299:                             ;   in Loop: Header=BB4_4278 Depth=2
	s_delay_alu instid0(SALU_CYCLE_1) | instskip(SKIP_3) | instid1(VALU_DEP_1)
	s_or_b32 exec_lo, exec_lo, s26
	v_lshrrev_b16 v87, 8, v10
	s_mov_b32 s10, 0
	s_mov_b32 s27, exec_lo
                                        ; implicit-def: $sgpr26
	v_cmpx_lt_i16_e32 0x7f, v87
	s_xor_b32 s27, exec_lo, s27
	s_cbranch_execnz .LBB4_4737
; %bb.4300:                             ;   in Loop: Header=BB4_4278 Depth=2
	s_or_saveexec_b32 s27, s27
	v_mov_b32_e32 v96, s26
	s_xor_b32 exec_lo, exec_lo, s27
	s_cbranch_execnz .LBB4_4740
.LBB4_4301:                             ;   in Loop: Header=BB4_4278 Depth=2
	s_or_b32 exec_lo, exec_lo, s27
	s_and_saveexec_b32 s26, s10
	s_cbranch_execz .LBB4_4303
.LBB4_4302:                             ;   in Loop: Header=BB4_4278 Depth=2
	v_and_b32_e32 v96, 0xffff, v87
	v_lshlrev_b32_e32 v87, 24, v87
	s_delay_alu instid0(VALU_DEP_2) | instskip(NEXT) | instid1(VALU_DEP_2)
	v_and_b32_e32 v97, 7, v96
	v_and_b32_e32 v87, 0x80000000, v87
	s_delay_alu instid0(VALU_DEP_2) | instskip(NEXT) | instid1(VALU_DEP_1)
	v_clz_i32_u32_e32 v98, v97
	v_min_u32_e32 v98, 32, v98
	s_delay_alu instid0(VALU_DEP_1) | instskip(SKIP_1) | instid1(VALU_DEP_2)
	v_subrev_nc_u32_e32 v99, 28, v98
	v_sub_nc_u32_e32 v98, 29, v98
	v_lshlrev_b32_e32 v99, v99, v96
	v_bfe_u32 v96, v96, 3, 4
	s_delay_alu instid0(VALU_DEP_2) | instskip(NEXT) | instid1(VALU_DEP_2)
	v_and_b32_e32 v99, 7, v99
	v_cmp_eq_u32_e32 vcc_lo, 0, v96
	s_delay_alu instid0(VALU_DEP_2) | instskip(NEXT) | instid1(VALU_DEP_1)
	v_dual_cndmask_b32 v96, v96, v98 :: v_dual_cndmask_b32 v97, v97, v99
	v_lshl_add_u32 v96, v96, 23, 0x3b800000
	s_delay_alu instid0(VALU_DEP_2) | instskip(NEXT) | instid1(VALU_DEP_1)
	v_lshlrev_b32_e32 v97, 20, v97
	v_or3_b32 v96, v87, v96, v97
.LBB4_4303:                             ;   in Loop: Header=BB4_4278 Depth=2
	s_or_b32 exec_lo, exec_lo, s26
	s_delay_alu instid0(VALU_DEP_1) | instskip(SKIP_1) | instid1(VALU_DEP_1)
	v_dual_mul_f32 v87, s25, v96 :: v_dual_mov_b32 v98, 0x80
	s_mov_b32 s26, exec_lo
	v_and_b32_e32 v96, 0x7f800000, v87
	s_delay_alu instid0(VALU_DEP_1)
	v_cmpx_ne_u32_e32 0x7f800000, v96
	s_cbranch_execz .LBB4_4311
; %bb.4304:                             ;   in Loop: Header=BB4_4278 Depth=2
	v_mov_b32_e32 v98, 0
	s_mov_b32 s27, exec_lo
	v_cmpx_ne_u32_e32 0, v87
	s_cbranch_execz .LBB4_4310
; %bb.4305:                             ;   in Loop: Header=BB4_4278 Depth=2
	v_bfe_u32 v96, v87, 23, 8
	s_delay_alu instid0(VALU_DEP_1) | instskip(SKIP_1) | instid1(VALU_DEP_2)
	v_sub_nc_u32_e32 v98, 0x78, v96
	v_cmp_gt_u32_e32 vcc_lo, 0x79, v96
	v_dual_cndmask_b32 v98, 0, v98 :: v_dual_and_b32 v97, 0x7fffff, v87
	s_delay_alu instid0(VALU_DEP_1) | instskip(SKIP_2) | instid1(VALU_DEP_4)
	v_or_b32_e32 v99, 0x800000, v97
	v_cmp_eq_u32_e32 vcc_lo, 0, v96
	v_add_nc_u32_e32 v96, 0xffffff89, v96
	v_cndmask_b32_e64 v98, v98, 0x77, vcc_lo
	s_delay_alu instid0(VALU_DEP_4) | instskip(NEXT) | instid1(VALU_DEP_3)
	v_cndmask_b32_e32 v97, v99, v97, vcc_lo
	v_cndmask_b32_e64 v96, v96, 0xffffff8a, vcc_lo
	s_delay_alu instid0(VALU_DEP_3) | instskip(NEXT) | instid1(VALU_DEP_3)
	v_lshl_add_u32 v99, 0x100000, v98, -1
	v_lshrrev_b32_e32 v100, v98, v97
	v_lshlrev_b32_e64 v102, v98, 0x80000
	s_delay_alu instid0(VALU_DEP_4) | instskip(NEXT) | instid1(VALU_DEP_4)
	v_add_nc_u32_e32 v98, v98, v96
	v_and_b32_e32 v97, v99, v97
	s_delay_alu instid0(VALU_DEP_4) | instskip(NEXT) | instid1(VALU_DEP_2)
	v_bfe_u32 v101, v100, 20, 1
	v_cmp_eq_u32_e64 s10, v97, v102
	s_delay_alu instid0(VALU_DEP_2) | instskip(NEXT) | instid1(VALU_DEP_1)
	v_add_nc_u32_e32 v99, -1, v101
	v_cndmask_b32_e64 v97, 0, v99, s10
	v_lshrrev_b32_e32 v99, 23, v100
	s_mov_b32 s10, exec_lo
	s_delay_alu instid0(VALU_DEP_2) | instskip(NEXT) | instid1(VALU_DEP_2)
	v_add_nc_u32_e32 v97, v97, v100
	v_xor_b32_e32 v99, 1, v99
	s_delay_alu instid0(VALU_DEP_2) | instskip(NEXT) | instid1(VALU_DEP_1)
	v_and_b32_e32 v96, 0xfffff, v97
	v_add_nc_u32_e32 v97, v96, v100
                                        ; implicit-def: $vgpr96
	s_delay_alu instid0(VALU_DEP_3)
	v_cmpx_ne_u32_e64 v98, v99
	s_xor_b32 s10, exec_lo, s10
; %bb.4306:                             ;   in Loop: Header=BB4_4278 Depth=2
	s_delay_alu instid0(VALU_DEP_2) | instskip(SKIP_2) | instid1(VALU_DEP_2)
	v_cmp_lt_u32_e32 vcc_lo, 0xffffff, v97
	v_sub_nc_u32_e32 v96, v98, v99
	v_cndmask_b32_e64 v98, 0, 1, vcc_lo
	v_add_co_ci_u32_e32 v96, vcc_lo, 0, v96, vcc_lo
	s_delay_alu instid0(VALU_DEP_2)
	v_lshrrev_b32_e32 v97, v98, v97
; %bb.4307:                             ;   in Loop: Header=BB4_4278 Depth=2
	s_and_not1_saveexec_b32 s10, s10
; %bb.4308:                             ;   in Loop: Header=BB4_4278 Depth=2
	s_delay_alu instid0(VALU_DEP_1)
	v_bfe_u32 v96, v97, 23, 1
; %bb.4309:                             ;   in Loop: Header=BB4_4278 Depth=2
	s_or_b32 exec_lo, exec_lo, s10
	v_lshrrev_b32_e32 v97, 20, v97
	s_delay_alu instid0(VALU_DEP_2) | instskip(SKIP_2) | instid1(VALU_DEP_2)
	v_cmp_gt_i32_e32 vcc_lo, 16, v96
	v_min_i32_e32 v98, 15, v96
	v_lshrrev_b32_e32 v87, 24, v87
	v_dual_cndmask_b32 v97, 7, v97 :: v_dual_lshlrev_b32 v98, 3, v98
	s_delay_alu instid0(VALU_DEP_2) | instskip(NEXT) | instid1(VALU_DEP_2)
	v_and_b32_e32 v87, 0x80, v87
	v_or_b32_e32 v96, v96, v97
	s_delay_alu instid0(VALU_DEP_1) | instskip(SKIP_1) | instid1(VALU_DEP_1)
	v_cmp_ne_u32_e32 vcc_lo, 0, v96
	v_and_b32_e32 v99, 7, v97
	v_or3_b32 v87, v98, v87, v99
	s_delay_alu instid0(VALU_DEP_1)
	v_cndmask_b32_e32 v98, 0, v87, vcc_lo
.LBB4_4310:                             ;   in Loop: Header=BB4_4278 Depth=2
	s_or_b32 exec_lo, exec_lo, s27
.LBB4_4311:                             ;   in Loop: Header=BB4_4278 Depth=2
	s_delay_alu instid0(SALU_CYCLE_1) | instskip(SKIP_3) | instid1(VALU_DEP_1)
	s_or_b32 exec_lo, exec_lo, s26
	v_lshrrev_b32_e32 v87, 16, v10
	s_mov_b32 s10, 0
	s_mov_b32 s27, exec_lo
                                        ; implicit-def: $sgpr26
	v_and_b32_e32 v97, 0xff, v87
	s_delay_alu instid0(VALU_DEP_1)
	v_cmpx_lt_i16_e32 0x7f, v97
	s_xor_b32 s27, exec_lo, s27
	s_cbranch_execnz .LBB4_4741
; %bb.4312:                             ;   in Loop: Header=BB4_4278 Depth=2
	s_or_saveexec_b32 s27, s27
	v_mov_b32_e32 v96, s26
	s_xor_b32 exec_lo, exec_lo, s27
	s_cbranch_execnz .LBB4_4744
.LBB4_4313:                             ;   in Loop: Header=BB4_4278 Depth=2
	s_or_b32 exec_lo, exec_lo, s27
	s_and_saveexec_b32 s26, s10
	s_cbranch_execz .LBB4_4315
.LBB4_4314:                             ;   in Loop: Header=BB4_4278 Depth=2
	v_bfe_u32 v96, v10, 16, 3
	s_delay_alu instid0(VALU_DEP_1) | instskip(NEXT) | instid1(VALU_DEP_1)
	v_clz_i32_u32_e32 v97, v96
	v_min_u32_e32 v97, 32, v97
	s_delay_alu instid0(VALU_DEP_1) | instskip(SKIP_1) | instid1(VALU_DEP_2)
	v_subrev_nc_u32_e32 v99, 28, v97
	v_sub_nc_u32_e32 v97, 29, v97
	v_lshlrev_b32_e32 v87, v99, v87
	v_bfe_u32 v99, v10, 19, 4
	s_delay_alu instid0(VALU_DEP_2) | instskip(NEXT) | instid1(VALU_DEP_2)
	v_and_b32_e32 v87, 7, v87
	v_cmp_eq_u32_e32 vcc_lo, 0, v99
	v_dual_cndmask_b32 v97, v99, v97 :: v_dual_lshlrev_b32 v100, 8, v10
	s_delay_alu instid0(VALU_DEP_1) | instskip(NEXT) | instid1(VALU_DEP_2)
	v_dual_cndmask_b32 v87, v96, v87 :: v_dual_and_b32 v96, 0x80000000, v100
	v_lshl_add_u32 v97, v97, 23, 0x3b800000
	s_delay_alu instid0(VALU_DEP_2) | instskip(NEXT) | instid1(VALU_DEP_1)
	v_lshlrev_b32_e32 v87, 20, v87
	v_or3_b32 v96, v96, v97, v87
.LBB4_4315:                             ;   in Loop: Header=BB4_4278 Depth=2
	s_or_b32 exec_lo, exec_lo, s26
	s_delay_alu instid0(VALU_DEP_1) | instskip(SKIP_1) | instid1(VALU_DEP_1)
	v_dual_mul_f32 v87, s25, v96 :: v_dual_mov_b32 v112, 0x80
	s_mov_b32 s26, exec_lo
	v_and_b32_e32 v96, 0x7f800000, v87
	s_delay_alu instid0(VALU_DEP_1)
	v_cmpx_ne_u32_e32 0x7f800000, v96
	s_cbranch_execz .LBB4_4323
; %bb.4316:                             ;   in Loop: Header=BB4_4278 Depth=2
	v_mov_b32_e32 v112, 0
	s_mov_b32 s27, exec_lo
	v_cmpx_ne_u32_e32 0, v87
	s_cbranch_execz .LBB4_4322
; %bb.4317:                             ;   in Loop: Header=BB4_4278 Depth=2
	v_bfe_u32 v96, v87, 23, 8
	v_and_b32_e32 v97, 0x7fffff, v87
	s_delay_alu instid0(VALU_DEP_2) | instskip(SKIP_1) | instid1(VALU_DEP_3)
	v_sub_nc_u32_e32 v99, 0x78, v96
	v_cmp_gt_u32_e32 vcc_lo, 0x79, v96
	v_or_b32_e32 v100, 0x800000, v97
	s_delay_alu instid0(VALU_DEP_3) | instskip(SKIP_2) | instid1(VALU_DEP_3)
	v_cndmask_b32_e32 v99, 0, v99, vcc_lo
	v_cmp_eq_u32_e32 vcc_lo, 0, v96
	v_add_nc_u32_e32 v96, 0xffffff89, v96
	v_cndmask_b32_e64 v99, v99, 0x77, vcc_lo
	v_cndmask_b32_e32 v97, v100, v97, vcc_lo
	s_delay_alu instid0(VALU_DEP_3) | instskip(NEXT) | instid1(VALU_DEP_3)
	v_cndmask_b32_e64 v96, v96, 0xffffff8a, vcc_lo
	v_lshl_add_u32 v100, 0x100000, v99, -1
	s_delay_alu instid0(VALU_DEP_3) | instskip(SKIP_1) | instid1(VALU_DEP_4)
	v_lshrrev_b32_e32 v101, v99, v97
	v_lshlrev_b32_e64 v103, v99, 0x80000
	v_add_nc_u32_e32 v99, v99, v96
	s_delay_alu instid0(VALU_DEP_4) | instskip(NEXT) | instid1(VALU_DEP_4)
	v_and_b32_e32 v97, v100, v97
	v_bfe_u32 v102, v101, 20, 1
	s_delay_alu instid0(VALU_DEP_2) | instskip(NEXT) | instid1(VALU_DEP_2)
	v_cmp_eq_u32_e64 s10, v97, v103
	v_add_nc_u32_e32 v100, -1, v102
	s_delay_alu instid0(VALU_DEP_1) | instskip(SKIP_2) | instid1(VALU_DEP_2)
	v_cndmask_b32_e64 v97, 0, v100, s10
	v_lshrrev_b32_e32 v100, 23, v101
	s_mov_b32 s10, exec_lo
	v_add_nc_u32_e32 v97, v97, v101
	s_delay_alu instid0(VALU_DEP_2) | instskip(NEXT) | instid1(VALU_DEP_2)
	v_xor_b32_e32 v100, 1, v100
	v_and_b32_e32 v96, 0xfffff, v97
	s_delay_alu instid0(VALU_DEP_1) | instskip(NEXT) | instid1(VALU_DEP_3)
	v_add_nc_u32_e32 v97, v96, v101
                                        ; implicit-def: $vgpr96
	v_cmpx_ne_u32_e64 v99, v100
	s_xor_b32 s10, exec_lo, s10
; %bb.4318:                             ;   in Loop: Header=BB4_4278 Depth=2
	s_delay_alu instid0(VALU_DEP_2) | instskip(SKIP_2) | instid1(VALU_DEP_2)
	v_cmp_lt_u32_e32 vcc_lo, 0xffffff, v97
	v_sub_nc_u32_e32 v96, v99, v100
	v_cndmask_b32_e64 v99, 0, 1, vcc_lo
	v_add_co_ci_u32_e32 v96, vcc_lo, 0, v96, vcc_lo
	s_delay_alu instid0(VALU_DEP_2)
	v_lshrrev_b32_e32 v97, v99, v97
; %bb.4319:                             ;   in Loop: Header=BB4_4278 Depth=2
	s_and_not1_saveexec_b32 s10, s10
; %bb.4320:                             ;   in Loop: Header=BB4_4278 Depth=2
	s_delay_alu instid0(VALU_DEP_1)
	v_bfe_u32 v96, v97, 23, 1
; %bb.4321:                             ;   in Loop: Header=BB4_4278 Depth=2
	s_or_b32 exec_lo, exec_lo, s10
	v_lshrrev_b32_e32 v97, 20, v97
	s_delay_alu instid0(VALU_DEP_2) | instskip(SKIP_2) | instid1(VALU_DEP_4)
	v_cmp_gt_i32_e32 vcc_lo, 16, v96
	v_lshrrev_b32_e32 v87, 24, v87
	v_min_i32_e32 v99, 15, v96
	v_cndmask_b32_e32 v97, 7, v97, vcc_lo
	s_delay_alu instid0(VALU_DEP_3) | instskip(NEXT) | instid1(VALU_DEP_3)
	v_and_b32_e32 v87, 0x80, v87
	v_lshlrev_b32_e32 v99, 3, v99
	s_delay_alu instid0(VALU_DEP_3) | instskip(SKIP_1) | instid1(VALU_DEP_2)
	v_and_b32_e32 v100, 7, v97
	v_or_b32_e32 v96, v96, v97
	v_or3_b32 v87, v99, v87, v100
	s_delay_alu instid0(VALU_DEP_2) | instskip(NEXT) | instid1(VALU_DEP_2)
	v_cmp_ne_u32_e32 vcc_lo, 0, v96
	v_cndmask_b32_e32 v112, 0, v87, vcc_lo
.LBB4_4322:                             ;   in Loop: Header=BB4_4278 Depth=2
	s_or_b32 exec_lo, exec_lo, s27
.LBB4_4323:                             ;   in Loop: Header=BB4_4278 Depth=2
	s_delay_alu instid0(SALU_CYCLE_1) | instskip(SKIP_3) | instid1(VALU_DEP_1)
	s_or_b32 exec_lo, exec_lo, s26
	v_lshrrev_b32_e32 v87, 24, v10
	s_mov_b32 s10, 0
	s_mov_b32 s27, exec_lo
                                        ; implicit-def: $sgpr26
	v_cmpx_lt_i16_e32 0x7f, v87
	s_xor_b32 s27, exec_lo, s27
	s_cbranch_execnz .LBB4_4745
; %bb.4324:                             ;   in Loop: Header=BB4_4278 Depth=2
	s_or_saveexec_b32 s27, s27
	v_mov_b32_e32 v96, s26
	s_xor_b32 exec_lo, exec_lo, s27
	s_cbranch_execnz .LBB4_4748
.LBB4_4325:                             ;   in Loop: Header=BB4_4278 Depth=2
	s_or_b32 exec_lo, exec_lo, s27
	s_and_saveexec_b32 s26, s10
	s_cbranch_execz .LBB4_4327
.LBB4_4326:                             ;   in Loop: Header=BB4_4278 Depth=2
	v_bfe_u32 v96, v10, 24, 3
	s_delay_alu instid0(VALU_DEP_1) | instskip(NEXT) | instid1(VALU_DEP_1)
	v_clz_i32_u32_e32 v97, v96
	v_min_u32_e32 v97, 32, v97
	s_delay_alu instid0(VALU_DEP_1) | instskip(SKIP_1) | instid1(VALU_DEP_2)
	v_subrev_nc_u32_e32 v99, 28, v97
	v_sub_nc_u32_e32 v97, 29, v97
	v_lshlrev_b32_e32 v87, v99, v87
	v_bfe_u32 v99, v10, 27, 4
	v_and_b32_e32 v10, 0x80000000, v10
	s_delay_alu instid0(VALU_DEP_3) | instskip(NEXT) | instid1(VALU_DEP_3)
	v_and_b32_e32 v87, 7, v87
	v_cmp_eq_u32_e32 vcc_lo, 0, v99
	v_cndmask_b32_e32 v97, v99, v97, vcc_lo
	s_delay_alu instid0(VALU_DEP_3) | instskip(NEXT) | instid1(VALU_DEP_2)
	v_cndmask_b32_e32 v87, v96, v87, vcc_lo
	v_lshl_add_u32 v96, v97, 23, 0x3b800000
	s_delay_alu instid0(VALU_DEP_2) | instskip(NEXT) | instid1(VALU_DEP_1)
	v_lshlrev_b32_e32 v87, 20, v87
	v_or3_b32 v96, v10, v96, v87
.LBB4_4327:                             ;   in Loop: Header=BB4_4278 Depth=2
	s_or_b32 exec_lo, exec_lo, s26
	s_delay_alu instid0(VALU_DEP_1) | instskip(SKIP_1) | instid1(VALU_DEP_1)
	v_dual_mul_f32 v10, s25, v96 :: v_dual_mov_b32 v115, 0x80
	s_mov_b32 s26, exec_lo
	v_and_b32_e32 v87, 0x7f800000, v10
	s_delay_alu instid0(VALU_DEP_1)
	v_cmpx_ne_u32_e32 0x7f800000, v87
	s_cbranch_execz .LBB4_4335
; %bb.4328:                             ;   in Loop: Header=BB4_4278 Depth=2
	v_mov_b32_e32 v115, 0
	s_mov_b32 s27, exec_lo
	v_cmpx_ne_u32_e32 0, v10
	s_cbranch_execz .LBB4_4334
; %bb.4329:                             ;   in Loop: Header=BB4_4278 Depth=2
	v_bfe_u32 v87, v10, 23, 8
	s_delay_alu instid0(VALU_DEP_1) | instskip(SKIP_1) | instid1(VALU_DEP_2)
	v_sub_nc_u32_e32 v97, 0x78, v87
	v_cmp_gt_u32_e32 vcc_lo, 0x79, v87
	v_dual_cndmask_b32 v97, 0, v97 :: v_dual_and_b32 v96, 0x7fffff, v10
	s_delay_alu instid0(VALU_DEP_1) | instskip(SKIP_2) | instid1(VALU_DEP_4)
	v_or_b32_e32 v99, 0x800000, v96
	v_cmp_eq_u32_e32 vcc_lo, 0, v87
	v_add_nc_u32_e32 v87, 0xffffff89, v87
	v_cndmask_b32_e64 v97, v97, 0x77, vcc_lo
	s_delay_alu instid0(VALU_DEP_4) | instskip(NEXT) | instid1(VALU_DEP_3)
	v_cndmask_b32_e32 v96, v99, v96, vcc_lo
	v_cndmask_b32_e64 v87, v87, 0xffffff8a, vcc_lo
	s_delay_alu instid0(VALU_DEP_3) | instskip(NEXT) | instid1(VALU_DEP_3)
	v_lshl_add_u32 v99, 0x100000, v97, -1
	v_lshrrev_b32_e32 v100, v97, v96
	v_lshlrev_b32_e64 v102, v97, 0x80000
	s_delay_alu instid0(VALU_DEP_4) | instskip(NEXT) | instid1(VALU_DEP_4)
	v_add_nc_u32_e32 v97, v97, v87
	v_and_b32_e32 v96, v99, v96
	s_delay_alu instid0(VALU_DEP_4) | instskip(NEXT) | instid1(VALU_DEP_2)
	v_bfe_u32 v101, v100, 20, 1
	v_cmp_eq_u32_e64 s10, v96, v102
	s_delay_alu instid0(VALU_DEP_2) | instskip(NEXT) | instid1(VALU_DEP_1)
	v_add_nc_u32_e32 v99, -1, v101
	v_cndmask_b32_e64 v96, 0, v99, s10
	v_lshrrev_b32_e32 v99, 23, v100
	s_mov_b32 s10, exec_lo
	s_delay_alu instid0(VALU_DEP_2) | instskip(NEXT) | instid1(VALU_DEP_2)
	v_add_nc_u32_e32 v96, v96, v100
	v_xor_b32_e32 v99, 1, v99
	s_delay_alu instid0(VALU_DEP_2) | instskip(NEXT) | instid1(VALU_DEP_1)
	v_and_b32_e32 v87, 0xfffff, v96
	v_add_nc_u32_e32 v96, v87, v100
                                        ; implicit-def: $vgpr87
	s_delay_alu instid0(VALU_DEP_3)
	v_cmpx_ne_u32_e64 v97, v99
	s_xor_b32 s10, exec_lo, s10
; %bb.4330:                             ;   in Loop: Header=BB4_4278 Depth=2
	s_delay_alu instid0(VALU_DEP_2) | instskip(SKIP_2) | instid1(VALU_DEP_2)
	v_cmp_lt_u32_e32 vcc_lo, 0xffffff, v96
	v_sub_nc_u32_e32 v87, v97, v99
	v_cndmask_b32_e64 v97, 0, 1, vcc_lo
	v_add_co_ci_u32_e32 v87, vcc_lo, 0, v87, vcc_lo
	s_delay_alu instid0(VALU_DEP_2)
	v_lshrrev_b32_e32 v96, v97, v96
; %bb.4331:                             ;   in Loop: Header=BB4_4278 Depth=2
	s_and_not1_saveexec_b32 s10, s10
; %bb.4332:                             ;   in Loop: Header=BB4_4278 Depth=2
	s_delay_alu instid0(VALU_DEP_1)
	v_bfe_u32 v87, v96, 23, 1
; %bb.4333:                             ;   in Loop: Header=BB4_4278 Depth=2
	s_or_b32 exec_lo, exec_lo, s10
	v_lshrrev_b32_e32 v96, 20, v96
	s_delay_alu instid0(VALU_DEP_2) | instskip(SKIP_2) | instid1(VALU_DEP_4)
	v_cmp_gt_i32_e32 vcc_lo, 16, v87
	v_lshrrev_b32_e32 v10, 24, v10
	v_min_i32_e32 v97, 15, v87
	v_cndmask_b32_e32 v96, 7, v96, vcc_lo
	s_delay_alu instid0(VALU_DEP_3) | instskip(NEXT) | instid1(VALU_DEP_3)
	v_and_b32_e32 v10, 0x80, v10
	v_lshlrev_b32_e32 v97, 3, v97
	s_delay_alu instid0(VALU_DEP_3) | instskip(SKIP_1) | instid1(VALU_DEP_2)
	v_and_b32_e32 v99, 7, v96
	v_or_b32_e32 v87, v87, v96
	v_or3_b32 v10, v97, v10, v99
	s_delay_alu instid0(VALU_DEP_2) | instskip(NEXT) | instid1(VALU_DEP_2)
	v_cmp_ne_u32_e32 vcc_lo, 0, v87
	v_cndmask_b32_e32 v115, 0, v10, vcc_lo
.LBB4_4334:                             ;   in Loop: Header=BB4_4278 Depth=2
	s_or_b32 exec_lo, exec_lo, s27
.LBB4_4335:                             ;   in Loop: Header=BB4_4278 Depth=2
	s_delay_alu instid0(SALU_CYCLE_1) | instskip(SKIP_3) | instid1(VALU_DEP_1)
	s_or_b32 exec_lo, exec_lo, s26
	v_and_b32_e32 v87, 0xff, v11
	s_mov_b32 s10, 0
	s_mov_b32 s27, exec_lo
                                        ; implicit-def: $sgpr26
	v_cmpx_lt_i16_e32 0x7f, v87
	s_xor_b32 s27, exec_lo, s27
	s_cbranch_execnz .LBB4_4749
; %bb.4336:                             ;   in Loop: Header=BB4_4278 Depth=2
	s_or_saveexec_b32 s27, s27
	v_mov_b32_e32 v10, s26
	s_xor_b32 exec_lo, exec_lo, s27
	s_cbranch_execnz .LBB4_4752
.LBB4_4337:                             ;   in Loop: Header=BB4_4278 Depth=2
	s_or_b32 exec_lo, exec_lo, s27
	s_and_saveexec_b32 s26, s10
	s_cbranch_execz .LBB4_4339
.LBB4_4338:                             ;   in Loop: Header=BB4_4278 Depth=2
	v_and_b32_e32 v10, 7, v11
	v_bfe_u32 v97, v11, 3, 4
	s_delay_alu instid0(VALU_DEP_2) | instskip(NEXT) | instid1(VALU_DEP_2)
	v_clz_i32_u32_e32 v87, v10
	v_cmp_eq_u32_e32 vcc_lo, 0, v97
	s_delay_alu instid0(VALU_DEP_2) | instskip(NEXT) | instid1(VALU_DEP_1)
	v_min_u32_e32 v87, 32, v87
	v_subrev_nc_u32_e32 v96, 28, v87
	v_sub_nc_u32_e32 v87, 29, v87
	s_delay_alu instid0(VALU_DEP_2) | instskip(NEXT) | instid1(VALU_DEP_1)
	v_lshlrev_b32_e32 v96, v96, v11
	v_dual_cndmask_b32 v87, v97, v87 :: v_dual_and_b32 v96, 7, v96
	v_lshlrev_b32_e32 v99, 24, v11
	s_delay_alu instid0(VALU_DEP_2) | instskip(NEXT) | instid1(VALU_DEP_3)
	v_lshl_add_u32 v87, v87, 23, 0x3b800000
	v_cndmask_b32_e32 v10, v10, v96, vcc_lo
	s_delay_alu instid0(VALU_DEP_3) | instskip(NEXT) | instid1(VALU_DEP_2)
	v_and_b32_e32 v96, 0x80000000, v99
	v_lshlrev_b32_e32 v10, 20, v10
	s_delay_alu instid0(VALU_DEP_1)
	v_or3_b32 v10, v96, v87, v10
.LBB4_4339:                             ;   in Loop: Header=BB4_4278 Depth=2
	s_or_b32 exec_lo, exec_lo, s26
	s_delay_alu instid0(VALU_DEP_1) | instskip(SKIP_2) | instid1(VALU_DEP_2)
	v_mul_f32_e32 v10, s25, v10
	v_mov_b32_e32 v114, 0x80
	s_mov_b32 s26, exec_lo
	v_and_b32_e32 v87, 0x7f800000, v10
	s_delay_alu instid0(VALU_DEP_1)
	v_cmpx_ne_u32_e32 0x7f800000, v87
	s_cbranch_execz .LBB4_4347
; %bb.4340:                             ;   in Loop: Header=BB4_4278 Depth=2
	v_mov_b32_e32 v114, 0
	s_mov_b32 s27, exec_lo
	v_cmpx_ne_u32_e32 0, v10
	s_cbranch_execz .LBB4_4346
; %bb.4341:                             ;   in Loop: Header=BB4_4278 Depth=2
	v_bfe_u32 v87, v10, 23, 8
	s_delay_alu instid0(VALU_DEP_1) | instskip(SKIP_1) | instid1(VALU_DEP_2)
	v_sub_nc_u32_e32 v97, 0x78, v87
	v_cmp_gt_u32_e32 vcc_lo, 0x79, v87
	v_dual_cndmask_b32 v97, 0, v97 :: v_dual_and_b32 v96, 0x7fffff, v10
	s_delay_alu instid0(VALU_DEP_1) | instskip(SKIP_2) | instid1(VALU_DEP_4)
	v_or_b32_e32 v99, 0x800000, v96
	v_cmp_eq_u32_e32 vcc_lo, 0, v87
	v_add_nc_u32_e32 v87, 0xffffff89, v87
	v_cndmask_b32_e64 v97, v97, 0x77, vcc_lo
	s_delay_alu instid0(VALU_DEP_4) | instskip(NEXT) | instid1(VALU_DEP_3)
	v_cndmask_b32_e32 v96, v99, v96, vcc_lo
	v_cndmask_b32_e64 v87, v87, 0xffffff8a, vcc_lo
	s_delay_alu instid0(VALU_DEP_3) | instskip(NEXT) | instid1(VALU_DEP_3)
	v_lshl_add_u32 v99, 0x100000, v97, -1
	v_lshrrev_b32_e32 v100, v97, v96
	v_lshlrev_b32_e64 v102, v97, 0x80000
	s_delay_alu instid0(VALU_DEP_4) | instskip(NEXT) | instid1(VALU_DEP_4)
	v_add_nc_u32_e32 v97, v97, v87
	v_and_b32_e32 v96, v99, v96
	s_delay_alu instid0(VALU_DEP_4) | instskip(NEXT) | instid1(VALU_DEP_2)
	v_bfe_u32 v101, v100, 20, 1
	v_cmp_eq_u32_e64 s10, v96, v102
	s_delay_alu instid0(VALU_DEP_2) | instskip(NEXT) | instid1(VALU_DEP_1)
	v_add_nc_u32_e32 v99, -1, v101
	v_cndmask_b32_e64 v96, 0, v99, s10
	v_lshrrev_b32_e32 v99, 23, v100
	s_mov_b32 s10, exec_lo
	s_delay_alu instid0(VALU_DEP_2) | instskip(NEXT) | instid1(VALU_DEP_2)
	v_add_nc_u32_e32 v96, v96, v100
	v_xor_b32_e32 v99, 1, v99
	s_delay_alu instid0(VALU_DEP_2) | instskip(NEXT) | instid1(VALU_DEP_1)
	v_and_b32_e32 v87, 0xfffff, v96
	v_add_nc_u32_e32 v96, v87, v100
                                        ; implicit-def: $vgpr87
	s_delay_alu instid0(VALU_DEP_3)
	v_cmpx_ne_u32_e64 v97, v99
	s_xor_b32 s10, exec_lo, s10
; %bb.4342:                             ;   in Loop: Header=BB4_4278 Depth=2
	s_delay_alu instid0(VALU_DEP_2) | instskip(SKIP_2) | instid1(VALU_DEP_2)
	v_cmp_lt_u32_e32 vcc_lo, 0xffffff, v96
	v_sub_nc_u32_e32 v87, v97, v99
	v_cndmask_b32_e64 v97, 0, 1, vcc_lo
	v_add_co_ci_u32_e32 v87, vcc_lo, 0, v87, vcc_lo
	s_delay_alu instid0(VALU_DEP_2)
	v_lshrrev_b32_e32 v96, v97, v96
; %bb.4343:                             ;   in Loop: Header=BB4_4278 Depth=2
	s_and_not1_saveexec_b32 s10, s10
; %bb.4344:                             ;   in Loop: Header=BB4_4278 Depth=2
	s_delay_alu instid0(VALU_DEP_1)
	v_bfe_u32 v87, v96, 23, 1
; %bb.4345:                             ;   in Loop: Header=BB4_4278 Depth=2
	s_or_b32 exec_lo, exec_lo, s10
	v_lshrrev_b32_e32 v96, 20, v96
	s_delay_alu instid0(VALU_DEP_2) | instskip(SKIP_2) | instid1(VALU_DEP_2)
	v_cmp_gt_i32_e32 vcc_lo, 16, v87
	v_min_i32_e32 v97, 15, v87
	v_lshrrev_b32_e32 v10, 24, v10
	v_dual_cndmask_b32 v96, 7, v96 :: v_dual_lshlrev_b32 v97, 3, v97
	s_delay_alu instid0(VALU_DEP_2) | instskip(NEXT) | instid1(VALU_DEP_2)
	v_and_b32_e32 v10, 0x80, v10
	v_or_b32_e32 v87, v87, v96
	s_delay_alu instid0(VALU_DEP_3) | instskip(NEXT) | instid1(VALU_DEP_2)
	v_and_b32_e32 v97, 0xf8, v97
	v_cmp_ne_u32_e32 vcc_lo, 0, v87
	v_and_b32_e32 v99, 7, v96
	s_delay_alu instid0(VALU_DEP_1) | instskip(NEXT) | instid1(VALU_DEP_1)
	v_or3_b32 v10, v97, v10, v99
	v_cndmask_b32_e32 v114, 0, v10, vcc_lo
.LBB4_4346:                             ;   in Loop: Header=BB4_4278 Depth=2
	s_or_b32 exec_lo, exec_lo, s27
.LBB4_4347:                             ;   in Loop: Header=BB4_4278 Depth=2
	s_delay_alu instid0(SALU_CYCLE_1) | instskip(SKIP_3) | instid1(VALU_DEP_1)
	s_or_b32 exec_lo, exec_lo, s26
	v_lshrrev_b16 v10, 8, v11
	s_mov_b32 s10, 0
	s_mov_b32 s27, exec_lo
                                        ; implicit-def: $sgpr26
	v_cmpx_lt_i16_e32 0x7f, v10
	s_xor_b32 s27, exec_lo, s27
	s_cbranch_execnz .LBB4_4753
; %bb.4348:                             ;   in Loop: Header=BB4_4278 Depth=2
	s_or_saveexec_b32 s27, s27
	v_mov_b32_e32 v87, s26
	s_xor_b32 exec_lo, exec_lo, s27
	s_cbranch_execnz .LBB4_4756
.LBB4_4349:                             ;   in Loop: Header=BB4_4278 Depth=2
	s_or_b32 exec_lo, exec_lo, s27
	s_and_saveexec_b32 s26, s10
	s_cbranch_execz .LBB4_4351
.LBB4_4350:                             ;   in Loop: Header=BB4_4278 Depth=2
	v_and_b32_e32 v87, 0xffff, v10
	v_lshlrev_b32_e32 v10, 24, v10
	s_delay_alu instid0(VALU_DEP_2) | instskip(NEXT) | instid1(VALU_DEP_2)
	v_and_b32_e32 v96, 7, v87
	v_and_b32_e32 v10, 0x80000000, v10
	s_delay_alu instid0(VALU_DEP_2) | instskip(NEXT) | instid1(VALU_DEP_1)
	v_clz_i32_u32_e32 v97, v96
	v_min_u32_e32 v97, 32, v97
	s_delay_alu instid0(VALU_DEP_1) | instskip(SKIP_1) | instid1(VALU_DEP_2)
	v_subrev_nc_u32_e32 v99, 28, v97
	v_sub_nc_u32_e32 v97, 29, v97
	v_lshlrev_b32_e32 v99, v99, v87
	v_bfe_u32 v87, v87, 3, 4
	s_delay_alu instid0(VALU_DEP_2) | instskip(NEXT) | instid1(VALU_DEP_2)
	v_and_b32_e32 v99, 7, v99
	v_cmp_eq_u32_e32 vcc_lo, 0, v87
	s_delay_alu instid0(VALU_DEP_2) | instskip(NEXT) | instid1(VALU_DEP_1)
	v_dual_cndmask_b32 v87, v87, v97 :: v_dual_cndmask_b32 v96, v96, v99
	v_lshl_add_u32 v87, v87, 23, 0x3b800000
	s_delay_alu instid0(VALU_DEP_2) | instskip(NEXT) | instid1(VALU_DEP_1)
	v_lshlrev_b32_e32 v96, 20, v96
	v_or3_b32 v87, v10, v87, v96
.LBB4_4351:                             ;   in Loop: Header=BB4_4278 Depth=2
	s_or_b32 exec_lo, exec_lo, s26
	s_delay_alu instid0(VALU_DEP_1) | instskip(SKIP_1) | instid1(VALU_DEP_1)
	v_dual_mul_f32 v10, s25, v87 :: v_dual_mov_b32 v117, 0x8000
	s_mov_b32 s26, exec_lo
	v_and_b32_e32 v87, 0x7f800000, v10
	s_delay_alu instid0(VALU_DEP_1)
	v_cmpx_ne_u32_e32 0x7f800000, v87
	s_cbranch_execz .LBB4_4359
; %bb.4352:                             ;   in Loop: Header=BB4_4278 Depth=2
	v_mov_b32_e32 v117, 0
	s_mov_b32 s27, exec_lo
	v_cmpx_ne_u32_e32 0, v10
	s_cbranch_execz .LBB4_4358
; %bb.4353:                             ;   in Loop: Header=BB4_4278 Depth=2
	v_bfe_u32 v87, v10, 23, 8
	s_delay_alu instid0(VALU_DEP_1) | instskip(SKIP_1) | instid1(VALU_DEP_2)
	v_sub_nc_u32_e32 v97, 0x78, v87
	v_cmp_gt_u32_e32 vcc_lo, 0x79, v87
	v_dual_cndmask_b32 v97, 0, v97 :: v_dual_and_b32 v96, 0x7fffff, v10
	s_delay_alu instid0(VALU_DEP_1) | instskip(SKIP_2) | instid1(VALU_DEP_4)
	v_or_b32_e32 v99, 0x800000, v96
	v_cmp_eq_u32_e32 vcc_lo, 0, v87
	v_add_nc_u32_e32 v87, 0xffffff89, v87
	v_cndmask_b32_e64 v97, v97, 0x77, vcc_lo
	s_delay_alu instid0(VALU_DEP_4) | instskip(NEXT) | instid1(VALU_DEP_3)
	v_cndmask_b32_e32 v96, v99, v96, vcc_lo
	v_cndmask_b32_e64 v87, v87, 0xffffff8a, vcc_lo
	s_delay_alu instid0(VALU_DEP_3) | instskip(NEXT) | instid1(VALU_DEP_3)
	v_lshl_add_u32 v99, 0x100000, v97, -1
	v_lshrrev_b32_e32 v100, v97, v96
	v_lshlrev_b32_e64 v102, v97, 0x80000
	s_delay_alu instid0(VALU_DEP_4) | instskip(NEXT) | instid1(VALU_DEP_4)
	v_add_nc_u32_e32 v97, v97, v87
	v_and_b32_e32 v96, v99, v96
	s_delay_alu instid0(VALU_DEP_4) | instskip(NEXT) | instid1(VALU_DEP_2)
	v_bfe_u32 v101, v100, 20, 1
	v_cmp_eq_u32_e64 s10, v96, v102
	s_delay_alu instid0(VALU_DEP_2) | instskip(NEXT) | instid1(VALU_DEP_1)
	v_add_nc_u32_e32 v99, -1, v101
	v_cndmask_b32_e64 v96, 0, v99, s10
	v_lshrrev_b32_e32 v99, 23, v100
	s_mov_b32 s10, exec_lo
	s_delay_alu instid0(VALU_DEP_2) | instskip(NEXT) | instid1(VALU_DEP_2)
	v_add_nc_u32_e32 v96, v96, v100
	v_xor_b32_e32 v99, 1, v99
	s_delay_alu instid0(VALU_DEP_2) | instskip(NEXT) | instid1(VALU_DEP_1)
	v_and_b32_e32 v87, 0xfffff, v96
	v_add_nc_u32_e32 v96, v87, v100
                                        ; implicit-def: $vgpr87
	s_delay_alu instid0(VALU_DEP_3)
	v_cmpx_ne_u32_e64 v97, v99
	s_xor_b32 s10, exec_lo, s10
; %bb.4354:                             ;   in Loop: Header=BB4_4278 Depth=2
	s_delay_alu instid0(VALU_DEP_2) | instskip(SKIP_2) | instid1(VALU_DEP_2)
	v_cmp_lt_u32_e32 vcc_lo, 0xffffff, v96
	v_sub_nc_u32_e32 v87, v97, v99
	v_cndmask_b32_e64 v97, 0, 1, vcc_lo
	v_add_co_ci_u32_e32 v87, vcc_lo, 0, v87, vcc_lo
	s_delay_alu instid0(VALU_DEP_2)
	v_lshrrev_b32_e32 v96, v97, v96
; %bb.4355:                             ;   in Loop: Header=BB4_4278 Depth=2
	s_and_not1_saveexec_b32 s10, s10
; %bb.4356:                             ;   in Loop: Header=BB4_4278 Depth=2
	s_delay_alu instid0(VALU_DEP_1)
	v_bfe_u32 v87, v96, 23, 1
; %bb.4357:                             ;   in Loop: Header=BB4_4278 Depth=2
	s_or_b32 exec_lo, exec_lo, s10
	v_lshrrev_b32_e32 v96, 20, v96
	s_delay_alu instid0(VALU_DEP_2) | instskip(SKIP_2) | instid1(VALU_DEP_3)
	v_min_i32_e32 v97, 15, v87
	v_cmp_gt_i32_e32 vcc_lo, 16, v87
	v_lshrrev_b32_e32 v10, 24, v10
	v_dual_cndmask_b32 v96, 7, v96 :: v_dual_lshlrev_b32 v97, 3, v97
	s_delay_alu instid0(VALU_DEP_2) | instskip(NEXT) | instid1(VALU_DEP_2)
	v_and_b32_e32 v10, 0x80, v10
	v_and_b32_e32 v97, 0xf8, v97
	s_delay_alu instid0(VALU_DEP_3) | instskip(SKIP_1) | instid1(VALU_DEP_2)
	v_and_b32_e32 v99, 7, v96
	v_or_b32_e32 v87, v87, v96
	v_or3_b32 v10, v10, v97, v99
	s_delay_alu instid0(VALU_DEP_2) | instskip(NEXT) | instid1(VALU_DEP_2)
	v_cmp_ne_u32_e32 vcc_lo, 0, v87
	v_lshlrev_b32_e32 v10, 8, v10
	s_delay_alu instid0(VALU_DEP_1)
	v_cndmask_b32_e32 v117, 0, v10, vcc_lo
.LBB4_4358:                             ;   in Loop: Header=BB4_4278 Depth=2
	s_or_b32 exec_lo, exec_lo, s27
.LBB4_4359:                             ;   in Loop: Header=BB4_4278 Depth=2
	s_delay_alu instid0(SALU_CYCLE_1) | instskip(SKIP_3) | instid1(VALU_DEP_1)
	s_or_b32 exec_lo, exec_lo, s26
	v_lshrrev_b32_e32 v10, 16, v11
	s_mov_b32 s10, 0
	s_mov_b32 s27, exec_lo
                                        ; implicit-def: $sgpr26
	v_and_b32_e32 v96, 0xff, v10
	s_delay_alu instid0(VALU_DEP_1)
	v_cmpx_lt_i16_e32 0x7f, v96
	s_xor_b32 s27, exec_lo, s27
	s_cbranch_execnz .LBB4_4757
; %bb.4360:                             ;   in Loop: Header=BB4_4278 Depth=2
	s_or_saveexec_b32 s27, s27
	v_mov_b32_e32 v87, s26
	s_xor_b32 exec_lo, exec_lo, s27
	s_cbranch_execnz .LBB4_4760
.LBB4_4361:                             ;   in Loop: Header=BB4_4278 Depth=2
	s_or_b32 exec_lo, exec_lo, s27
	s_and_saveexec_b32 s26, s10
	s_cbranch_execz .LBB4_4363
.LBB4_4362:                             ;   in Loop: Header=BB4_4278 Depth=2
	v_bfe_u32 v87, v11, 16, 3
	s_delay_alu instid0(VALU_DEP_1) | instskip(NEXT) | instid1(VALU_DEP_1)
	v_clz_i32_u32_e32 v96, v87
	v_min_u32_e32 v96, 32, v96
	s_delay_alu instid0(VALU_DEP_1) | instskip(SKIP_1) | instid1(VALU_DEP_2)
	v_subrev_nc_u32_e32 v97, 28, v96
	v_sub_nc_u32_e32 v96, 29, v96
	v_lshlrev_b32_e32 v10, v97, v10
	v_bfe_u32 v97, v11, 19, 4
	s_delay_alu instid0(VALU_DEP_2) | instskip(NEXT) | instid1(VALU_DEP_2)
	v_and_b32_e32 v10, 7, v10
	v_cmp_eq_u32_e32 vcc_lo, 0, v97
	v_dual_cndmask_b32 v96, v97, v96 :: v_dual_lshlrev_b32 v99, 8, v11
	s_delay_alu instid0(VALU_DEP_1) | instskip(NEXT) | instid1(VALU_DEP_2)
	v_dual_cndmask_b32 v10, v87, v10 :: v_dual_and_b32 v87, 0x80000000, v99
	v_lshl_add_u32 v96, v96, 23, 0x3b800000
	s_delay_alu instid0(VALU_DEP_2) | instskip(NEXT) | instid1(VALU_DEP_1)
	v_lshlrev_b32_e32 v10, 20, v10
	v_or3_b32 v87, v87, v96, v10
.LBB4_4363:                             ;   in Loop: Header=BB4_4278 Depth=2
	s_or_b32 exec_lo, exec_lo, s26
	s_delay_alu instid0(VALU_DEP_1) | instskip(SKIP_1) | instid1(VALU_DEP_1)
	v_dual_mul_f32 v10, s25, v87 :: v_dual_mov_b32 v113, 0x80
	s_mov_b32 s26, exec_lo
	v_and_b32_e32 v87, 0x7f800000, v10
	s_delay_alu instid0(VALU_DEP_1)
	v_cmpx_ne_u32_e32 0x7f800000, v87
	s_cbranch_execz .LBB4_4371
; %bb.4364:                             ;   in Loop: Header=BB4_4278 Depth=2
	v_mov_b32_e32 v113, 0
	s_mov_b32 s27, exec_lo
	v_cmpx_ne_u32_e32 0, v10
	s_cbranch_execz .LBB4_4370
; %bb.4365:                             ;   in Loop: Header=BB4_4278 Depth=2
	v_bfe_u32 v87, v10, 23, 8
	s_delay_alu instid0(VALU_DEP_1) | instskip(SKIP_1) | instid1(VALU_DEP_2)
	v_sub_nc_u32_e32 v97, 0x78, v87
	v_cmp_gt_u32_e32 vcc_lo, 0x79, v87
	v_dual_cndmask_b32 v97, 0, v97 :: v_dual_and_b32 v96, 0x7fffff, v10
	s_delay_alu instid0(VALU_DEP_1) | instskip(SKIP_2) | instid1(VALU_DEP_4)
	v_or_b32_e32 v99, 0x800000, v96
	v_cmp_eq_u32_e32 vcc_lo, 0, v87
	v_add_nc_u32_e32 v87, 0xffffff89, v87
	v_cndmask_b32_e64 v97, v97, 0x77, vcc_lo
	s_delay_alu instid0(VALU_DEP_4) | instskip(NEXT) | instid1(VALU_DEP_3)
	v_cndmask_b32_e32 v96, v99, v96, vcc_lo
	v_cndmask_b32_e64 v87, v87, 0xffffff8a, vcc_lo
	s_delay_alu instid0(VALU_DEP_3) | instskip(NEXT) | instid1(VALU_DEP_3)
	v_lshl_add_u32 v99, 0x100000, v97, -1
	v_lshrrev_b32_e32 v100, v97, v96
	v_lshlrev_b32_e64 v102, v97, 0x80000
	s_delay_alu instid0(VALU_DEP_4) | instskip(NEXT) | instid1(VALU_DEP_4)
	v_add_nc_u32_e32 v97, v97, v87
	v_and_b32_e32 v96, v99, v96
	s_delay_alu instid0(VALU_DEP_4) | instskip(NEXT) | instid1(VALU_DEP_2)
	v_bfe_u32 v101, v100, 20, 1
	v_cmp_eq_u32_e64 s10, v96, v102
	s_delay_alu instid0(VALU_DEP_2) | instskip(NEXT) | instid1(VALU_DEP_1)
	v_add_nc_u32_e32 v99, -1, v101
	v_cndmask_b32_e64 v96, 0, v99, s10
	v_lshrrev_b32_e32 v99, 23, v100
	s_mov_b32 s10, exec_lo
	s_delay_alu instid0(VALU_DEP_2) | instskip(NEXT) | instid1(VALU_DEP_2)
	v_add_nc_u32_e32 v96, v96, v100
	v_xor_b32_e32 v99, 1, v99
	s_delay_alu instid0(VALU_DEP_2) | instskip(NEXT) | instid1(VALU_DEP_1)
	v_and_b32_e32 v87, 0xfffff, v96
	v_add_nc_u32_e32 v96, v87, v100
                                        ; implicit-def: $vgpr87
	s_delay_alu instid0(VALU_DEP_3)
	v_cmpx_ne_u32_e64 v97, v99
	s_xor_b32 s10, exec_lo, s10
; %bb.4366:                             ;   in Loop: Header=BB4_4278 Depth=2
	s_delay_alu instid0(VALU_DEP_2) | instskip(SKIP_2) | instid1(VALU_DEP_2)
	v_cmp_lt_u32_e32 vcc_lo, 0xffffff, v96
	v_sub_nc_u32_e32 v87, v97, v99
	v_cndmask_b32_e64 v97, 0, 1, vcc_lo
	v_add_co_ci_u32_e32 v87, vcc_lo, 0, v87, vcc_lo
	s_delay_alu instid0(VALU_DEP_2)
	v_lshrrev_b32_e32 v96, v97, v96
; %bb.4367:                             ;   in Loop: Header=BB4_4278 Depth=2
	s_and_not1_saveexec_b32 s10, s10
; %bb.4368:                             ;   in Loop: Header=BB4_4278 Depth=2
	s_delay_alu instid0(VALU_DEP_1)
	v_bfe_u32 v87, v96, 23, 1
; %bb.4369:                             ;   in Loop: Header=BB4_4278 Depth=2
	s_or_b32 exec_lo, exec_lo, s10
	v_lshrrev_b32_e32 v96, 20, v96
	s_delay_alu instid0(VALU_DEP_2) | instskip(SKIP_2) | instid1(VALU_DEP_3)
	v_min_i32_e32 v97, 15, v87
	v_cmp_gt_i32_e32 vcc_lo, 16, v87
	v_lshrrev_b32_e32 v10, 24, v10
	v_dual_cndmask_b32 v96, 7, v96 :: v_dual_lshlrev_b32 v97, 3, v97
	s_delay_alu instid0(VALU_DEP_2) | instskip(NEXT) | instid1(VALU_DEP_2)
	v_and_b32_e32 v10, 0x80, v10
	v_and_b32_e32 v97, 0xf8, v97
	s_delay_alu instid0(VALU_DEP_3) | instskip(SKIP_1) | instid1(VALU_DEP_2)
	v_and_b32_e32 v99, 7, v96
	v_or_b32_e32 v87, v87, v96
	v_or3_b32 v10, v97, v10, v99
	s_delay_alu instid0(VALU_DEP_2) | instskip(NEXT) | instid1(VALU_DEP_2)
	v_cmp_ne_u32_e32 vcc_lo, 0, v87
	v_cndmask_b32_e32 v113, 0, v10, vcc_lo
.LBB4_4370:                             ;   in Loop: Header=BB4_4278 Depth=2
	s_or_b32 exec_lo, exec_lo, s27
.LBB4_4371:                             ;   in Loop: Header=BB4_4278 Depth=2
	s_delay_alu instid0(SALU_CYCLE_1) | instskip(SKIP_3) | instid1(VALU_DEP_1)
	s_or_b32 exec_lo, exec_lo, s26
	v_lshrrev_b32_e32 v10, 24, v11
	s_mov_b32 s10, 0
	s_mov_b32 s27, exec_lo
                                        ; implicit-def: $sgpr26
	v_cmpx_lt_i16_e32 0x7f, v10
	s_xor_b32 s27, exec_lo, s27
	s_cbranch_execnz .LBB4_4761
; %bb.4372:                             ;   in Loop: Header=BB4_4278 Depth=2
	s_or_saveexec_b32 s27, s27
	v_mov_b32_e32 v87, s26
	s_xor_b32 exec_lo, exec_lo, s27
	s_cbranch_execnz .LBB4_4764
.LBB4_4373:                             ;   in Loop: Header=BB4_4278 Depth=2
	s_or_b32 exec_lo, exec_lo, s27
	s_and_saveexec_b32 s26, s10
	s_cbranch_execz .LBB4_4375
.LBB4_4374:                             ;   in Loop: Header=BB4_4278 Depth=2
	v_bfe_u32 v87, v11, 24, 3
	s_delay_alu instid0(VALU_DEP_1) | instskip(NEXT) | instid1(VALU_DEP_1)
	v_clz_i32_u32_e32 v96, v87
	v_min_u32_e32 v96, 32, v96
	s_delay_alu instid0(VALU_DEP_1) | instskip(SKIP_1) | instid1(VALU_DEP_2)
	v_subrev_nc_u32_e32 v97, 28, v96
	v_sub_nc_u32_e32 v96, 29, v96
	v_lshlrev_b32_e32 v10, v97, v10
	v_bfe_u32 v97, v11, 27, 4
	v_and_b32_e32 v11, 0x80000000, v11
	s_delay_alu instid0(VALU_DEP_3) | instskip(NEXT) | instid1(VALU_DEP_3)
	v_and_b32_e32 v10, 7, v10
	v_cmp_eq_u32_e32 vcc_lo, 0, v97
	v_cndmask_b32_e32 v96, v97, v96, vcc_lo
	s_delay_alu instid0(VALU_DEP_3) | instskip(NEXT) | instid1(VALU_DEP_2)
	v_cndmask_b32_e32 v10, v87, v10, vcc_lo
	v_lshl_add_u32 v87, v96, 23, 0x3b800000
	s_delay_alu instid0(VALU_DEP_2) | instskip(NEXT) | instid1(VALU_DEP_1)
	v_lshlrev_b32_e32 v10, 20, v10
	v_or3_b32 v87, v11, v87, v10
.LBB4_4375:                             ;   in Loop: Header=BB4_4278 Depth=2
	s_or_b32 exec_lo, exec_lo, s26
	s_delay_alu instid0(VALU_DEP_1) | instskip(SKIP_2) | instid1(VALU_DEP_2)
	v_mul_f32_e32 v10, s25, v87
	v_mov_b32_e32 v116, 0x8000
	s_mov_b32 s26, exec_lo
	v_and_b32_e32 v11, 0x7f800000, v10
	s_delay_alu instid0(VALU_DEP_1)
	v_cmpx_ne_u32_e32 0x7f800000, v11
	s_cbranch_execz .LBB4_4383
; %bb.4376:                             ;   in Loop: Header=BB4_4278 Depth=2
	v_mov_b32_e32 v116, 0
	s_mov_b32 s27, exec_lo
	v_cmpx_ne_u32_e32 0, v10
	s_cbranch_execz .LBB4_4382
; %bb.4377:                             ;   in Loop: Header=BB4_4278 Depth=2
	v_bfe_u32 v11, v10, 23, 8
	s_delay_alu instid0(VALU_DEP_1) | instskip(SKIP_1) | instid1(VALU_DEP_2)
	v_sub_nc_u32_e32 v96, 0x78, v11
	v_cmp_gt_u32_e32 vcc_lo, 0x79, v11
	v_dual_cndmask_b32 v96, 0, v96 :: v_dual_and_b32 v87, 0x7fffff, v10
	s_delay_alu instid0(VALU_DEP_1) | instskip(SKIP_2) | instid1(VALU_DEP_4)
	v_or_b32_e32 v97, 0x800000, v87
	v_cmp_eq_u32_e32 vcc_lo, 0, v11
	v_add_nc_u32_e32 v11, 0xffffff89, v11
	v_cndmask_b32_e64 v96, v96, 0x77, vcc_lo
	s_delay_alu instid0(VALU_DEP_4) | instskip(NEXT) | instid1(VALU_DEP_3)
	v_cndmask_b32_e32 v87, v97, v87, vcc_lo
	v_cndmask_b32_e64 v11, v11, 0xffffff8a, vcc_lo
	s_delay_alu instid0(VALU_DEP_3) | instskip(NEXT) | instid1(VALU_DEP_3)
	v_lshl_add_u32 v97, 0x100000, v96, -1
	v_lshrrev_b32_e32 v99, v96, v87
	v_lshlrev_b32_e64 v101, v96, 0x80000
	s_delay_alu instid0(VALU_DEP_4) | instskip(NEXT) | instid1(VALU_DEP_4)
	v_add_nc_u32_e32 v96, v96, v11
	v_and_b32_e32 v87, v97, v87
	s_delay_alu instid0(VALU_DEP_4) | instskip(NEXT) | instid1(VALU_DEP_2)
	v_bfe_u32 v100, v99, 20, 1
	v_cmp_eq_u32_e64 s10, v87, v101
	s_delay_alu instid0(VALU_DEP_2) | instskip(NEXT) | instid1(VALU_DEP_1)
	v_add_nc_u32_e32 v97, -1, v100
	v_cndmask_b32_e64 v87, 0, v97, s10
	v_lshrrev_b32_e32 v97, 23, v99
	s_mov_b32 s10, exec_lo
	s_delay_alu instid0(VALU_DEP_2) | instskip(NEXT) | instid1(VALU_DEP_2)
	v_add_nc_u32_e32 v87, v87, v99
	v_xor_b32_e32 v97, 1, v97
	s_delay_alu instid0(VALU_DEP_2) | instskip(NEXT) | instid1(VALU_DEP_1)
	v_and_b32_e32 v11, 0xfffff, v87
	v_add_nc_u32_e32 v87, v11, v99
                                        ; implicit-def: $vgpr11
	s_delay_alu instid0(VALU_DEP_3)
	v_cmpx_ne_u32_e64 v96, v97
	s_xor_b32 s10, exec_lo, s10
; %bb.4378:                             ;   in Loop: Header=BB4_4278 Depth=2
	s_delay_alu instid0(VALU_DEP_2) | instskip(SKIP_2) | instid1(VALU_DEP_2)
	v_cmp_lt_u32_e32 vcc_lo, 0xffffff, v87
	v_sub_nc_u32_e32 v11, v96, v97
	v_cndmask_b32_e64 v96, 0, 1, vcc_lo
	v_add_co_ci_u32_e32 v11, vcc_lo, 0, v11, vcc_lo
	s_delay_alu instid0(VALU_DEP_2)
	v_lshrrev_b32_e32 v87, v96, v87
; %bb.4379:                             ;   in Loop: Header=BB4_4278 Depth=2
	s_and_not1_saveexec_b32 s10, s10
; %bb.4380:                             ;   in Loop: Header=BB4_4278 Depth=2
	s_delay_alu instid0(VALU_DEP_1)
	v_bfe_u32 v11, v87, 23, 1
; %bb.4381:                             ;   in Loop: Header=BB4_4278 Depth=2
	s_or_b32 exec_lo, exec_lo, s10
	v_lshrrev_b32_e32 v87, 20, v87
	s_delay_alu instid0(VALU_DEP_2) | instskip(SKIP_2) | instid1(VALU_DEP_2)
	v_cmp_gt_i32_e32 vcc_lo, 16, v11
	v_min_i32_e32 v96, 15, v11
	v_lshrrev_b32_e32 v10, 24, v10
	v_dual_cndmask_b32 v87, 7, v87 :: v_dual_lshlrev_b32 v96, 3, v96
	s_delay_alu instid0(VALU_DEP_2) | instskip(NEXT) | instid1(VALU_DEP_2)
	v_and_b32_e32 v10, 0x80, v10
	v_or_b32_e32 v11, v11, v87
	s_delay_alu instid0(VALU_DEP_3) | instskip(NEXT) | instid1(VALU_DEP_2)
	v_and_b32_e32 v96, 0xf8, v96
	v_cmp_ne_u32_e32 vcc_lo, 0, v11
	v_and_b32_e32 v97, 7, v87
	s_delay_alu instid0(VALU_DEP_1) | instskip(NEXT) | instid1(VALU_DEP_1)
	v_or3_b32 v10, v10, v96, v97
	v_lshlrev_b32_e32 v10, 8, v10
	s_delay_alu instid0(VALU_DEP_1)
	v_cndmask_b32_e32 v116, 0, v10, vcc_lo
.LBB4_4382:                             ;   in Loop: Header=BB4_4278 Depth=2
	s_or_b32 exec_lo, exec_lo, s27
.LBB4_4383:                             ;   in Loop: Header=BB4_4278 Depth=2
	s_delay_alu instid0(SALU_CYCLE_1) | instskip(SKIP_3) | instid1(VALU_DEP_1)
	s_or_b32 exec_lo, exec_lo, s26
	v_and_b32_e32 v11, 0xff, v12
	s_mov_b32 s10, 0
	s_mov_b32 s27, exec_lo
                                        ; implicit-def: $sgpr26
	v_cmpx_lt_i16_e32 0x7f, v11
	s_xor_b32 s27, exec_lo, s27
	s_cbranch_execnz .LBB4_4765
; %bb.4384:                             ;   in Loop: Header=BB4_4278 Depth=2
	s_or_saveexec_b32 s27, s27
	v_mov_b32_e32 v10, s26
	s_xor_b32 exec_lo, exec_lo, s27
	s_cbranch_execnz .LBB4_4768
.LBB4_4385:                             ;   in Loop: Header=BB4_4278 Depth=2
	s_or_b32 exec_lo, exec_lo, s27
	s_and_saveexec_b32 s26, s10
	s_cbranch_execz .LBB4_4387
.LBB4_4386:                             ;   in Loop: Header=BB4_4278 Depth=2
	v_bfe_u32 v96, v12, 3, 4
	s_delay_alu instid0(VALU_DEP_1) | instskip(SKIP_1) | instid1(VALU_DEP_1)
	v_cmp_eq_u32_e32 vcc_lo, 0, v96
	v_and_b32_e32 v10, 7, v12
	v_clz_i32_u32_e32 v11, v10
	s_delay_alu instid0(VALU_DEP_1) | instskip(NEXT) | instid1(VALU_DEP_1)
	v_min_u32_e32 v11, 32, v11
	v_subrev_nc_u32_e32 v87, 28, v11
	v_sub_nc_u32_e32 v11, 29, v11
	s_delay_alu instid0(VALU_DEP_2) | instskip(NEXT) | instid1(VALU_DEP_2)
	v_lshlrev_b32_e32 v87, v87, v12
	v_cndmask_b32_e32 v11, v96, v11, vcc_lo
	s_delay_alu instid0(VALU_DEP_2) | instskip(SKIP_1) | instid1(VALU_DEP_3)
	v_and_b32_e32 v87, 7, v87
	v_lshlrev_b32_e32 v97, 24, v12
	v_lshl_add_u32 v11, v11, 23, 0x3b800000
	s_delay_alu instid0(VALU_DEP_2) | instskip(NEXT) | instid1(VALU_DEP_1)
	v_dual_cndmask_b32 v10, v10, v87 :: v_dual_and_b32 v87, 0x80000000, v97
	v_lshlrev_b32_e32 v10, 20, v10
	s_delay_alu instid0(VALU_DEP_1)
	v_or3_b32 v10, v87, v11, v10
.LBB4_4387:                             ;   in Loop: Header=BB4_4278 Depth=2
	s_or_b32 exec_lo, exec_lo, s26
	s_delay_alu instid0(VALU_DEP_1) | instskip(SKIP_1) | instid1(VALU_DEP_1)
	v_dual_mul_f32 v10, s25, v10 :: v_dual_mov_b32 v103, 0x80
	s_mov_b32 s26, exec_lo
	v_and_b32_e32 v11, 0x7f800000, v10
	s_delay_alu instid0(VALU_DEP_1)
	v_cmpx_ne_u32_e32 0x7f800000, v11
	s_cbranch_execz .LBB4_4395
; %bb.4388:                             ;   in Loop: Header=BB4_4278 Depth=2
	v_mov_b32_e32 v103, 0
	s_mov_b32 s27, exec_lo
	v_cmpx_ne_u32_e32 0, v10
	s_cbranch_execz .LBB4_4394
; %bb.4389:                             ;   in Loop: Header=BB4_4278 Depth=2
	v_bfe_u32 v11, v10, 23, 8
	s_delay_alu instid0(VALU_DEP_1) | instskip(SKIP_1) | instid1(VALU_DEP_2)
	v_sub_nc_u32_e32 v96, 0x78, v11
	v_cmp_gt_u32_e32 vcc_lo, 0x79, v11
	v_dual_cndmask_b32 v96, 0, v96 :: v_dual_and_b32 v87, 0x7fffff, v10
	s_delay_alu instid0(VALU_DEP_1) | instskip(SKIP_2) | instid1(VALU_DEP_4)
	v_or_b32_e32 v97, 0x800000, v87
	v_cmp_eq_u32_e32 vcc_lo, 0, v11
	v_add_nc_u32_e32 v11, 0xffffff89, v11
	v_cndmask_b32_e64 v96, v96, 0x77, vcc_lo
	s_delay_alu instid0(VALU_DEP_4) | instskip(NEXT) | instid1(VALU_DEP_3)
	v_cndmask_b32_e32 v87, v97, v87, vcc_lo
	v_cndmask_b32_e64 v11, v11, 0xffffff8a, vcc_lo
	s_delay_alu instid0(VALU_DEP_3) | instskip(NEXT) | instid1(VALU_DEP_3)
	v_lshl_add_u32 v97, 0x100000, v96, -1
	v_lshrrev_b32_e32 v99, v96, v87
	v_lshlrev_b32_e64 v101, v96, 0x80000
	s_delay_alu instid0(VALU_DEP_4) | instskip(NEXT) | instid1(VALU_DEP_4)
	v_add_nc_u32_e32 v96, v96, v11
	v_and_b32_e32 v87, v97, v87
	s_delay_alu instid0(VALU_DEP_4) | instskip(NEXT) | instid1(VALU_DEP_2)
	v_bfe_u32 v100, v99, 20, 1
	v_cmp_eq_u32_e64 s10, v87, v101
	s_delay_alu instid0(VALU_DEP_2) | instskip(NEXT) | instid1(VALU_DEP_1)
	v_add_nc_u32_e32 v97, -1, v100
	v_cndmask_b32_e64 v87, 0, v97, s10
	v_lshrrev_b32_e32 v97, 23, v99
	s_mov_b32 s10, exec_lo
	s_delay_alu instid0(VALU_DEP_2) | instskip(NEXT) | instid1(VALU_DEP_2)
	v_add_nc_u32_e32 v87, v87, v99
	v_xor_b32_e32 v97, 1, v97
	s_delay_alu instid0(VALU_DEP_2) | instskip(NEXT) | instid1(VALU_DEP_1)
	v_and_b32_e32 v11, 0xfffff, v87
	v_add_nc_u32_e32 v87, v11, v99
                                        ; implicit-def: $vgpr11
	s_delay_alu instid0(VALU_DEP_3)
	v_cmpx_ne_u32_e64 v96, v97
	s_xor_b32 s10, exec_lo, s10
; %bb.4390:                             ;   in Loop: Header=BB4_4278 Depth=2
	s_delay_alu instid0(VALU_DEP_2) | instskip(SKIP_2) | instid1(VALU_DEP_2)
	v_cmp_lt_u32_e32 vcc_lo, 0xffffff, v87
	v_sub_nc_u32_e32 v11, v96, v97
	v_cndmask_b32_e64 v96, 0, 1, vcc_lo
	v_add_co_ci_u32_e32 v11, vcc_lo, 0, v11, vcc_lo
	s_delay_alu instid0(VALU_DEP_2)
	v_lshrrev_b32_e32 v87, v96, v87
; %bb.4391:                             ;   in Loop: Header=BB4_4278 Depth=2
	s_and_not1_saveexec_b32 s10, s10
; %bb.4392:                             ;   in Loop: Header=BB4_4278 Depth=2
	s_delay_alu instid0(VALU_DEP_1)
	v_bfe_u32 v11, v87, 23, 1
; %bb.4393:                             ;   in Loop: Header=BB4_4278 Depth=2
	s_or_b32 exec_lo, exec_lo, s10
	v_lshrrev_b32_e32 v87, 20, v87
	s_delay_alu instid0(VALU_DEP_2) | instskip(SKIP_2) | instid1(VALU_DEP_2)
	v_cmp_gt_i32_e32 vcc_lo, 16, v11
	v_lshrrev_b32_e32 v10, 24, v10
	v_min_i32_e32 v96, 15, v11
	v_dual_cndmask_b32 v87, 7, v87 :: v_dual_and_b32 v10, 0x80, v10
	s_delay_alu instid0(VALU_DEP_1) | instskip(SKIP_1) | instid1(VALU_DEP_2)
	v_or_b32_e32 v11, v11, v87
	v_and_b32_e32 v97, 7, v87
	v_cmp_ne_u32_e32 vcc_lo, 0, v11
	v_lshlrev_b32_e32 v96, 3, v96
	s_delay_alu instid0(VALU_DEP_1) | instskip(NEXT) | instid1(VALU_DEP_1)
	v_or3_b32 v10, v96, v10, v97
	v_cndmask_b32_e32 v103, 0, v10, vcc_lo
.LBB4_4394:                             ;   in Loop: Header=BB4_4278 Depth=2
	s_or_b32 exec_lo, exec_lo, s27
.LBB4_4395:                             ;   in Loop: Header=BB4_4278 Depth=2
	s_delay_alu instid0(SALU_CYCLE_1) | instskip(SKIP_3) | instid1(VALU_DEP_1)
	s_or_b32 exec_lo, exec_lo, s26
	v_lshrrev_b16 v10, 8, v12
	s_mov_b32 s10, 0
	s_mov_b32 s27, exec_lo
                                        ; implicit-def: $sgpr26
	v_cmpx_lt_i16_e32 0x7f, v10
	s_xor_b32 s27, exec_lo, s27
	s_cbranch_execnz .LBB4_4769
; %bb.4396:                             ;   in Loop: Header=BB4_4278 Depth=2
	s_or_saveexec_b32 s27, s27
	v_mov_b32_e32 v11, s26
	s_xor_b32 exec_lo, exec_lo, s27
	s_cbranch_execnz .LBB4_4772
.LBB4_4397:                             ;   in Loop: Header=BB4_4278 Depth=2
	s_or_b32 exec_lo, exec_lo, s27
	s_and_saveexec_b32 s26, s10
	s_cbranch_execz .LBB4_4399
.LBB4_4398:                             ;   in Loop: Header=BB4_4278 Depth=2
	v_and_b32_e32 v11, 0xffff, v10
	s_delay_alu instid0(VALU_DEP_1) | instskip(NEXT) | instid1(VALU_DEP_1)
	v_and_b32_e32 v87, 7, v11
	v_clz_i32_u32_e32 v96, v87
	s_delay_alu instid0(VALU_DEP_1) | instskip(NEXT) | instid1(VALU_DEP_1)
	v_min_u32_e32 v96, 32, v96
	v_subrev_nc_u32_e32 v97, 28, v96
	v_sub_nc_u32_e32 v96, 29, v96
	s_delay_alu instid0(VALU_DEP_2) | instskip(SKIP_1) | instid1(VALU_DEP_2)
	v_lshlrev_b32_e32 v97, v97, v11
	v_bfe_u32 v11, v11, 3, 4
	v_and_b32_e32 v97, 7, v97
	s_delay_alu instid0(VALU_DEP_2) | instskip(SKIP_1) | instid1(VALU_DEP_1)
	v_cmp_eq_u32_e32 vcc_lo, 0, v11
	v_dual_cndmask_b32 v11, v11, v96 :: v_dual_lshlrev_b32 v10, 24, v10
	v_dual_cndmask_b32 v87, v87, v97 :: v_dual_and_b32 v10, 0x80000000, v10
	s_delay_alu instid0(VALU_DEP_2) | instskip(NEXT) | instid1(VALU_DEP_2)
	v_lshl_add_u32 v11, v11, 23, 0x3b800000
	v_lshlrev_b32_e32 v87, 20, v87
	s_delay_alu instid0(VALU_DEP_1)
	v_or3_b32 v11, v10, v11, v87
.LBB4_4399:                             ;   in Loop: Header=BB4_4278 Depth=2
	s_or_b32 exec_lo, exec_lo, s26
	s_delay_alu instid0(VALU_DEP_1) | instskip(SKIP_1) | instid1(VALU_DEP_1)
	v_dual_mul_f32 v10, s25, v11 :: v_dual_mov_b32 v101, 0x80
	s_mov_b32 s26, exec_lo
	v_and_b32_e32 v11, 0x7f800000, v10
	s_delay_alu instid0(VALU_DEP_1)
	v_cmpx_ne_u32_e32 0x7f800000, v11
	s_cbranch_execz .LBB4_4407
; %bb.4400:                             ;   in Loop: Header=BB4_4278 Depth=2
	v_mov_b32_e32 v101, 0
	s_mov_b32 s27, exec_lo
	v_cmpx_ne_u32_e32 0, v10
	s_cbranch_execz .LBB4_4406
; %bb.4401:                             ;   in Loop: Header=BB4_4278 Depth=2
	v_bfe_u32 v11, v10, 23, 8
	s_delay_alu instid0(VALU_DEP_1) | instskip(SKIP_1) | instid1(VALU_DEP_2)
	v_sub_nc_u32_e32 v96, 0x78, v11
	v_cmp_gt_u32_e32 vcc_lo, 0x79, v11
	v_dual_cndmask_b32 v96, 0, v96 :: v_dual_and_b32 v87, 0x7fffff, v10
	s_delay_alu instid0(VALU_DEP_1) | instskip(SKIP_2) | instid1(VALU_DEP_4)
	v_or_b32_e32 v97, 0x800000, v87
	v_cmp_eq_u32_e32 vcc_lo, 0, v11
	v_add_nc_u32_e32 v11, 0xffffff89, v11
	v_cndmask_b32_e64 v96, v96, 0x77, vcc_lo
	s_delay_alu instid0(VALU_DEP_4) | instskip(NEXT) | instid1(VALU_DEP_3)
	v_cndmask_b32_e32 v87, v97, v87, vcc_lo
	v_cndmask_b32_e64 v11, v11, 0xffffff8a, vcc_lo
	s_delay_alu instid0(VALU_DEP_3) | instskip(NEXT) | instid1(VALU_DEP_3)
	v_lshl_add_u32 v97, 0x100000, v96, -1
	v_lshrrev_b32_e32 v99, v96, v87
	v_lshlrev_b32_e64 v101, v96, 0x80000
	s_delay_alu instid0(VALU_DEP_4) | instskip(NEXT) | instid1(VALU_DEP_4)
	v_add_nc_u32_e32 v96, v96, v11
	v_and_b32_e32 v87, v97, v87
	s_delay_alu instid0(VALU_DEP_4) | instskip(NEXT) | instid1(VALU_DEP_2)
	v_bfe_u32 v100, v99, 20, 1
	v_cmp_eq_u32_e64 s10, v87, v101
	s_delay_alu instid0(VALU_DEP_2) | instskip(NEXT) | instid1(VALU_DEP_1)
	v_add_nc_u32_e32 v97, -1, v100
	v_cndmask_b32_e64 v87, 0, v97, s10
	v_lshrrev_b32_e32 v97, 23, v99
	s_mov_b32 s10, exec_lo
	s_delay_alu instid0(VALU_DEP_2) | instskip(NEXT) | instid1(VALU_DEP_2)
	v_add_nc_u32_e32 v87, v87, v99
	v_xor_b32_e32 v97, 1, v97
	s_delay_alu instid0(VALU_DEP_2) | instskip(NEXT) | instid1(VALU_DEP_1)
	v_and_b32_e32 v11, 0xfffff, v87
	v_add_nc_u32_e32 v87, v11, v99
                                        ; implicit-def: $vgpr11
	s_delay_alu instid0(VALU_DEP_3)
	v_cmpx_ne_u32_e64 v96, v97
	s_xor_b32 s10, exec_lo, s10
; %bb.4402:                             ;   in Loop: Header=BB4_4278 Depth=2
	s_delay_alu instid0(VALU_DEP_2) | instskip(SKIP_2) | instid1(VALU_DEP_2)
	v_cmp_lt_u32_e32 vcc_lo, 0xffffff, v87
	v_sub_nc_u32_e32 v11, v96, v97
	v_cndmask_b32_e64 v96, 0, 1, vcc_lo
	v_add_co_ci_u32_e32 v11, vcc_lo, 0, v11, vcc_lo
	s_delay_alu instid0(VALU_DEP_2)
	v_lshrrev_b32_e32 v87, v96, v87
; %bb.4403:                             ;   in Loop: Header=BB4_4278 Depth=2
	s_and_not1_saveexec_b32 s10, s10
; %bb.4404:                             ;   in Loop: Header=BB4_4278 Depth=2
	s_delay_alu instid0(VALU_DEP_1)
	v_bfe_u32 v11, v87, 23, 1
; %bb.4405:                             ;   in Loop: Header=BB4_4278 Depth=2
	s_or_b32 exec_lo, exec_lo, s10
	v_lshrrev_b32_e32 v87, 20, v87
	s_delay_alu instid0(VALU_DEP_2) | instskip(SKIP_2) | instid1(VALU_DEP_2)
	v_cmp_gt_i32_e32 vcc_lo, 16, v11
	v_lshrrev_b32_e32 v10, 24, v10
	v_min_i32_e32 v96, 15, v11
	v_dual_cndmask_b32 v87, 7, v87 :: v_dual_and_b32 v10, 0x80, v10
	s_delay_alu instid0(VALU_DEP_1) | instskip(SKIP_1) | instid1(VALU_DEP_2)
	v_or_b32_e32 v11, v11, v87
	v_and_b32_e32 v97, 7, v87
	v_cmp_ne_u32_e32 vcc_lo, 0, v11
	v_lshlrev_b32_e32 v96, 3, v96
	s_delay_alu instid0(VALU_DEP_1) | instskip(NEXT) | instid1(VALU_DEP_1)
	v_or3_b32 v10, v96, v10, v97
	v_cndmask_b32_e32 v101, 0, v10, vcc_lo
.LBB4_4406:                             ;   in Loop: Header=BB4_4278 Depth=2
	s_or_b32 exec_lo, exec_lo, s27
.LBB4_4407:                             ;   in Loop: Header=BB4_4278 Depth=2
	s_delay_alu instid0(SALU_CYCLE_1) | instskip(SKIP_3) | instid1(VALU_DEP_1)
	s_or_b32 exec_lo, exec_lo, s26
	v_lshrrev_b32_e32 v10, 16, v12
	s_mov_b32 s10, 0
	s_mov_b32 s27, exec_lo
                                        ; implicit-def: $sgpr26
	v_and_b32_e32 v87, 0xff, v10
	s_delay_alu instid0(VALU_DEP_1)
	v_cmpx_lt_i16_e32 0x7f, v87
	s_xor_b32 s27, exec_lo, s27
	s_cbranch_execnz .LBB4_4773
; %bb.4408:                             ;   in Loop: Header=BB4_4278 Depth=2
	s_or_saveexec_b32 s27, s27
	v_mov_b32_e32 v11, s26
	s_xor_b32 exec_lo, exec_lo, s27
	s_cbranch_execnz .LBB4_4776
.LBB4_4409:                             ;   in Loop: Header=BB4_4278 Depth=2
	s_or_b32 exec_lo, exec_lo, s27
	s_and_saveexec_b32 s26, s10
	s_cbranch_execz .LBB4_4411
.LBB4_4410:                             ;   in Loop: Header=BB4_4278 Depth=2
	v_bfe_u32 v11, v12, 16, 3
	s_delay_alu instid0(VALU_DEP_1) | instskip(NEXT) | instid1(VALU_DEP_1)
	v_clz_i32_u32_e32 v87, v11
	v_min_u32_e32 v87, 32, v87
	s_delay_alu instid0(VALU_DEP_1) | instskip(SKIP_1) | instid1(VALU_DEP_2)
	v_subrev_nc_u32_e32 v96, 28, v87
	v_sub_nc_u32_e32 v87, 29, v87
	v_lshlrev_b32_e32 v10, v96, v10
	v_bfe_u32 v96, v12, 19, 4
	s_delay_alu instid0(VALU_DEP_1) | instskip(NEXT) | instid1(VALU_DEP_3)
	v_cmp_eq_u32_e32 vcc_lo, 0, v96
	v_dual_cndmask_b32 v87, v96, v87 :: v_dual_and_b32 v10, 7, v10
	s_delay_alu instid0(VALU_DEP_1) | instskip(NEXT) | instid1(VALU_DEP_2)
	v_dual_cndmask_b32 v10, v11, v10 :: v_dual_lshlrev_b32 v97, 8, v12
	v_lshl_add_u32 v87, v87, 23, 0x3b800000
	s_delay_alu instid0(VALU_DEP_2) | instskip(NEXT) | instid1(VALU_DEP_3)
	v_and_b32_e32 v11, 0x80000000, v97
	v_lshlrev_b32_e32 v10, 20, v10
	s_delay_alu instid0(VALU_DEP_1)
	v_or3_b32 v11, v11, v87, v10
.LBB4_4411:                             ;   in Loop: Header=BB4_4278 Depth=2
	s_or_b32 exec_lo, exec_lo, s26
	s_delay_alu instid0(VALU_DEP_1) | instskip(SKIP_2) | instid1(VALU_DEP_2)
	v_mul_f32_e32 v10, s25, v11
	v_mov_b32_e32 v100, 0x80
	s_mov_b32 s26, exec_lo
	v_and_b32_e32 v11, 0x7f800000, v10
	s_delay_alu instid0(VALU_DEP_1)
	v_cmpx_ne_u32_e32 0x7f800000, v11
	s_cbranch_execz .LBB4_4419
; %bb.4412:                             ;   in Loop: Header=BB4_4278 Depth=2
	v_mov_b32_e32 v100, 0
	s_mov_b32 s27, exec_lo
	v_cmpx_ne_u32_e32 0, v10
	s_cbranch_execz .LBB4_4418
; %bb.4413:                             ;   in Loop: Header=BB4_4278 Depth=2
	v_bfe_u32 v11, v10, 23, 8
	s_delay_alu instid0(VALU_DEP_1) | instskip(SKIP_1) | instid1(VALU_DEP_2)
	v_sub_nc_u32_e32 v96, 0x78, v11
	v_cmp_gt_u32_e32 vcc_lo, 0x79, v11
	v_dual_cndmask_b32 v96, 0, v96 :: v_dual_and_b32 v87, 0x7fffff, v10
	s_delay_alu instid0(VALU_DEP_1) | instskip(SKIP_2) | instid1(VALU_DEP_4)
	v_or_b32_e32 v97, 0x800000, v87
	v_cmp_eq_u32_e32 vcc_lo, 0, v11
	v_add_nc_u32_e32 v11, 0xffffff89, v11
	v_cndmask_b32_e64 v96, v96, 0x77, vcc_lo
	s_delay_alu instid0(VALU_DEP_4) | instskip(NEXT) | instid1(VALU_DEP_3)
	v_cndmask_b32_e32 v87, v97, v87, vcc_lo
	v_cndmask_b32_e64 v11, v11, 0xffffff8a, vcc_lo
	s_delay_alu instid0(VALU_DEP_3) | instskip(NEXT) | instid1(VALU_DEP_3)
	v_lshl_add_u32 v97, 0x100000, v96, -1
	v_lshrrev_b32_e32 v99, v96, v87
	v_lshlrev_b32_e64 v102, v96, 0x80000
	s_delay_alu instid0(VALU_DEP_4) | instskip(NEXT) | instid1(VALU_DEP_4)
	v_add_nc_u32_e32 v96, v96, v11
	v_and_b32_e32 v87, v97, v87
	s_delay_alu instid0(VALU_DEP_4) | instskip(NEXT) | instid1(VALU_DEP_2)
	v_bfe_u32 v100, v99, 20, 1
	v_cmp_eq_u32_e64 s10, v87, v102
	s_delay_alu instid0(VALU_DEP_2) | instskip(NEXT) | instid1(VALU_DEP_1)
	v_add_nc_u32_e32 v97, -1, v100
	v_cndmask_b32_e64 v87, 0, v97, s10
	v_lshrrev_b32_e32 v97, 23, v99
	s_mov_b32 s10, exec_lo
	s_delay_alu instid0(VALU_DEP_2) | instskip(NEXT) | instid1(VALU_DEP_2)
	v_add_nc_u32_e32 v87, v87, v99
	v_xor_b32_e32 v97, 1, v97
	s_delay_alu instid0(VALU_DEP_2) | instskip(NEXT) | instid1(VALU_DEP_1)
	v_and_b32_e32 v11, 0xfffff, v87
	v_add_nc_u32_e32 v87, v11, v99
                                        ; implicit-def: $vgpr11
	s_delay_alu instid0(VALU_DEP_3)
	v_cmpx_ne_u32_e64 v96, v97
	s_xor_b32 s10, exec_lo, s10
; %bb.4414:                             ;   in Loop: Header=BB4_4278 Depth=2
	s_delay_alu instid0(VALU_DEP_2) | instskip(SKIP_2) | instid1(VALU_DEP_2)
	v_cmp_lt_u32_e32 vcc_lo, 0xffffff, v87
	v_sub_nc_u32_e32 v11, v96, v97
	v_cndmask_b32_e64 v96, 0, 1, vcc_lo
	v_add_co_ci_u32_e32 v11, vcc_lo, 0, v11, vcc_lo
	s_delay_alu instid0(VALU_DEP_2)
	v_lshrrev_b32_e32 v87, v96, v87
; %bb.4415:                             ;   in Loop: Header=BB4_4278 Depth=2
	s_and_not1_saveexec_b32 s10, s10
; %bb.4416:                             ;   in Loop: Header=BB4_4278 Depth=2
	s_delay_alu instid0(VALU_DEP_1)
	v_bfe_u32 v11, v87, 23, 1
; %bb.4417:                             ;   in Loop: Header=BB4_4278 Depth=2
	s_or_b32 exec_lo, exec_lo, s10
	v_lshrrev_b32_e32 v87, 20, v87
	s_delay_alu instid0(VALU_DEP_2) | instskip(SKIP_2) | instid1(VALU_DEP_2)
	v_cmp_gt_i32_e32 vcc_lo, 16, v11
	v_lshrrev_b32_e32 v10, 24, v10
	v_min_i32_e32 v96, 15, v11
	v_dual_cndmask_b32 v87, 7, v87 :: v_dual_and_b32 v10, 0x80, v10
	s_delay_alu instid0(VALU_DEP_2) | instskip(NEXT) | instid1(VALU_DEP_2)
	v_lshlrev_b32_e32 v96, 3, v96
	v_or_b32_e32 v11, v11, v87
	s_delay_alu instid0(VALU_DEP_1) | instskip(SKIP_1) | instid1(VALU_DEP_1)
	v_cmp_ne_u32_e32 vcc_lo, 0, v11
	v_and_b32_e32 v97, 7, v87
	v_or3_b32 v10, v96, v10, v97
	s_delay_alu instid0(VALU_DEP_1)
	v_cndmask_b32_e32 v100, 0, v10, vcc_lo
.LBB4_4418:                             ;   in Loop: Header=BB4_4278 Depth=2
	s_or_b32 exec_lo, exec_lo, s27
.LBB4_4419:                             ;   in Loop: Header=BB4_4278 Depth=2
	s_delay_alu instid0(SALU_CYCLE_1) | instskip(SKIP_3) | instid1(VALU_DEP_1)
	s_or_b32 exec_lo, exec_lo, s26
	v_lshrrev_b32_e32 v10, 24, v12
	s_mov_b32 s10, 0
	s_mov_b32 s27, exec_lo
                                        ; implicit-def: $sgpr26
	v_cmpx_lt_i16_e32 0x7f, v10
	s_xor_b32 s27, exec_lo, s27
	s_cbranch_execnz .LBB4_4777
; %bb.4420:                             ;   in Loop: Header=BB4_4278 Depth=2
	s_or_saveexec_b32 s27, s27
	v_mov_b32_e32 v11, s26
	s_xor_b32 exec_lo, exec_lo, s27
	s_cbranch_execnz .LBB4_4780
.LBB4_4421:                             ;   in Loop: Header=BB4_4278 Depth=2
	s_or_b32 exec_lo, exec_lo, s27
	s_and_saveexec_b32 s26, s10
	s_cbranch_execz .LBB4_4423
.LBB4_4422:                             ;   in Loop: Header=BB4_4278 Depth=2
	v_bfe_u32 v11, v12, 24, 3
	s_delay_alu instid0(VALU_DEP_1) | instskip(NEXT) | instid1(VALU_DEP_1)
	v_clz_i32_u32_e32 v87, v11
	v_min_u32_e32 v87, 32, v87
	s_delay_alu instid0(VALU_DEP_1) | instskip(SKIP_1) | instid1(VALU_DEP_2)
	v_subrev_nc_u32_e32 v96, 28, v87
	v_sub_nc_u32_e32 v87, 29, v87
	v_lshlrev_b32_e32 v10, v96, v10
	v_bfe_u32 v96, v12, 27, 4
	s_delay_alu instid0(VALU_DEP_1) | instskip(NEXT) | instid1(VALU_DEP_3)
	v_cmp_eq_u32_e32 vcc_lo, 0, v96
	v_dual_cndmask_b32 v87, v96, v87 :: v_dual_and_b32 v10, 7, v10
	s_delay_alu instid0(VALU_DEP_1) | instskip(NEXT) | instid1(VALU_DEP_2)
	v_dual_cndmask_b32 v10, v11, v10 :: v_dual_and_b32 v11, 0x80000000, v12
	v_lshl_add_u32 v12, v87, 23, 0x3b800000
	s_delay_alu instid0(VALU_DEP_2) | instskip(NEXT) | instid1(VALU_DEP_1)
	v_lshlrev_b32_e32 v10, 20, v10
	v_or3_b32 v11, v11, v12, v10
.LBB4_4423:                             ;   in Loop: Header=BB4_4278 Depth=2
	s_or_b32 exec_lo, exec_lo, s26
	s_delay_alu instid0(VALU_DEP_1) | instskip(SKIP_1) | instid1(VALU_DEP_1)
	v_dual_mul_f32 v10, s25, v11 :: v_dual_mov_b32 v97, 0x80
	s_mov_b32 s26, exec_lo
	v_and_b32_e32 v11, 0x7f800000, v10
	s_delay_alu instid0(VALU_DEP_1)
	v_cmpx_ne_u32_e32 0x7f800000, v11
	s_cbranch_execz .LBB4_4431
; %bb.4424:                             ;   in Loop: Header=BB4_4278 Depth=2
	v_mov_b32_e32 v97, 0
	s_mov_b32 s27, exec_lo
	v_cmpx_ne_u32_e32 0, v10
	s_cbranch_execz .LBB4_4430
; %bb.4425:                             ;   in Loop: Header=BB4_4278 Depth=2
	v_bfe_u32 v11, v10, 23, 8
	s_delay_alu instid0(VALU_DEP_1) | instskip(SKIP_1) | instid1(VALU_DEP_2)
	v_sub_nc_u32_e32 v87, 0x78, v11
	v_cmp_gt_u32_e32 vcc_lo, 0x79, v11
	v_dual_cndmask_b32 v87, 0, v87 :: v_dual_and_b32 v12, 0x7fffff, v10
	s_delay_alu instid0(VALU_DEP_1) | instskip(SKIP_2) | instid1(VALU_DEP_4)
	v_or_b32_e32 v96, 0x800000, v12
	v_cmp_eq_u32_e32 vcc_lo, 0, v11
	v_add_nc_u32_e32 v11, 0xffffff89, v11
	v_cndmask_b32_e64 v87, v87, 0x77, vcc_lo
	s_delay_alu instid0(VALU_DEP_4) | instskip(NEXT) | instid1(VALU_DEP_3)
	v_cndmask_b32_e32 v12, v96, v12, vcc_lo
	v_cndmask_b32_e64 v11, v11, 0xffffff8a, vcc_lo
	s_delay_alu instid0(VALU_DEP_3) | instskip(NEXT) | instid1(VALU_DEP_3)
	v_lshl_add_u32 v96, 0x100000, v87, -1
	v_lshrrev_b32_e32 v97, v87, v12
	v_lshlrev_b32_e64 v102, v87, 0x80000
	s_delay_alu instid0(VALU_DEP_4) | instskip(NEXT) | instid1(VALU_DEP_4)
	v_add_nc_u32_e32 v87, v87, v11
	v_and_b32_e32 v12, v96, v12
	s_delay_alu instid0(VALU_DEP_4) | instskip(NEXT) | instid1(VALU_DEP_2)
	v_bfe_u32 v99, v97, 20, 1
	v_cmp_eq_u32_e64 s10, v12, v102
	s_delay_alu instid0(VALU_DEP_2) | instskip(NEXT) | instid1(VALU_DEP_1)
	v_add_nc_u32_e32 v96, -1, v99
	v_cndmask_b32_e64 v12, 0, v96, s10
	v_lshrrev_b32_e32 v96, 23, v97
	s_mov_b32 s10, exec_lo
	s_delay_alu instid0(VALU_DEP_2) | instskip(NEXT) | instid1(VALU_DEP_2)
	v_add_nc_u32_e32 v12, v12, v97
	v_xor_b32_e32 v96, 1, v96
	s_delay_alu instid0(VALU_DEP_2) | instskip(NEXT) | instid1(VALU_DEP_1)
	v_and_b32_e32 v11, 0xfffff, v12
	v_add_nc_u32_e32 v12, v11, v97
                                        ; implicit-def: $vgpr11
	s_delay_alu instid0(VALU_DEP_3)
	v_cmpx_ne_u32_e64 v87, v96
	s_xor_b32 s10, exec_lo, s10
; %bb.4426:                             ;   in Loop: Header=BB4_4278 Depth=2
	s_delay_alu instid0(VALU_DEP_2) | instskip(SKIP_2) | instid1(VALU_DEP_2)
	v_cmp_lt_u32_e32 vcc_lo, 0xffffff, v12
	v_sub_nc_u32_e32 v11, v87, v96
	v_cndmask_b32_e64 v87, 0, 1, vcc_lo
	v_add_co_ci_u32_e32 v11, vcc_lo, 0, v11, vcc_lo
	s_delay_alu instid0(VALU_DEP_2)
	v_lshrrev_b32_e32 v12, v87, v12
; %bb.4427:                             ;   in Loop: Header=BB4_4278 Depth=2
	s_and_not1_saveexec_b32 s10, s10
; %bb.4428:                             ;   in Loop: Header=BB4_4278 Depth=2
	s_delay_alu instid0(VALU_DEP_1)
	v_bfe_u32 v11, v12, 23, 1
; %bb.4429:                             ;   in Loop: Header=BB4_4278 Depth=2
	s_or_b32 exec_lo, exec_lo, s10
	v_lshrrev_b32_e32 v12, 20, v12
	s_delay_alu instid0(VALU_DEP_2) | instskip(SKIP_2) | instid1(VALU_DEP_2)
	v_cmp_gt_i32_e32 vcc_lo, 16, v11
	v_min_i32_e32 v87, 15, v11
	v_lshrrev_b32_e32 v10, 24, v10
	v_dual_cndmask_b32 v12, 7, v12 :: v_dual_lshlrev_b32 v87, 3, v87
	s_delay_alu instid0(VALU_DEP_2) | instskip(NEXT) | instid1(VALU_DEP_2)
	v_and_b32_e32 v10, 0x80, v10
	v_or_b32_e32 v11, v11, v12
	s_delay_alu instid0(VALU_DEP_1) | instskip(SKIP_1) | instid1(VALU_DEP_1)
	v_cmp_ne_u32_e32 vcc_lo, 0, v11
	v_and_b32_e32 v96, 7, v12
	v_or3_b32 v10, v87, v10, v96
	s_delay_alu instid0(VALU_DEP_1)
	v_cndmask_b32_e32 v97, 0, v10, vcc_lo
.LBB4_4430:                             ;   in Loop: Header=BB4_4278 Depth=2
	s_or_b32 exec_lo, exec_lo, s27
.LBB4_4431:                             ;   in Loop: Header=BB4_4278 Depth=2
	s_delay_alu instid0(SALU_CYCLE_1) | instskip(SKIP_3) | instid1(VALU_DEP_1)
	s_or_b32 exec_lo, exec_lo, s26
	v_and_b32_e32 v11, 0xff, v13
	s_mov_b32 s10, 0
	s_mov_b32 s27, exec_lo
                                        ; implicit-def: $sgpr26
	v_cmpx_lt_i16_e32 0x7f, v11
	s_xor_b32 s27, exec_lo, s27
	s_cbranch_execnz .LBB4_4781
; %bb.4432:                             ;   in Loop: Header=BB4_4278 Depth=2
	s_or_saveexec_b32 s27, s27
	v_mov_b32_e32 v10, s26
	s_xor_b32 exec_lo, exec_lo, s27
	s_cbranch_execnz .LBB4_4784
.LBB4_4433:                             ;   in Loop: Header=BB4_4278 Depth=2
	s_or_b32 exec_lo, exec_lo, s27
	s_and_saveexec_b32 s26, s10
	s_cbranch_execz .LBB4_4435
.LBB4_4434:                             ;   in Loop: Header=BB4_4278 Depth=2
	v_bfe_u32 v87, v13, 3, 4
	v_lshlrev_b32_e32 v96, 24, v13
	s_delay_alu instid0(VALU_DEP_2) | instskip(SKIP_1) | instid1(VALU_DEP_1)
	v_cmp_eq_u32_e32 vcc_lo, 0, v87
	v_and_b32_e32 v10, 7, v13
	v_clz_i32_u32_e32 v11, v10
	s_delay_alu instid0(VALU_DEP_1) | instskip(NEXT) | instid1(VALU_DEP_1)
	v_min_u32_e32 v11, 32, v11
	v_subrev_nc_u32_e32 v12, 28, v11
	v_sub_nc_u32_e32 v11, 29, v11
	s_delay_alu instid0(VALU_DEP_1) | instskip(NEXT) | instid1(VALU_DEP_1)
	v_dual_cndmask_b32 v11, v87, v11 :: v_dual_lshlrev_b32 v12, v12, v13
	v_and_b32_e32 v12, 7, v12
	s_delay_alu instid0(VALU_DEP_2) | instskip(NEXT) | instid1(VALU_DEP_2)
	v_lshl_add_u32 v11, v11, 23, 0x3b800000
	v_cndmask_b32_e32 v10, v10, v12, vcc_lo
	v_and_b32_e32 v12, 0x80000000, v96
	s_delay_alu instid0(VALU_DEP_2) | instskip(NEXT) | instid1(VALU_DEP_1)
	v_lshlrev_b32_e32 v10, 20, v10
	v_or3_b32 v10, v12, v11, v10
.LBB4_4435:                             ;   in Loop: Header=BB4_4278 Depth=2
	s_or_b32 exec_lo, exec_lo, s26
	s_delay_alu instid0(VALU_DEP_1) | instskip(SKIP_2) | instid1(VALU_DEP_2)
	v_mul_f32_e32 v10, s25, v10
	v_mov_b32_e32 v96, 0x80
	s_mov_b32 s26, exec_lo
	v_and_b32_e32 v11, 0x7f800000, v10
	s_delay_alu instid0(VALU_DEP_1)
	v_cmpx_ne_u32_e32 0x7f800000, v11
	s_cbranch_execz .LBB4_4443
; %bb.4436:                             ;   in Loop: Header=BB4_4278 Depth=2
	v_mov_b32_e32 v96, 0
	s_mov_b32 s27, exec_lo
	v_cmpx_ne_u32_e32 0, v10
	s_cbranch_execz .LBB4_4442
; %bb.4437:                             ;   in Loop: Header=BB4_4278 Depth=2
	v_bfe_u32 v11, v10, 23, 8
	s_delay_alu instid0(VALU_DEP_1) | instskip(SKIP_1) | instid1(VALU_DEP_2)
	v_sub_nc_u32_e32 v87, 0x78, v11
	v_cmp_gt_u32_e32 vcc_lo, 0x79, v11
	v_dual_cndmask_b32 v87, 0, v87 :: v_dual_and_b32 v12, 0x7fffff, v10
	s_delay_alu instid0(VALU_DEP_1) | instskip(SKIP_2) | instid1(VALU_DEP_4)
	v_or_b32_e32 v96, 0x800000, v12
	v_cmp_eq_u32_e32 vcc_lo, 0, v11
	v_add_nc_u32_e32 v11, 0xffffff89, v11
	v_cndmask_b32_e64 v87, v87, 0x77, vcc_lo
	s_delay_alu instid0(VALU_DEP_4) | instskip(NEXT) | instid1(VALU_DEP_3)
	v_cndmask_b32_e32 v12, v96, v12, vcc_lo
	v_cndmask_b32_e64 v11, v11, 0xffffff8a, vcc_lo
	s_delay_alu instid0(VALU_DEP_3) | instskip(NEXT) | instid1(VALU_DEP_3)
	v_lshl_add_u32 v96, 0x100000, v87, -1
	v_lshrrev_b32_e32 v99, v87, v12
	v_lshlrev_b32_e64 v118, v87, 0x80000
	s_delay_alu instid0(VALU_DEP_4) | instskip(NEXT) | instid1(VALU_DEP_4)
	v_add_nc_u32_e32 v87, v87, v11
	v_and_b32_e32 v12, v96, v12
	s_delay_alu instid0(VALU_DEP_4) | instskip(NEXT) | instid1(VALU_DEP_2)
	v_bfe_u32 v102, v99, 20, 1
	v_cmp_eq_u32_e64 s10, v12, v118
	s_delay_alu instid0(VALU_DEP_2) | instskip(NEXT) | instid1(VALU_DEP_1)
	v_add_nc_u32_e32 v96, -1, v102
	v_cndmask_b32_e64 v12, 0, v96, s10
	v_lshrrev_b32_e32 v96, 23, v99
	s_mov_b32 s10, exec_lo
	s_delay_alu instid0(VALU_DEP_2) | instskip(NEXT) | instid1(VALU_DEP_2)
	v_add_nc_u32_e32 v12, v12, v99
	v_xor_b32_e32 v96, 1, v96
	s_delay_alu instid0(VALU_DEP_2) | instskip(NEXT) | instid1(VALU_DEP_1)
	v_and_b32_e32 v11, 0xfffff, v12
	v_add_nc_u32_e32 v12, v11, v99
                                        ; implicit-def: $vgpr11
	s_delay_alu instid0(VALU_DEP_3)
	v_cmpx_ne_u32_e64 v87, v96
	s_xor_b32 s10, exec_lo, s10
; %bb.4438:                             ;   in Loop: Header=BB4_4278 Depth=2
	s_delay_alu instid0(VALU_DEP_2) | instskip(SKIP_2) | instid1(VALU_DEP_2)
	v_cmp_lt_u32_e32 vcc_lo, 0xffffff, v12
	v_sub_nc_u32_e32 v11, v87, v96
	v_cndmask_b32_e64 v87, 0, 1, vcc_lo
	v_add_co_ci_u32_e32 v11, vcc_lo, 0, v11, vcc_lo
	s_delay_alu instid0(VALU_DEP_2)
	v_lshrrev_b32_e32 v12, v87, v12
; %bb.4439:                             ;   in Loop: Header=BB4_4278 Depth=2
	s_and_not1_saveexec_b32 s10, s10
; %bb.4440:                             ;   in Loop: Header=BB4_4278 Depth=2
	s_delay_alu instid0(VALU_DEP_1)
	v_bfe_u32 v11, v12, 23, 1
; %bb.4441:                             ;   in Loop: Header=BB4_4278 Depth=2
	s_or_b32 exec_lo, exec_lo, s10
	v_lshrrev_b32_e32 v12, 20, v12
	s_delay_alu instid0(VALU_DEP_2) | instskip(SKIP_2) | instid1(VALU_DEP_2)
	v_cmp_gt_i32_e32 vcc_lo, 16, v11
	v_min_i32_e32 v87, 15, v11
	v_lshrrev_b32_e32 v10, 24, v10
	v_dual_cndmask_b32 v12, 7, v12 :: v_dual_lshlrev_b32 v87, 3, v87
	s_delay_alu instid0(VALU_DEP_2) | instskip(NEXT) | instid1(VALU_DEP_2)
	v_and_b32_e32 v10, 0x80, v10
	v_or_b32_e32 v11, v11, v12
	v_and_b32_e32 v96, 7, v12
	s_delay_alu instid0(VALU_DEP_2) | instskip(SKIP_1) | instid1(VALU_DEP_1)
	v_cmp_ne_u32_e32 vcc_lo, 0, v11
	v_and_b32_e32 v87, 0xf8, v87
	v_or3_b32 v10, v87, v10, v96
	s_delay_alu instid0(VALU_DEP_1)
	v_cndmask_b32_e32 v96, 0, v10, vcc_lo
.LBB4_4442:                             ;   in Loop: Header=BB4_4278 Depth=2
	s_or_b32 exec_lo, exec_lo, s27
.LBB4_4443:                             ;   in Loop: Header=BB4_4278 Depth=2
	s_delay_alu instid0(SALU_CYCLE_1) | instskip(SKIP_3) | instid1(VALU_DEP_1)
	s_or_b32 exec_lo, exec_lo, s26
	v_lshrrev_b16 v10, 8, v13
	s_mov_b32 s10, 0
	s_mov_b32 s27, exec_lo
                                        ; implicit-def: $sgpr26
	v_cmpx_lt_i16_e32 0x7f, v10
	s_xor_b32 s27, exec_lo, s27
	s_cbranch_execnz .LBB4_4785
; %bb.4444:                             ;   in Loop: Header=BB4_4278 Depth=2
	s_or_saveexec_b32 s27, s27
	v_mov_b32_e32 v11, s26
	s_xor_b32 exec_lo, exec_lo, s27
	s_cbranch_execnz .LBB4_4788
.LBB4_4445:                             ;   in Loop: Header=BB4_4278 Depth=2
	s_or_b32 exec_lo, exec_lo, s27
	s_and_saveexec_b32 s26, s10
	s_cbranch_execz .LBB4_4447
.LBB4_4446:                             ;   in Loop: Header=BB4_4278 Depth=2
	v_and_b32_e32 v11, 0xffff, v10
	s_delay_alu instid0(VALU_DEP_1) | instskip(NEXT) | instid1(VALU_DEP_1)
	v_and_b32_e32 v12, 7, v11
	v_clz_i32_u32_e32 v87, v12
	s_delay_alu instid0(VALU_DEP_1) | instskip(NEXT) | instid1(VALU_DEP_1)
	v_min_u32_e32 v87, 32, v87
	v_subrev_nc_u32_e32 v99, 28, v87
	v_sub_nc_u32_e32 v87, 29, v87
	s_delay_alu instid0(VALU_DEP_2) | instskip(SKIP_1) | instid1(VALU_DEP_2)
	v_lshlrev_b32_e32 v99, v99, v11
	v_bfe_u32 v11, v11, 3, 4
	v_and_b32_e32 v99, 7, v99
	s_delay_alu instid0(VALU_DEP_2) | instskip(SKIP_1) | instid1(VALU_DEP_3)
	v_cmp_eq_u32_e32 vcc_lo, 0, v11
	v_dual_cndmask_b32 v11, v11, v87 :: v_dual_lshlrev_b32 v10, 24, v10
	v_cndmask_b32_e32 v12, v12, v99, vcc_lo
	s_delay_alu instid0(VALU_DEP_2) | instskip(NEXT) | instid1(VALU_DEP_3)
	v_and_b32_e32 v10, 0x80000000, v10
	v_lshl_add_u32 v11, v11, 23, 0x3b800000
	s_delay_alu instid0(VALU_DEP_3) | instskip(NEXT) | instid1(VALU_DEP_1)
	v_lshlrev_b32_e32 v12, 20, v12
	v_or3_b32 v11, v10, v11, v12
.LBB4_4447:                             ;   in Loop: Header=BB4_4278 Depth=2
	s_or_b32 exec_lo, exec_lo, s26
	s_delay_alu instid0(VALU_DEP_1) | instskip(SKIP_2) | instid1(VALU_DEP_2)
	v_mul_f32_e32 v10, s25, v11
	v_mov_b32_e32 v102, 0x8000
	s_mov_b32 s26, exec_lo
	v_and_b32_e32 v11, 0x7f800000, v10
	s_delay_alu instid0(VALU_DEP_1)
	v_cmpx_ne_u32_e32 0x7f800000, v11
	s_cbranch_execz .LBB4_4455
; %bb.4448:                             ;   in Loop: Header=BB4_4278 Depth=2
	v_mov_b32_e32 v102, 0
	s_mov_b32 s27, exec_lo
	v_cmpx_ne_u32_e32 0, v10
	s_cbranch_execz .LBB4_4454
; %bb.4449:                             ;   in Loop: Header=BB4_4278 Depth=2
	v_bfe_u32 v11, v10, 23, 8
	s_delay_alu instid0(VALU_DEP_1) | instskip(SKIP_1) | instid1(VALU_DEP_2)
	v_sub_nc_u32_e32 v87, 0x78, v11
	v_cmp_gt_u32_e32 vcc_lo, 0x79, v11
	v_dual_cndmask_b32 v87, 0, v87 :: v_dual_and_b32 v12, 0x7fffff, v10
	s_delay_alu instid0(VALU_DEP_1) | instskip(SKIP_2) | instid1(VALU_DEP_4)
	v_or_b32_e32 v99, 0x800000, v12
	v_cmp_eq_u32_e32 vcc_lo, 0, v11
	v_add_nc_u32_e32 v11, 0xffffff89, v11
	v_cndmask_b32_e64 v87, v87, 0x77, vcc_lo
	s_delay_alu instid0(VALU_DEP_4) | instskip(NEXT) | instid1(VALU_DEP_3)
	v_cndmask_b32_e32 v12, v99, v12, vcc_lo
	v_cndmask_b32_e64 v11, v11, 0xffffff8a, vcc_lo
	s_delay_alu instid0(VALU_DEP_3) | instskip(NEXT) | instid1(VALU_DEP_3)
	v_lshl_add_u32 v99, 0x100000, v87, -1
	v_lshrrev_b32_e32 v102, v87, v12
	v_lshlrev_b32_e64 v119, v87, 0x80000
	s_delay_alu instid0(VALU_DEP_4) | instskip(NEXT) | instid1(VALU_DEP_4)
	v_add_nc_u32_e32 v87, v87, v11
	v_and_b32_e32 v12, v99, v12
	s_delay_alu instid0(VALU_DEP_4) | instskip(NEXT) | instid1(VALU_DEP_2)
	v_bfe_u32 v118, v102, 20, 1
	v_cmp_eq_u32_e64 s10, v12, v119
	s_delay_alu instid0(VALU_DEP_2) | instskip(NEXT) | instid1(VALU_DEP_1)
	v_add_nc_u32_e32 v99, -1, v118
	v_cndmask_b32_e64 v12, 0, v99, s10
	v_lshrrev_b32_e32 v99, 23, v102
	s_mov_b32 s10, exec_lo
	s_delay_alu instid0(VALU_DEP_2) | instskip(NEXT) | instid1(VALU_DEP_2)
	v_add_nc_u32_e32 v12, v12, v102
	v_xor_b32_e32 v99, 1, v99
	s_delay_alu instid0(VALU_DEP_2) | instskip(NEXT) | instid1(VALU_DEP_1)
	v_and_b32_e32 v11, 0xfffff, v12
	v_add_nc_u32_e32 v12, v11, v102
                                        ; implicit-def: $vgpr11
	s_delay_alu instid0(VALU_DEP_3)
	v_cmpx_ne_u32_e64 v87, v99
	s_xor_b32 s10, exec_lo, s10
; %bb.4450:                             ;   in Loop: Header=BB4_4278 Depth=2
	s_delay_alu instid0(VALU_DEP_2) | instskip(SKIP_2) | instid1(VALU_DEP_2)
	v_cmp_lt_u32_e32 vcc_lo, 0xffffff, v12
	v_sub_nc_u32_e32 v11, v87, v99
	v_cndmask_b32_e64 v87, 0, 1, vcc_lo
	v_add_co_ci_u32_e32 v11, vcc_lo, 0, v11, vcc_lo
	s_delay_alu instid0(VALU_DEP_2)
	v_lshrrev_b32_e32 v12, v87, v12
; %bb.4451:                             ;   in Loop: Header=BB4_4278 Depth=2
	s_and_not1_saveexec_b32 s10, s10
; %bb.4452:                             ;   in Loop: Header=BB4_4278 Depth=2
	s_delay_alu instid0(VALU_DEP_1)
	v_bfe_u32 v11, v12, 23, 1
; %bb.4453:                             ;   in Loop: Header=BB4_4278 Depth=2
	s_or_b32 exec_lo, exec_lo, s10
	v_lshrrev_b32_e32 v12, 20, v12
	s_delay_alu instid0(VALU_DEP_2) | instskip(SKIP_2) | instid1(VALU_DEP_2)
	v_cmp_gt_i32_e32 vcc_lo, 16, v11
	v_min_i32_e32 v87, 15, v11
	v_lshrrev_b32_e32 v10, 24, v10
	v_dual_cndmask_b32 v12, 7, v12 :: v_dual_lshlrev_b32 v87, 3, v87
	s_delay_alu instid0(VALU_DEP_2) | instskip(NEXT) | instid1(VALU_DEP_2)
	v_and_b32_e32 v10, 0x80, v10
	v_or_b32_e32 v11, v11, v12
	s_delay_alu instid0(VALU_DEP_3) | instskip(NEXT) | instid1(VALU_DEP_2)
	v_and_b32_e32 v87, 0xf8, v87
	v_cmp_ne_u32_e32 vcc_lo, 0, v11
	v_and_b32_e32 v99, 7, v12
	s_delay_alu instid0(VALU_DEP_1) | instskip(NEXT) | instid1(VALU_DEP_1)
	v_or3_b32 v10, v10, v87, v99
	v_lshlrev_b32_e32 v10, 8, v10
	s_delay_alu instid0(VALU_DEP_1)
	v_cndmask_b32_e32 v102, 0, v10, vcc_lo
.LBB4_4454:                             ;   in Loop: Header=BB4_4278 Depth=2
	s_or_b32 exec_lo, exec_lo, s27
.LBB4_4455:                             ;   in Loop: Header=BB4_4278 Depth=2
	s_delay_alu instid0(SALU_CYCLE_1) | instskip(SKIP_3) | instid1(VALU_DEP_1)
	s_or_b32 exec_lo, exec_lo, s26
	v_lshrrev_b32_e32 v10, 16, v13
	s_mov_b32 s10, 0
	s_mov_b32 s27, exec_lo
                                        ; implicit-def: $sgpr26
	v_and_b32_e32 v12, 0xff, v10
	s_delay_alu instid0(VALU_DEP_1)
	v_cmpx_lt_i16_e32 0x7f, v12
	s_xor_b32 s27, exec_lo, s27
	s_cbranch_execnz .LBB4_4789
; %bb.4456:                             ;   in Loop: Header=BB4_4278 Depth=2
	s_or_saveexec_b32 s27, s27
	v_mov_b32_e32 v11, s26
	s_xor_b32 exec_lo, exec_lo, s27
	s_cbranch_execnz .LBB4_4792
.LBB4_4457:                             ;   in Loop: Header=BB4_4278 Depth=2
	s_or_b32 exec_lo, exec_lo, s27
	s_and_saveexec_b32 s26, s10
	s_cbranch_execz .LBB4_4459
.LBB4_4458:                             ;   in Loop: Header=BB4_4278 Depth=2
	v_bfe_u32 v11, v13, 16, 3
	s_delay_alu instid0(VALU_DEP_1) | instskip(NEXT) | instid1(VALU_DEP_1)
	v_clz_i32_u32_e32 v12, v11
	v_min_u32_e32 v12, 32, v12
	s_delay_alu instid0(VALU_DEP_1) | instskip(SKIP_1) | instid1(VALU_DEP_2)
	v_subrev_nc_u32_e32 v87, 28, v12
	v_sub_nc_u32_e32 v12, 29, v12
	v_lshlrev_b32_e32 v10, v87, v10
	v_bfe_u32 v87, v13, 19, 4
	s_delay_alu instid0(VALU_DEP_2) | instskip(NEXT) | instid1(VALU_DEP_2)
	v_and_b32_e32 v10, 7, v10
	v_cmp_eq_u32_e32 vcc_lo, 0, v87
	v_dual_cndmask_b32 v12, v87, v12 :: v_dual_lshlrev_b32 v99, 8, v13
	s_delay_alu instid0(VALU_DEP_1) | instskip(NEXT) | instid1(VALU_DEP_2)
	v_dual_cndmask_b32 v10, v11, v10 :: v_dual_and_b32 v11, 0x80000000, v99
	v_lshl_add_u32 v12, v12, 23, 0x3b800000
	s_delay_alu instid0(VALU_DEP_2) | instskip(NEXT) | instid1(VALU_DEP_1)
	v_lshlrev_b32_e32 v10, 20, v10
	v_or3_b32 v11, v11, v12, v10
.LBB4_4459:                             ;   in Loop: Header=BB4_4278 Depth=2
	s_or_b32 exec_lo, exec_lo, s26
	s_delay_alu instid0(VALU_DEP_1) | instskip(SKIP_1) | instid1(VALU_DEP_1)
	v_dual_mul_f32 v10, s25, v11 :: v_dual_mov_b32 v87, 0x80
	s_mov_b32 s26, exec_lo
	v_and_b32_e32 v11, 0x7f800000, v10
	s_delay_alu instid0(VALU_DEP_1)
	v_cmpx_ne_u32_e32 0x7f800000, v11
	s_cbranch_execz .LBB4_4467
; %bb.4460:                             ;   in Loop: Header=BB4_4278 Depth=2
	v_mov_b32_e32 v87, 0
	s_mov_b32 s27, exec_lo
	v_cmpx_ne_u32_e32 0, v10
	s_cbranch_execz .LBB4_4466
; %bb.4461:                             ;   in Loop: Header=BB4_4278 Depth=2
	v_bfe_u32 v11, v10, 23, 8
	s_delay_alu instid0(VALU_DEP_1) | instskip(SKIP_1) | instid1(VALU_DEP_2)
	v_sub_nc_u32_e32 v87, 0x78, v11
	v_cmp_gt_u32_e32 vcc_lo, 0x79, v11
	v_dual_cndmask_b32 v87, 0, v87 :: v_dual_and_b32 v12, 0x7fffff, v10
	s_delay_alu instid0(VALU_DEP_1) | instskip(SKIP_2) | instid1(VALU_DEP_4)
	v_or_b32_e32 v99, 0x800000, v12
	v_cmp_eq_u32_e32 vcc_lo, 0, v11
	v_add_nc_u32_e32 v11, 0xffffff89, v11
	v_cndmask_b32_e64 v87, v87, 0x77, vcc_lo
	s_delay_alu instid0(VALU_DEP_4) | instskip(NEXT) | instid1(VALU_DEP_3)
	v_cndmask_b32_e32 v12, v99, v12, vcc_lo
	v_cndmask_b32_e64 v11, v11, 0xffffff8a, vcc_lo
	s_delay_alu instid0(VALU_DEP_3) | instskip(NEXT) | instid1(VALU_DEP_3)
	v_lshl_add_u32 v99, 0x100000, v87, -1
	v_lshrrev_b32_e32 v118, v87, v12
	v_lshlrev_b32_e64 v128, v87, 0x80000
	s_delay_alu instid0(VALU_DEP_4) | instskip(NEXT) | instid1(VALU_DEP_4)
	v_add_nc_u32_e32 v87, v87, v11
	v_and_b32_e32 v12, v99, v12
	s_delay_alu instid0(VALU_DEP_4) | instskip(NEXT) | instid1(VALU_DEP_2)
	v_bfe_u32 v119, v118, 20, 1
	v_cmp_eq_u32_e64 s10, v12, v128
	s_delay_alu instid0(VALU_DEP_2) | instskip(NEXT) | instid1(VALU_DEP_1)
	v_add_nc_u32_e32 v99, -1, v119
	v_cndmask_b32_e64 v12, 0, v99, s10
	v_lshrrev_b32_e32 v99, 23, v118
	s_mov_b32 s10, exec_lo
	s_delay_alu instid0(VALU_DEP_2) | instskip(NEXT) | instid1(VALU_DEP_2)
	v_add_nc_u32_e32 v12, v12, v118
	v_xor_b32_e32 v99, 1, v99
	s_delay_alu instid0(VALU_DEP_2) | instskip(NEXT) | instid1(VALU_DEP_1)
	v_and_b32_e32 v11, 0xfffff, v12
	v_add_nc_u32_e32 v12, v11, v118
                                        ; implicit-def: $vgpr11
	s_delay_alu instid0(VALU_DEP_3)
	v_cmpx_ne_u32_e64 v87, v99
	s_xor_b32 s10, exec_lo, s10
; %bb.4462:                             ;   in Loop: Header=BB4_4278 Depth=2
	s_delay_alu instid0(VALU_DEP_2) | instskip(SKIP_2) | instid1(VALU_DEP_2)
	v_cmp_lt_u32_e32 vcc_lo, 0xffffff, v12
	v_sub_nc_u32_e32 v11, v87, v99
	v_cndmask_b32_e64 v87, 0, 1, vcc_lo
	v_add_co_ci_u32_e32 v11, vcc_lo, 0, v11, vcc_lo
	s_delay_alu instid0(VALU_DEP_2)
	v_lshrrev_b32_e32 v12, v87, v12
; %bb.4463:                             ;   in Loop: Header=BB4_4278 Depth=2
	s_and_not1_saveexec_b32 s10, s10
; %bb.4464:                             ;   in Loop: Header=BB4_4278 Depth=2
	s_delay_alu instid0(VALU_DEP_1)
	v_bfe_u32 v11, v12, 23, 1
; %bb.4465:                             ;   in Loop: Header=BB4_4278 Depth=2
	s_or_b32 exec_lo, exec_lo, s10
	v_lshrrev_b32_e32 v12, 20, v12
	s_delay_alu instid0(VALU_DEP_2) | instskip(SKIP_2) | instid1(VALU_DEP_3)
	v_min_i32_e32 v87, 15, v11
	v_cmp_gt_i32_e32 vcc_lo, 16, v11
	v_lshrrev_b32_e32 v10, 24, v10
	v_dual_cndmask_b32 v12, 7, v12 :: v_dual_lshlrev_b32 v87, 3, v87
	s_delay_alu instid0(VALU_DEP_2) | instskip(NEXT) | instid1(VALU_DEP_2)
	v_and_b32_e32 v10, 0x80, v10
	v_and_b32_e32 v87, 0xf8, v87
	s_delay_alu instid0(VALU_DEP_3) | instskip(SKIP_1) | instid1(VALU_DEP_2)
	v_and_b32_e32 v99, 7, v12
	v_or_b32_e32 v11, v11, v12
	v_or3_b32 v10, v87, v10, v99
	s_delay_alu instid0(VALU_DEP_2) | instskip(NEXT) | instid1(VALU_DEP_2)
	v_cmp_ne_u32_e32 vcc_lo, 0, v11
	v_cndmask_b32_e32 v87, 0, v10, vcc_lo
.LBB4_4466:                             ;   in Loop: Header=BB4_4278 Depth=2
	s_or_b32 exec_lo, exec_lo, s27
.LBB4_4467:                             ;   in Loop: Header=BB4_4278 Depth=2
	s_delay_alu instid0(SALU_CYCLE_1) | instskip(SKIP_3) | instid1(VALU_DEP_1)
	s_or_b32 exec_lo, exec_lo, s26
	v_lshrrev_b32_e32 v10, 24, v13
	s_mov_b32 s10, 0
	s_mov_b32 s27, exec_lo
                                        ; implicit-def: $sgpr26
	v_cmpx_lt_i16_e32 0x7f, v10
	s_xor_b32 s27, exec_lo, s27
	s_cbranch_execnz .LBB4_4793
; %bb.4468:                             ;   in Loop: Header=BB4_4278 Depth=2
	s_or_saveexec_b32 s27, s27
	v_mov_b32_e32 v11, s26
	s_xor_b32 exec_lo, exec_lo, s27
	s_cbranch_execnz .LBB4_4796
.LBB4_4469:                             ;   in Loop: Header=BB4_4278 Depth=2
	s_or_b32 exec_lo, exec_lo, s27
	s_and_saveexec_b32 s26, s10
	s_cbranch_execz .LBB4_4471
.LBB4_4470:                             ;   in Loop: Header=BB4_4278 Depth=2
	v_bfe_u32 v11, v13, 24, 3
	s_delay_alu instid0(VALU_DEP_1) | instskip(NEXT) | instid1(VALU_DEP_1)
	v_clz_i32_u32_e32 v12, v11
	v_min_u32_e32 v12, 32, v12
	s_delay_alu instid0(VALU_DEP_1) | instskip(SKIP_1) | instid1(VALU_DEP_2)
	v_subrev_nc_u32_e32 v99, 28, v12
	v_sub_nc_u32_e32 v12, 29, v12
	v_lshlrev_b32_e32 v10, v99, v10
	v_bfe_u32 v99, v13, 27, 4
	s_delay_alu instid0(VALU_DEP_2) | instskip(NEXT) | instid1(VALU_DEP_2)
	v_and_b32_e32 v10, 7, v10
	v_cmp_eq_u32_e32 vcc_lo, 0, v99
	v_cndmask_b32_e32 v12, v99, v12, vcc_lo
	s_delay_alu instid0(VALU_DEP_3) | instskip(NEXT) | instid1(VALU_DEP_2)
	v_dual_cndmask_b32 v10, v11, v10 :: v_dual_and_b32 v11, 0x80000000, v13
	v_lshl_add_u32 v12, v12, 23, 0x3b800000
	s_delay_alu instid0(VALU_DEP_2) | instskip(NEXT) | instid1(VALU_DEP_1)
	v_lshlrev_b32_e32 v10, 20, v10
	v_or3_b32 v11, v11, v12, v10
.LBB4_4471:                             ;   in Loop: Header=BB4_4278 Depth=2
	s_or_b32 exec_lo, exec_lo, s26
	s_delay_alu instid0(VALU_DEP_1) | instskip(SKIP_1) | instid1(VALU_DEP_1)
	v_dual_mul_f32 v10, s25, v11 :: v_dual_mov_b32 v99, 0x8000
	s_mov_b32 s25, exec_lo
	v_and_b32_e32 v11, 0x7f800000, v10
	s_delay_alu instid0(VALU_DEP_1)
	v_cmpx_ne_u32_e32 0x7f800000, v11
	s_cbranch_execz .LBB4_4479
; %bb.4472:                             ;   in Loop: Header=BB4_4278 Depth=2
	v_mov_b32_e32 v99, 0
	s_mov_b32 s26, exec_lo
	v_cmpx_ne_u32_e32 0, v10
	s_cbranch_execz .LBB4_4478
; %bb.4473:                             ;   in Loop: Header=BB4_4278 Depth=2
	v_bfe_u32 v11, v10, 23, 8
	s_delay_alu instid0(VALU_DEP_1) | instskip(SKIP_1) | instid1(VALU_DEP_2)
	v_sub_nc_u32_e32 v13, 0x78, v11
	v_cmp_gt_u32_e32 vcc_lo, 0x79, v11
	v_dual_cndmask_b32 v13, 0, v13 :: v_dual_and_b32 v12, 0x7fffff, v10
	s_delay_alu instid0(VALU_DEP_1) | instskip(SKIP_2) | instid1(VALU_DEP_4)
	v_or_b32_e32 v99, 0x800000, v12
	v_cmp_eq_u32_e32 vcc_lo, 0, v11
	v_add_nc_u32_e32 v11, 0xffffff89, v11
	v_cndmask_b32_e64 v13, v13, 0x77, vcc_lo
	s_delay_alu instid0(VALU_DEP_4) | instskip(NEXT) | instid1(VALU_DEP_3)
	v_cndmask_b32_e32 v12, v99, v12, vcc_lo
	v_cndmask_b32_e64 v11, v11, 0xffffff8a, vcc_lo
	s_delay_alu instid0(VALU_DEP_3) | instskip(NEXT) | instid1(VALU_DEP_3)
	v_lshl_add_u32 v99, 0x100000, v13, -1
	v_lshrrev_b32_e32 v118, v13, v12
	v_lshlrev_b32_e64 v128, v13, 0x80000
	s_delay_alu instid0(VALU_DEP_4) | instskip(NEXT) | instid1(VALU_DEP_4)
	v_add_nc_u32_e32 v13, v13, v11
	v_and_b32_e32 v12, v99, v12
	s_delay_alu instid0(VALU_DEP_4) | instskip(NEXT) | instid1(VALU_DEP_2)
	v_bfe_u32 v119, v118, 20, 1
	v_cmp_eq_u32_e64 s10, v12, v128
	s_delay_alu instid0(VALU_DEP_2) | instskip(NEXT) | instid1(VALU_DEP_1)
	v_add_nc_u32_e32 v99, -1, v119
	v_cndmask_b32_e64 v12, 0, v99, s10
	v_lshrrev_b32_e32 v99, 23, v118
	s_mov_b32 s10, exec_lo
	s_delay_alu instid0(VALU_DEP_2) | instskip(NEXT) | instid1(VALU_DEP_2)
	v_add_nc_u32_e32 v12, v12, v118
	v_xor_b32_e32 v99, 1, v99
	s_delay_alu instid0(VALU_DEP_2) | instskip(NEXT) | instid1(VALU_DEP_1)
	v_and_b32_e32 v11, 0xfffff, v12
	v_add_nc_u32_e32 v12, v11, v118
                                        ; implicit-def: $vgpr11
	s_delay_alu instid0(VALU_DEP_3)
	v_cmpx_ne_u32_e64 v13, v99
	s_xor_b32 s10, exec_lo, s10
; %bb.4474:                             ;   in Loop: Header=BB4_4278 Depth=2
	s_delay_alu instid0(VALU_DEP_2) | instskip(SKIP_2) | instid1(VALU_DEP_2)
	v_cmp_lt_u32_e32 vcc_lo, 0xffffff, v12
	v_sub_nc_u32_e32 v11, v13, v99
	v_cndmask_b32_e64 v13, 0, 1, vcc_lo
	v_add_co_ci_u32_e32 v11, vcc_lo, 0, v11, vcc_lo
	s_delay_alu instid0(VALU_DEP_2)
	v_lshrrev_b32_e32 v12, v13, v12
; %bb.4475:                             ;   in Loop: Header=BB4_4278 Depth=2
	s_and_not1_saveexec_b32 s10, s10
; %bb.4476:                             ;   in Loop: Header=BB4_4278 Depth=2
	s_delay_alu instid0(VALU_DEP_1)
	v_bfe_u32 v11, v12, 23, 1
; %bb.4477:                             ;   in Loop: Header=BB4_4278 Depth=2
	s_or_b32 exec_lo, exec_lo, s10
	v_lshrrev_b32_e32 v12, 20, v12
	s_delay_alu instid0(VALU_DEP_2) | instskip(SKIP_2) | instid1(VALU_DEP_3)
	v_min_i32_e32 v13, 15, v11
	v_cmp_gt_i32_e32 vcc_lo, 16, v11
	v_lshrrev_b32_e32 v10, 24, v10
	v_dual_cndmask_b32 v12, 7, v12 :: v_dual_lshlrev_b32 v13, 3, v13
	s_delay_alu instid0(VALU_DEP_2) | instskip(NEXT) | instid1(VALU_DEP_2)
	v_and_b32_e32 v10, 0x80, v10
	v_and_b32_e32 v13, 0xf8, v13
	s_delay_alu instid0(VALU_DEP_3) | instskip(SKIP_1) | instid1(VALU_DEP_2)
	v_and_b32_e32 v99, 7, v12
	v_or_b32_e32 v11, v11, v12
	v_or3_b32 v10, v10, v13, v99
	s_delay_alu instid0(VALU_DEP_2) | instskip(NEXT) | instid1(VALU_DEP_2)
	v_cmp_ne_u32_e32 vcc_lo, 0, v11
	v_lshlrev_b32_e32 v10, 8, v10
	s_delay_alu instid0(VALU_DEP_1)
	v_cndmask_b32_e32 v99, 0, v10, vcc_lo
.LBB4_4478:                             ;   in Loop: Header=BB4_4278 Depth=2
	s_or_b32 exec_lo, exec_lo, s26
.LBB4_4479:                             ;   in Loop: Header=BB4_4278 Depth=2
	s_delay_alu instid0(SALU_CYCLE_1) | instskip(SKIP_4) | instid1(VALU_DEP_1)
	s_or_b32 exec_lo, exec_lo, s25
	global_load_b128 v[10:13], v[16:17], off slc dlc
	v_and_b32_e32 v119, 0xff, v86
	s_mov_b32 s10, 0
	s_mov_b32 s26, exec_lo
                                        ; implicit-def: $sgpr25
	v_cmpx_lt_i16_e32 0x7f, v119
	s_xor_b32 s26, exec_lo, s26
	s_cbranch_execnz .LBB4_4797
; %bb.4480:                             ;   in Loop: Header=BB4_4278 Depth=2
	s_or_saveexec_b32 s26, s26
	v_mov_b32_e32 v118, s25
	s_xor_b32 exec_lo, exec_lo, s26
	s_cbranch_execnz .LBB4_4800
.LBB4_4481:                             ;   in Loop: Header=BB4_4278 Depth=2
	s_or_b32 exec_lo, exec_lo, s26
	s_and_saveexec_b32 s25, s10
	s_cbranch_execz .LBB4_4483
.LBB4_4482:                             ;   in Loop: Header=BB4_4278 Depth=2
	v_bfe_u32 v129, v86, 3, 4
	s_delay_alu instid0(VALU_DEP_1) | instskip(SKIP_1) | instid1(VALU_DEP_1)
	v_cmp_eq_u32_e32 vcc_lo, 0, v129
	v_and_b32_e32 v118, 7, v86
	v_clz_i32_u32_e32 v119, v118
	s_delay_alu instid0(VALU_DEP_1) | instskip(NEXT) | instid1(VALU_DEP_1)
	v_min_u32_e32 v119, 32, v119
	v_subrev_nc_u32_e32 v128, 28, v119
	v_sub_nc_u32_e32 v119, 29, v119
	s_delay_alu instid0(VALU_DEP_1) | instskip(SKIP_1) | instid1(VALU_DEP_2)
	v_dual_cndmask_b32 v119, v129, v119 :: v_dual_lshlrev_b32 v128, v128, v86
	v_lshlrev_b32_e32 v86, 24, v86
	v_and_b32_e32 v128, 7, v128
	s_delay_alu instid0(VALU_DEP_3) | instskip(NEXT) | instid1(VALU_DEP_3)
	v_lshl_add_u32 v119, v119, 23, 0x3b800000
	v_and_b32_e32 v86, 0x80000000, v86
	s_delay_alu instid0(VALU_DEP_3) | instskip(NEXT) | instid1(VALU_DEP_1)
	v_cndmask_b32_e32 v118, v118, v128, vcc_lo
	v_lshlrev_b32_e32 v118, 20, v118
	s_delay_alu instid0(VALU_DEP_1)
	v_or3_b32 v118, v86, v119, v118
.LBB4_4483:                             ;   in Loop: Header=BB4_4278 Depth=2
	s_or_b32 exec_lo, exec_lo, s25
	s_waitcnt vmcnt(0)
	v_and_b32_e32 v119, 0xff, v10
	s_mov_b32 s10, 0
	s_mov_b32 s26, exec_lo
                                        ; implicit-def: $sgpr25
	s_delay_alu instid0(VALU_DEP_1)
	v_cmpx_lt_i16_e32 0x7f, v119
	s_xor_b32 s26, exec_lo, s26
	s_cbranch_execnz .LBB4_4801
; %bb.4484:                             ;   in Loop: Header=BB4_4278 Depth=2
	s_or_saveexec_b32 s26, s26
	v_mov_b32_e32 v86, s25
	s_xor_b32 exec_lo, exec_lo, s26
	s_cbranch_execnz .LBB4_4804
.LBB4_4485:                             ;   in Loop: Header=BB4_4278 Depth=2
	s_or_b32 exec_lo, exec_lo, s26
	s_and_saveexec_b32 s25, s10
	s_cbranch_execz .LBB4_4487
.LBB4_4486:                             ;   in Loop: Header=BB4_4278 Depth=2
	v_bfe_u32 v129, v10, 3, 4
	v_lshlrev_b32_e32 v130, 24, v10
	s_delay_alu instid0(VALU_DEP_2) | instskip(SKIP_1) | instid1(VALU_DEP_1)
	v_cmp_eq_u32_e32 vcc_lo, 0, v129
	v_and_b32_e32 v86, 7, v10
	v_clz_i32_u32_e32 v119, v86
	s_delay_alu instid0(VALU_DEP_1) | instskip(NEXT) | instid1(VALU_DEP_1)
	v_min_u32_e32 v119, 32, v119
	v_subrev_nc_u32_e32 v128, 28, v119
	v_sub_nc_u32_e32 v119, 29, v119
	s_delay_alu instid0(VALU_DEP_1) | instskip(NEXT) | instid1(VALU_DEP_1)
	v_dual_cndmask_b32 v119, v129, v119 :: v_dual_lshlrev_b32 v128, v128, v10
	v_and_b32_e32 v128, 7, v128
	s_delay_alu instid0(VALU_DEP_2) | instskip(NEXT) | instid1(VALU_DEP_2)
	v_lshl_add_u32 v119, v119, 23, 0x3b800000
	v_cndmask_b32_e32 v86, v86, v128, vcc_lo
	v_and_b32_e32 v128, 0x80000000, v130
	s_delay_alu instid0(VALU_DEP_2) | instskip(NEXT) | instid1(VALU_DEP_1)
	v_lshlrev_b32_e32 v86, 20, v86
	v_or3_b32 v86, v128, v119, v86
.LBB4_4487:                             ;   in Loop: Header=BB4_4278 Depth=2
	s_or_b32 exec_lo, exec_lo, s25
	s_delay_alu instid0(VALU_DEP_1) | instskip(NEXT) | instid1(VALU_DEP_1)
	v_add_f32_e32 v118, v118, v86
	v_and_b32_e32 v86, 0x7f800000, v118
	s_delay_alu instid0(VALU_DEP_1)
	v_cmp_ne_u32_e32 vcc_lo, 0x7f800000, v86
	v_mov_b32_e32 v86, 0x80
	s_and_saveexec_b32 s25, vcc_lo
	s_cbranch_execz .LBB4_4495
; %bb.4488:                             ;   in Loop: Header=BB4_4278 Depth=2
	v_mov_b32_e32 v86, 0
	s_mov_b32 s26, exec_lo
	v_cmpx_ne_u32_e32 0, v118
	s_cbranch_execz .LBB4_4494
; %bb.4489:                             ;   in Loop: Header=BB4_4278 Depth=2
	v_bfe_u32 v86, v118, 23, 8
	s_delay_alu instid0(VALU_DEP_1) | instskip(SKIP_1) | instid1(VALU_DEP_2)
	v_sub_nc_u32_e32 v128, 0x78, v86
	v_cmp_gt_u32_e32 vcc_lo, 0x79, v86
	v_dual_cndmask_b32 v128, 0, v128 :: v_dual_and_b32 v119, 0x7fffff, v118
	s_delay_alu instid0(VALU_DEP_1) | instskip(SKIP_2) | instid1(VALU_DEP_4)
	v_or_b32_e32 v129, 0x800000, v119
	v_cmp_eq_u32_e32 vcc_lo, 0, v86
	v_add_nc_u32_e32 v86, 0xffffff89, v86
	v_cndmask_b32_e64 v128, v128, 0x77, vcc_lo
	s_delay_alu instid0(VALU_DEP_4) | instskip(NEXT) | instid1(VALU_DEP_3)
	v_cndmask_b32_e32 v119, v129, v119, vcc_lo
	v_cndmask_b32_e64 v86, v86, 0xffffff8a, vcc_lo
	s_delay_alu instid0(VALU_DEP_3) | instskip(NEXT) | instid1(VALU_DEP_3)
	v_lshl_add_u32 v129, 0x100000, v128, -1
	v_lshrrev_b32_e32 v130, v128, v119
	v_lshlrev_b32_e64 v132, v128, 0x80000
	s_delay_alu instid0(VALU_DEP_4) | instskip(NEXT) | instid1(VALU_DEP_4)
	v_add_nc_u32_e32 v128, v128, v86
	v_and_b32_e32 v119, v129, v119
	s_delay_alu instid0(VALU_DEP_4) | instskip(NEXT) | instid1(VALU_DEP_2)
	v_bfe_u32 v131, v130, 20, 1
	v_cmp_eq_u32_e64 s10, v119, v132
	s_delay_alu instid0(VALU_DEP_2) | instskip(NEXT) | instid1(VALU_DEP_1)
	v_add_nc_u32_e32 v129, -1, v131
	v_cndmask_b32_e64 v119, 0, v129, s10
	v_lshrrev_b32_e32 v129, 23, v130
	s_mov_b32 s10, exec_lo
	s_delay_alu instid0(VALU_DEP_2) | instskip(NEXT) | instid1(VALU_DEP_2)
	v_add_nc_u32_e32 v119, v119, v130
	v_xor_b32_e32 v129, 1, v129
	s_delay_alu instid0(VALU_DEP_2) | instskip(NEXT) | instid1(VALU_DEP_1)
	v_and_b32_e32 v86, 0xfffff, v119
	v_add_nc_u32_e32 v119, v86, v130
                                        ; implicit-def: $vgpr86
	s_delay_alu instid0(VALU_DEP_3)
	v_cmpx_ne_u32_e64 v128, v129
	s_xor_b32 s10, exec_lo, s10
; %bb.4490:                             ;   in Loop: Header=BB4_4278 Depth=2
	s_delay_alu instid0(VALU_DEP_2) | instskip(SKIP_2) | instid1(VALU_DEP_2)
	v_cmp_lt_u32_e32 vcc_lo, 0xffffff, v119
	v_sub_nc_u32_e32 v86, v128, v129
	v_cndmask_b32_e64 v128, 0, 1, vcc_lo
	v_add_co_ci_u32_e32 v86, vcc_lo, 0, v86, vcc_lo
	s_delay_alu instid0(VALU_DEP_2)
	v_lshrrev_b32_e32 v119, v128, v119
; %bb.4491:                             ;   in Loop: Header=BB4_4278 Depth=2
	s_and_not1_saveexec_b32 s10, s10
; %bb.4492:                             ;   in Loop: Header=BB4_4278 Depth=2
	s_delay_alu instid0(VALU_DEP_1)
	v_bfe_u32 v86, v119, 23, 1
; %bb.4493:                             ;   in Loop: Header=BB4_4278 Depth=2
	s_or_b32 exec_lo, exec_lo, s10
	v_lshrrev_b32_e32 v119, 20, v119
	s_delay_alu instid0(VALU_DEP_2) | instskip(SKIP_2) | instid1(VALU_DEP_2)
	v_cmp_gt_i32_e32 vcc_lo, 16, v86
	v_lshrrev_b32_e32 v118, 24, v118
	v_min_i32_e32 v128, 15, v86
	v_dual_cndmask_b32 v119, 7, v119 :: v_dual_and_b32 v118, 0x80, v118
	s_delay_alu instid0(VALU_DEP_2) | instskip(NEXT) | instid1(VALU_DEP_2)
	v_lshlrev_b32_e32 v128, 3, v128
	v_or_b32_e32 v86, v86, v119
	s_delay_alu instid0(VALU_DEP_1) | instskip(SKIP_1) | instid1(VALU_DEP_1)
	v_cmp_ne_u32_e32 vcc_lo, 0, v86
	v_and_b32_e32 v129, 7, v119
	v_or3_b32 v118, v128, v118, v129
	s_delay_alu instid0(VALU_DEP_1)
	v_cndmask_b32_e32 v86, 0, v118, vcc_lo
.LBB4_4494:                             ;   in Loop: Header=BB4_4278 Depth=2
	s_or_b32 exec_lo, exec_lo, s26
.LBB4_4495:                             ;   in Loop: Header=BB4_4278 Depth=2
	s_delay_alu instid0(SALU_CYCLE_1) | instskip(SKIP_3) | instid1(VALU_DEP_1)
	s_or_b32 exec_lo, exec_lo, s25
	v_and_b32_e32 v119, 0xff, v98
	s_mov_b32 s10, 0
	s_mov_b32 s26, exec_lo
                                        ; implicit-def: $sgpr25
	v_cmpx_lt_i16_e32 0x7f, v119
	s_xor_b32 s26, exec_lo, s26
	s_cbranch_execnz .LBB4_4805
; %bb.4496:                             ;   in Loop: Header=BB4_4278 Depth=2
	s_or_saveexec_b32 s26, s26
	v_mov_b32_e32 v118, s25
	s_xor_b32 exec_lo, exec_lo, s26
	s_cbranch_execnz .LBB4_4808
.LBB4_4497:                             ;   in Loop: Header=BB4_4278 Depth=2
	s_or_b32 exec_lo, exec_lo, s26
	s_and_saveexec_b32 s25, s10
	s_cbranch_execz .LBB4_4499
.LBB4_4498:                             ;   in Loop: Header=BB4_4278 Depth=2
	v_bfe_u32 v129, v98, 3, 4
	s_delay_alu instid0(VALU_DEP_1) | instskip(SKIP_1) | instid1(VALU_DEP_1)
	v_cmp_eq_u32_e32 vcc_lo, 0, v129
	v_and_b32_e32 v118, 7, v98
	v_clz_i32_u32_e32 v119, v118
	s_delay_alu instid0(VALU_DEP_1) | instskip(NEXT) | instid1(VALU_DEP_1)
	v_min_u32_e32 v119, 32, v119
	v_subrev_nc_u32_e32 v128, 28, v119
	v_sub_nc_u32_e32 v119, 29, v119
	s_delay_alu instid0(VALU_DEP_1) | instskip(SKIP_1) | instid1(VALU_DEP_2)
	v_dual_cndmask_b32 v119, v129, v119 :: v_dual_lshlrev_b32 v128, v128, v98
	v_lshlrev_b32_e32 v98, 24, v98
	v_and_b32_e32 v128, 7, v128
	s_delay_alu instid0(VALU_DEP_3) | instskip(NEXT) | instid1(VALU_DEP_3)
	v_lshl_add_u32 v119, v119, 23, 0x3b800000
	v_and_b32_e32 v98, 0x80000000, v98
	s_delay_alu instid0(VALU_DEP_3) | instskip(NEXT) | instid1(VALU_DEP_1)
	v_cndmask_b32_e32 v118, v118, v128, vcc_lo
	v_lshlrev_b32_e32 v118, 20, v118
	s_delay_alu instid0(VALU_DEP_1)
	v_or3_b32 v118, v98, v119, v118
.LBB4_4499:                             ;   in Loop: Header=BB4_4278 Depth=2
	s_or_b32 exec_lo, exec_lo, s25
	v_lshrrev_b16 v98, 8, v10
	s_mov_b32 s10, 0
	s_mov_b32 s26, exec_lo
                                        ; implicit-def: $sgpr25
	s_delay_alu instid0(VALU_DEP_1)
	v_cmpx_lt_i16_e32 0x7f, v98
	s_xor_b32 s26, exec_lo, s26
	s_cbranch_execnz .LBB4_4809
; %bb.4500:                             ;   in Loop: Header=BB4_4278 Depth=2
	s_or_saveexec_b32 s26, s26
	v_mov_b32_e32 v119, s25
	s_xor_b32 exec_lo, exec_lo, s26
	s_cbranch_execnz .LBB4_4812
.LBB4_4501:                             ;   in Loop: Header=BB4_4278 Depth=2
	s_or_b32 exec_lo, exec_lo, s26
	s_and_saveexec_b32 s25, s10
	s_cbranch_execz .LBB4_4503
.LBB4_4502:                             ;   in Loop: Header=BB4_4278 Depth=2
	v_and_b32_e32 v119, 0xffff, v98
	v_lshlrev_b32_e32 v98, 24, v98
	s_delay_alu instid0(VALU_DEP_2) | instskip(NEXT) | instid1(VALU_DEP_2)
	v_and_b32_e32 v128, 7, v119
	v_and_b32_e32 v98, 0x80000000, v98
	s_delay_alu instid0(VALU_DEP_2) | instskip(NEXT) | instid1(VALU_DEP_1)
	v_clz_i32_u32_e32 v129, v128
	v_min_u32_e32 v129, 32, v129
	s_delay_alu instid0(VALU_DEP_1) | instskip(SKIP_1) | instid1(VALU_DEP_2)
	v_subrev_nc_u32_e32 v130, 28, v129
	v_sub_nc_u32_e32 v129, 29, v129
	v_lshlrev_b32_e32 v130, v130, v119
	v_bfe_u32 v119, v119, 3, 4
	s_delay_alu instid0(VALU_DEP_2) | instskip(NEXT) | instid1(VALU_DEP_2)
	v_and_b32_e32 v130, 7, v130
	v_cmp_eq_u32_e32 vcc_lo, 0, v119
	s_delay_alu instid0(VALU_DEP_2) | instskip(NEXT) | instid1(VALU_DEP_1)
	v_dual_cndmask_b32 v119, v119, v129 :: v_dual_cndmask_b32 v128, v128, v130
	v_lshl_add_u32 v119, v119, 23, 0x3b800000
	s_delay_alu instid0(VALU_DEP_2) | instskip(NEXT) | instid1(VALU_DEP_1)
	v_lshlrev_b32_e32 v128, 20, v128
	v_or3_b32 v119, v98, v119, v128
.LBB4_4503:                             ;   in Loop: Header=BB4_4278 Depth=2
	s_or_b32 exec_lo, exec_lo, s25
	s_delay_alu instid0(VALU_DEP_1) | instskip(NEXT) | instid1(VALU_DEP_1)
	v_add_f32_e32 v118, v118, v119
	v_and_b32_e32 v98, 0x7f800000, v118
	s_delay_alu instid0(VALU_DEP_1)
	v_cmp_ne_u32_e32 vcc_lo, 0x7f800000, v98
	v_mov_b32_e32 v98, 0x80
	s_and_saveexec_b32 s25, vcc_lo
	s_cbranch_execz .LBB4_4511
; %bb.4504:                             ;   in Loop: Header=BB4_4278 Depth=2
	v_mov_b32_e32 v98, 0
	s_mov_b32 s26, exec_lo
	v_cmpx_ne_u32_e32 0, v118
	s_cbranch_execz .LBB4_4510
; %bb.4505:                             ;   in Loop: Header=BB4_4278 Depth=2
	v_bfe_u32 v98, v118, 23, 8
	s_delay_alu instid0(VALU_DEP_1) | instskip(SKIP_1) | instid1(VALU_DEP_2)
	v_sub_nc_u32_e32 v128, 0x78, v98
	v_cmp_gt_u32_e32 vcc_lo, 0x79, v98
	v_dual_cndmask_b32 v128, 0, v128 :: v_dual_and_b32 v119, 0x7fffff, v118
	s_delay_alu instid0(VALU_DEP_1) | instskip(SKIP_2) | instid1(VALU_DEP_4)
	v_or_b32_e32 v129, 0x800000, v119
	v_cmp_eq_u32_e32 vcc_lo, 0, v98
	v_add_nc_u32_e32 v98, 0xffffff89, v98
	v_cndmask_b32_e64 v128, v128, 0x77, vcc_lo
	s_delay_alu instid0(VALU_DEP_4) | instskip(NEXT) | instid1(VALU_DEP_3)
	v_cndmask_b32_e32 v119, v129, v119, vcc_lo
	v_cndmask_b32_e64 v98, v98, 0xffffff8a, vcc_lo
	s_delay_alu instid0(VALU_DEP_3) | instskip(NEXT) | instid1(VALU_DEP_3)
	v_lshl_add_u32 v129, 0x100000, v128, -1
	v_lshrrev_b32_e32 v130, v128, v119
	v_lshlrev_b32_e64 v132, v128, 0x80000
	s_delay_alu instid0(VALU_DEP_4) | instskip(NEXT) | instid1(VALU_DEP_4)
	v_add_nc_u32_e32 v128, v128, v98
	v_and_b32_e32 v119, v129, v119
	s_delay_alu instid0(VALU_DEP_4) | instskip(NEXT) | instid1(VALU_DEP_2)
	v_bfe_u32 v131, v130, 20, 1
	v_cmp_eq_u32_e64 s10, v119, v132
	s_delay_alu instid0(VALU_DEP_2) | instskip(NEXT) | instid1(VALU_DEP_1)
	v_add_nc_u32_e32 v129, -1, v131
	v_cndmask_b32_e64 v119, 0, v129, s10
	v_lshrrev_b32_e32 v129, 23, v130
	s_mov_b32 s10, exec_lo
	s_delay_alu instid0(VALU_DEP_2) | instskip(NEXT) | instid1(VALU_DEP_2)
	v_add_nc_u32_e32 v119, v119, v130
	v_xor_b32_e32 v129, 1, v129
	s_delay_alu instid0(VALU_DEP_2) | instskip(NEXT) | instid1(VALU_DEP_1)
	v_and_b32_e32 v98, 0xfffff, v119
	v_add_nc_u32_e32 v119, v98, v130
                                        ; implicit-def: $vgpr98
	s_delay_alu instid0(VALU_DEP_3)
	v_cmpx_ne_u32_e64 v128, v129
	s_xor_b32 s10, exec_lo, s10
; %bb.4506:                             ;   in Loop: Header=BB4_4278 Depth=2
	s_delay_alu instid0(VALU_DEP_2) | instskip(SKIP_2) | instid1(VALU_DEP_2)
	v_cmp_lt_u32_e32 vcc_lo, 0xffffff, v119
	v_sub_nc_u32_e32 v98, v128, v129
	v_cndmask_b32_e64 v128, 0, 1, vcc_lo
	v_add_co_ci_u32_e32 v98, vcc_lo, 0, v98, vcc_lo
	s_delay_alu instid0(VALU_DEP_2)
	v_lshrrev_b32_e32 v119, v128, v119
; %bb.4507:                             ;   in Loop: Header=BB4_4278 Depth=2
	s_and_not1_saveexec_b32 s10, s10
; %bb.4508:                             ;   in Loop: Header=BB4_4278 Depth=2
	s_delay_alu instid0(VALU_DEP_1)
	v_bfe_u32 v98, v119, 23, 1
; %bb.4509:                             ;   in Loop: Header=BB4_4278 Depth=2
	s_or_b32 exec_lo, exec_lo, s10
	v_lshrrev_b32_e32 v119, 20, v119
	s_delay_alu instid0(VALU_DEP_2) | instskip(SKIP_2) | instid1(VALU_DEP_2)
	v_cmp_gt_i32_e32 vcc_lo, 16, v98
	v_lshrrev_b32_e32 v118, 24, v118
	v_min_i32_e32 v128, 15, v98
	v_dual_cndmask_b32 v119, 7, v119 :: v_dual_and_b32 v118, 0x80, v118
	s_delay_alu instid0(VALU_DEP_2) | instskip(NEXT) | instid1(VALU_DEP_2)
	v_lshlrev_b32_e32 v128, 3, v128
	v_or_b32_e32 v98, v98, v119
	s_delay_alu instid0(VALU_DEP_1) | instskip(SKIP_1) | instid1(VALU_DEP_1)
	v_cmp_ne_u32_e32 vcc_lo, 0, v98
	v_and_b32_e32 v129, 7, v119
	v_or3_b32 v118, v128, v118, v129
	s_delay_alu instid0(VALU_DEP_1)
	v_cndmask_b32_e32 v98, 0, v118, vcc_lo
.LBB4_4510:                             ;   in Loop: Header=BB4_4278 Depth=2
	s_or_b32 exec_lo, exec_lo, s26
.LBB4_4511:                             ;   in Loop: Header=BB4_4278 Depth=2
	s_delay_alu instid0(SALU_CYCLE_1) | instskip(SKIP_3) | instid1(VALU_DEP_1)
	s_or_b32 exec_lo, exec_lo, s25
	v_and_b32_e32 v119, 0xff, v112
	s_mov_b32 s10, 0
	s_mov_b32 s26, exec_lo
                                        ; implicit-def: $sgpr25
	v_cmpx_lt_i16_e32 0x7f, v119
	s_xor_b32 s26, exec_lo, s26
	s_cbranch_execnz .LBB4_4813
; %bb.4512:                             ;   in Loop: Header=BB4_4278 Depth=2
	s_or_saveexec_b32 s26, s26
	v_mov_b32_e32 v118, s25
	s_xor_b32 exec_lo, exec_lo, s26
	s_cbranch_execnz .LBB4_4816
.LBB4_4513:                             ;   in Loop: Header=BB4_4278 Depth=2
	s_or_b32 exec_lo, exec_lo, s26
	s_and_saveexec_b32 s25, s10
	s_cbranch_execz .LBB4_4515
.LBB4_4514:                             ;   in Loop: Header=BB4_4278 Depth=2
	v_bfe_u32 v129, v112, 3, 4
	s_delay_alu instid0(VALU_DEP_1) | instskip(SKIP_1) | instid1(VALU_DEP_1)
	v_cmp_eq_u32_e32 vcc_lo, 0, v129
	v_and_b32_e32 v118, 7, v112
	v_clz_i32_u32_e32 v119, v118
	s_delay_alu instid0(VALU_DEP_1) | instskip(NEXT) | instid1(VALU_DEP_1)
	v_min_u32_e32 v119, 32, v119
	v_subrev_nc_u32_e32 v128, 28, v119
	v_sub_nc_u32_e32 v119, 29, v119
	s_delay_alu instid0(VALU_DEP_1) | instskip(SKIP_1) | instid1(VALU_DEP_2)
	v_dual_cndmask_b32 v119, v129, v119 :: v_dual_lshlrev_b32 v128, v128, v112
	v_lshlrev_b32_e32 v112, 24, v112
	v_and_b32_e32 v128, 7, v128
	s_delay_alu instid0(VALU_DEP_3) | instskip(NEXT) | instid1(VALU_DEP_3)
	v_lshl_add_u32 v119, v119, 23, 0x3b800000
	v_and_b32_e32 v112, 0x80000000, v112
	s_delay_alu instid0(VALU_DEP_3) | instskip(NEXT) | instid1(VALU_DEP_1)
	v_cndmask_b32_e32 v118, v118, v128, vcc_lo
	v_lshlrev_b32_e32 v118, 20, v118
	s_delay_alu instid0(VALU_DEP_1)
	v_or3_b32 v118, v112, v119, v118
.LBB4_4515:                             ;   in Loop: Header=BB4_4278 Depth=2
	s_or_b32 exec_lo, exec_lo, s25
	v_lshrrev_b32_e32 v112, 16, v10
	s_mov_b32 s10, 0
	s_mov_b32 s26, exec_lo
                                        ; implicit-def: $sgpr25
	s_delay_alu instid0(VALU_DEP_1) | instskip(NEXT) | instid1(VALU_DEP_1)
	v_and_b32_e32 v128, 0xff, v112
	v_cmpx_lt_i16_e64 0x7f, v128
	s_xor_b32 s26, exec_lo, s26
	s_cbranch_execnz .LBB4_4817
; %bb.4516:                             ;   in Loop: Header=BB4_4278 Depth=2
	s_or_saveexec_b32 s26, s26
	v_mov_b32_e32 v119, s25
	s_xor_b32 exec_lo, exec_lo, s26
	s_cbranch_execnz .LBB4_4820
.LBB4_4517:                             ;   in Loop: Header=BB4_4278 Depth=2
	s_or_b32 exec_lo, exec_lo, s26
	s_and_saveexec_b32 s25, s10
	s_cbranch_execz .LBB4_4519
.LBB4_4518:                             ;   in Loop: Header=BB4_4278 Depth=2
	v_bfe_u32 v119, v10, 16, 3
	v_lshlrev_b32_e32 v130, 8, v10
	s_delay_alu instid0(VALU_DEP_2) | instskip(NEXT) | instid1(VALU_DEP_1)
	v_clz_i32_u32_e32 v128, v119
	v_min_u32_e32 v128, 32, v128
	s_delay_alu instid0(VALU_DEP_1) | instskip(SKIP_1) | instid1(VALU_DEP_2)
	v_subrev_nc_u32_e32 v129, 28, v128
	v_sub_nc_u32_e32 v128, 29, v128
	v_lshlrev_b32_e32 v112, v129, v112
	v_bfe_u32 v129, v10, 19, 4
	s_delay_alu instid0(VALU_DEP_2) | instskip(NEXT) | instid1(VALU_DEP_2)
	v_and_b32_e32 v112, 7, v112
	v_cmp_eq_u32_e32 vcc_lo, 0, v129
	v_cndmask_b32_e32 v128, v129, v128, vcc_lo
	s_delay_alu instid0(VALU_DEP_3) | instskip(NEXT) | instid1(VALU_DEP_2)
	v_dual_cndmask_b32 v112, v119, v112 :: v_dual_and_b32 v119, 0x80000000, v130
	v_lshl_add_u32 v128, v128, 23, 0x3b800000
	s_delay_alu instid0(VALU_DEP_2) | instskip(NEXT) | instid1(VALU_DEP_1)
	v_lshlrev_b32_e32 v112, 20, v112
	v_or3_b32 v119, v119, v128, v112
.LBB4_4519:                             ;   in Loop: Header=BB4_4278 Depth=2
	s_or_b32 exec_lo, exec_lo, s25
	s_delay_alu instid0(VALU_DEP_1) | instskip(NEXT) | instid1(VALU_DEP_1)
	v_add_f32_e32 v118, v118, v119
	v_and_b32_e32 v112, 0x7f800000, v118
	s_delay_alu instid0(VALU_DEP_1)
	v_cmp_ne_u32_e32 vcc_lo, 0x7f800000, v112
	v_mov_b32_e32 v112, 0x80
	s_and_saveexec_b32 s25, vcc_lo
	s_cbranch_execz .LBB4_4527
; %bb.4520:                             ;   in Loop: Header=BB4_4278 Depth=2
	v_mov_b32_e32 v112, 0
	s_mov_b32 s26, exec_lo
	v_cmpx_ne_u32_e32 0, v118
	s_cbranch_execz .LBB4_4526
; %bb.4521:                             ;   in Loop: Header=BB4_4278 Depth=2
	v_bfe_u32 v112, v118, 23, 8
	s_delay_alu instid0(VALU_DEP_1) | instskip(SKIP_1) | instid1(VALU_DEP_2)
	v_sub_nc_u32_e32 v128, 0x78, v112
	v_cmp_gt_u32_e32 vcc_lo, 0x79, v112
	v_dual_cndmask_b32 v128, 0, v128 :: v_dual_and_b32 v119, 0x7fffff, v118
	s_delay_alu instid0(VALU_DEP_1) | instskip(SKIP_2) | instid1(VALU_DEP_4)
	v_or_b32_e32 v129, 0x800000, v119
	v_cmp_eq_u32_e32 vcc_lo, 0, v112
	v_add_nc_u32_e32 v112, 0xffffff89, v112
	v_cndmask_b32_e64 v128, v128, 0x77, vcc_lo
	s_delay_alu instid0(VALU_DEP_4) | instskip(NEXT) | instid1(VALU_DEP_3)
	v_cndmask_b32_e32 v119, v129, v119, vcc_lo
	v_cndmask_b32_e64 v112, v112, 0xffffff8a, vcc_lo
	s_delay_alu instid0(VALU_DEP_3) | instskip(NEXT) | instid1(VALU_DEP_3)
	v_lshl_add_u32 v129, 0x100000, v128, -1
	v_lshrrev_b32_e32 v130, v128, v119
	v_lshlrev_b32_e64 v132, v128, 0x80000
	s_delay_alu instid0(VALU_DEP_4) | instskip(NEXT) | instid1(VALU_DEP_4)
	v_add_nc_u32_e32 v128, v128, v112
	v_and_b32_e32 v119, v129, v119
	s_delay_alu instid0(VALU_DEP_4) | instskip(NEXT) | instid1(VALU_DEP_2)
	v_bfe_u32 v131, v130, 20, 1
	v_cmp_eq_u32_e64 s10, v119, v132
	s_delay_alu instid0(VALU_DEP_2) | instskip(NEXT) | instid1(VALU_DEP_1)
	v_add_nc_u32_e32 v129, -1, v131
	v_cndmask_b32_e64 v119, 0, v129, s10
	v_lshrrev_b32_e32 v129, 23, v130
	s_mov_b32 s10, exec_lo
	s_delay_alu instid0(VALU_DEP_2) | instskip(NEXT) | instid1(VALU_DEP_2)
	v_add_nc_u32_e32 v119, v119, v130
	v_xor_b32_e32 v129, 1, v129
	s_delay_alu instid0(VALU_DEP_2) | instskip(NEXT) | instid1(VALU_DEP_1)
	v_and_b32_e32 v112, 0xfffff, v119
	v_add_nc_u32_e32 v119, v112, v130
                                        ; implicit-def: $vgpr112
	s_delay_alu instid0(VALU_DEP_3)
	v_cmpx_ne_u32_e64 v128, v129
	s_xor_b32 s10, exec_lo, s10
; %bb.4522:                             ;   in Loop: Header=BB4_4278 Depth=2
	s_delay_alu instid0(VALU_DEP_2) | instskip(SKIP_2) | instid1(VALU_DEP_2)
	v_cmp_lt_u32_e32 vcc_lo, 0xffffff, v119
	v_sub_nc_u32_e32 v112, v128, v129
	v_cndmask_b32_e64 v128, 0, 1, vcc_lo
	v_add_co_ci_u32_e32 v112, vcc_lo, 0, v112, vcc_lo
	s_delay_alu instid0(VALU_DEP_2)
	v_lshrrev_b32_e32 v119, v128, v119
; %bb.4523:                             ;   in Loop: Header=BB4_4278 Depth=2
	s_and_not1_saveexec_b32 s10, s10
; %bb.4524:                             ;   in Loop: Header=BB4_4278 Depth=2
	s_delay_alu instid0(VALU_DEP_1)
	v_bfe_u32 v112, v119, 23, 1
; %bb.4525:                             ;   in Loop: Header=BB4_4278 Depth=2
	s_or_b32 exec_lo, exec_lo, s10
	v_lshrrev_b32_e32 v119, 20, v119
	s_delay_alu instid0(VALU_DEP_2) | instskip(SKIP_2) | instid1(VALU_DEP_2)
	v_cmp_gt_i32_e32 vcc_lo, 16, v112
	v_lshrrev_b32_e32 v118, 24, v118
	v_min_i32_e32 v128, 15, v112
	v_dual_cndmask_b32 v119, 7, v119 :: v_dual_and_b32 v118, 0x80, v118
	s_delay_alu instid0(VALU_DEP_2) | instskip(NEXT) | instid1(VALU_DEP_2)
	v_lshlrev_b32_e32 v128, 3, v128
	v_or_b32_e32 v112, v112, v119
	s_delay_alu instid0(VALU_DEP_1) | instskip(SKIP_1) | instid1(VALU_DEP_1)
	v_cmp_ne_u32_e32 vcc_lo, 0, v112
	v_and_b32_e32 v129, 7, v119
	v_or3_b32 v118, v128, v118, v129
	s_delay_alu instid0(VALU_DEP_1)
	v_cndmask_b32_e32 v112, 0, v118, vcc_lo
.LBB4_4526:                             ;   in Loop: Header=BB4_4278 Depth=2
	s_or_b32 exec_lo, exec_lo, s26
.LBB4_4527:                             ;   in Loop: Header=BB4_4278 Depth=2
	s_delay_alu instid0(SALU_CYCLE_1) | instskip(SKIP_3) | instid1(VALU_DEP_1)
	s_or_b32 exec_lo, exec_lo, s25
	v_and_b32_e32 v119, 0xff, v115
	s_mov_b32 s10, 0
	s_mov_b32 s26, exec_lo
                                        ; implicit-def: $sgpr25
	v_cmpx_lt_i16_e32 0x7f, v119
	s_xor_b32 s26, exec_lo, s26
	s_cbranch_execnz .LBB4_4821
; %bb.4528:                             ;   in Loop: Header=BB4_4278 Depth=2
	s_or_saveexec_b32 s26, s26
	v_mov_b32_e32 v118, s25
	s_xor_b32 exec_lo, exec_lo, s26
	s_cbranch_execnz .LBB4_4824
.LBB4_4529:                             ;   in Loop: Header=BB4_4278 Depth=2
	s_or_b32 exec_lo, exec_lo, s26
	s_and_saveexec_b32 s25, s10
	s_cbranch_execz .LBB4_4531
.LBB4_4530:                             ;   in Loop: Header=BB4_4278 Depth=2
	v_lshlrev_b32_e32 v115, 8, v115
	s_delay_alu instid0(VALU_DEP_1) | instskip(SKIP_1) | instid1(VALU_DEP_2)
	v_and_b32_e32 v118, 0xff00, v115
	v_bfe_u32 v115, v115, 11, 4
	v_bfe_u32 v128, v118, 8, 3
	s_delay_alu instid0(VALU_DEP_2) | instskip(NEXT) | instid1(VALU_DEP_2)
	v_cmp_eq_u32_e32 vcc_lo, 0, v115
	v_clz_i32_u32_e32 v129, v128
	s_delay_alu instid0(VALU_DEP_1) | instskip(NEXT) | instid1(VALU_DEP_1)
	v_min_u32_e32 v129, 32, v129
	v_subrev_nc_u32_e32 v130, 28, v129
	v_sub_nc_u32_e32 v129, 29, v129
	s_delay_alu instid0(VALU_DEP_2) | instskip(NEXT) | instid1(VALU_DEP_2)
	v_lshlrev_b32_e32 v119, v130, v119
	v_cndmask_b32_e32 v115, v115, v129, vcc_lo
	s_delay_alu instid0(VALU_DEP_2) | instskip(SKIP_1) | instid1(VALU_DEP_3)
	v_and_b32_e32 v119, 7, v119
	v_lshlrev_b32_e32 v118, 16, v118
	v_lshl_add_u32 v115, v115, 23, 0x3b800000
	s_delay_alu instid0(VALU_DEP_2) | instskip(NEXT) | instid1(VALU_DEP_1)
	v_dual_cndmask_b32 v119, v128, v119 :: v_dual_and_b32 v118, 0x80000000, v118
	v_lshlrev_b32_e32 v119, 20, v119
	s_delay_alu instid0(VALU_DEP_1)
	v_or3_b32 v118, v118, v115, v119
.LBB4_4531:                             ;   in Loop: Header=BB4_4278 Depth=2
	s_or_b32 exec_lo, exec_lo, s25
	v_lshrrev_b32_e32 v115, 24, v10
	s_mov_b32 s10, 0
	s_mov_b32 s26, exec_lo
                                        ; implicit-def: $sgpr25
	s_delay_alu instid0(VALU_DEP_1)
	v_cmpx_lt_i16_e32 0x7f, v115
	s_xor_b32 s26, exec_lo, s26
	s_cbranch_execnz .LBB4_4825
; %bb.4532:                             ;   in Loop: Header=BB4_4278 Depth=2
	s_or_saveexec_b32 s26, s26
	v_mov_b32_e32 v119, s25
	s_xor_b32 exec_lo, exec_lo, s26
	s_cbranch_execnz .LBB4_4828
.LBB4_4533:                             ;   in Loop: Header=BB4_4278 Depth=2
	s_or_b32 exec_lo, exec_lo, s26
	s_and_saveexec_b32 s25, s10
	s_cbranch_execz .LBB4_4535
.LBB4_4534:                             ;   in Loop: Header=BB4_4278 Depth=2
	v_bfe_u32 v119, v10, 24, 3
	s_delay_alu instid0(VALU_DEP_1) | instskip(NEXT) | instid1(VALU_DEP_1)
	v_clz_i32_u32_e32 v128, v119
	v_min_u32_e32 v128, 32, v128
	s_delay_alu instid0(VALU_DEP_1) | instskip(SKIP_1) | instid1(VALU_DEP_2)
	v_subrev_nc_u32_e32 v129, 28, v128
	v_sub_nc_u32_e32 v128, 29, v128
	v_lshlrev_b32_e32 v115, v129, v115
	v_bfe_u32 v129, v10, 27, 4
	v_and_b32_e32 v10, 0x80000000, v10
	s_delay_alu instid0(VALU_DEP_2) | instskip(NEXT) | instid1(VALU_DEP_4)
	v_cmp_eq_u32_e32 vcc_lo, 0, v129
	v_dual_cndmask_b32 v128, v129, v128 :: v_dual_and_b32 v115, 7, v115
	s_delay_alu instid0(VALU_DEP_1) | instskip(NEXT) | instid1(VALU_DEP_2)
	v_cndmask_b32_e32 v115, v119, v115, vcc_lo
	v_lshl_add_u32 v119, v128, 23, 0x3b800000
	s_delay_alu instid0(VALU_DEP_2) | instskip(NEXT) | instid1(VALU_DEP_1)
	v_lshlrev_b32_e32 v115, 20, v115
	v_or3_b32 v119, v10, v119, v115
.LBB4_4535:                             ;   in Loop: Header=BB4_4278 Depth=2
	s_or_b32 exec_lo, exec_lo, s25
	s_delay_alu instid0(VALU_DEP_1) | instskip(NEXT) | instid1(VALU_DEP_1)
	v_add_f32_e32 v115, v118, v119
	v_and_b32_e32 v10, 0x7f800000, v115
	s_delay_alu instid0(VALU_DEP_1)
	v_cmp_ne_u32_e32 vcc_lo, 0x7f800000, v10
	v_mov_b32_e32 v10, 0x80
	s_and_saveexec_b32 s25, vcc_lo
	s_cbranch_execz .LBB4_4543
; %bb.4536:                             ;   in Loop: Header=BB4_4278 Depth=2
	v_mov_b32_e32 v10, 0
	s_mov_b32 s26, exec_lo
	v_cmpx_ne_u32_e32 0, v115
	s_cbranch_execz .LBB4_4542
; %bb.4537:                             ;   in Loop: Header=BB4_4278 Depth=2
	v_bfe_u32 v10, v115, 23, 8
	v_and_b32_e32 v118, 0x7fffff, v115
	s_delay_alu instid0(VALU_DEP_2) | instskip(SKIP_1) | instid1(VALU_DEP_3)
	v_sub_nc_u32_e32 v119, 0x78, v10
	v_cmp_gt_u32_e32 vcc_lo, 0x79, v10
	v_or_b32_e32 v128, 0x800000, v118
	s_delay_alu instid0(VALU_DEP_3) | instskip(SKIP_2) | instid1(VALU_DEP_4)
	v_cndmask_b32_e32 v119, 0, v119, vcc_lo
	v_cmp_eq_u32_e32 vcc_lo, 0, v10
	v_add_nc_u32_e32 v10, 0xffffff89, v10
	v_cndmask_b32_e32 v118, v128, v118, vcc_lo
	s_delay_alu instid0(VALU_DEP_4) | instskip(NEXT) | instid1(VALU_DEP_3)
	v_cndmask_b32_e64 v119, v119, 0x77, vcc_lo
	v_cndmask_b32_e64 v10, v10, 0xffffff8a, vcc_lo
	s_delay_alu instid0(VALU_DEP_2) | instskip(SKIP_2) | instid1(VALU_DEP_4)
	v_lshrrev_b32_e32 v129, v119, v118
	v_lshl_add_u32 v128, 0x100000, v119, -1
	v_lshlrev_b32_e64 v131, v119, 0x80000
	v_add_nc_u32_e32 v119, v119, v10
	s_delay_alu instid0(VALU_DEP_4) | instskip(NEXT) | instid1(VALU_DEP_4)
	v_bfe_u32 v130, v129, 20, 1
	v_and_b32_e32 v118, v128, v118
	s_delay_alu instid0(VALU_DEP_2) | instskip(NEXT) | instid1(VALU_DEP_2)
	v_add_nc_u32_e32 v128, -1, v130
	v_cmp_eq_u32_e64 s10, v118, v131
	s_delay_alu instid0(VALU_DEP_1) | instskip(SKIP_2) | instid1(VALU_DEP_2)
	v_cndmask_b32_e64 v118, 0, v128, s10
	v_lshrrev_b32_e32 v128, 23, v129
	s_mov_b32 s10, exec_lo
	v_add_nc_u32_e32 v118, v118, v129
	s_delay_alu instid0(VALU_DEP_2) | instskip(NEXT) | instid1(VALU_DEP_2)
	v_xor_b32_e32 v128, 1, v128
	v_and_b32_e32 v10, 0xfffff, v118
	s_delay_alu instid0(VALU_DEP_1) | instskip(NEXT) | instid1(VALU_DEP_3)
	v_add_nc_u32_e32 v118, v10, v129
                                        ; implicit-def: $vgpr10
	v_cmpx_ne_u32_e64 v119, v128
	s_xor_b32 s10, exec_lo, s10
; %bb.4538:                             ;   in Loop: Header=BB4_4278 Depth=2
	s_delay_alu instid0(VALU_DEP_2) | instskip(SKIP_2) | instid1(VALU_DEP_2)
	v_cmp_lt_u32_e32 vcc_lo, 0xffffff, v118
	v_sub_nc_u32_e32 v10, v119, v128
	v_cndmask_b32_e64 v119, 0, 1, vcc_lo
	v_add_co_ci_u32_e32 v10, vcc_lo, 0, v10, vcc_lo
	s_delay_alu instid0(VALU_DEP_2)
	v_lshrrev_b32_e32 v118, v119, v118
; %bb.4539:                             ;   in Loop: Header=BB4_4278 Depth=2
	s_and_not1_saveexec_b32 s10, s10
; %bb.4540:                             ;   in Loop: Header=BB4_4278 Depth=2
	s_delay_alu instid0(VALU_DEP_1)
	v_bfe_u32 v10, v118, 23, 1
; %bb.4541:                             ;   in Loop: Header=BB4_4278 Depth=2
	s_or_b32 exec_lo, exec_lo, s10
	v_lshrrev_b32_e32 v118, 20, v118
	s_delay_alu instid0(VALU_DEP_2) | instskip(SKIP_2) | instid1(VALU_DEP_2)
	v_cmp_gt_i32_e32 vcc_lo, 16, v10
	v_lshrrev_b32_e32 v115, 24, v115
	v_min_i32_e32 v119, 15, v10
	v_dual_cndmask_b32 v118, 7, v118 :: v_dual_and_b32 v115, 0x80, v115
	s_delay_alu instid0(VALU_DEP_2) | instskip(NEXT) | instid1(VALU_DEP_2)
	v_lshlrev_b32_e32 v119, 3, v119
	v_and_b32_e32 v128, 7, v118
	v_or_b32_e32 v10, v10, v118
	s_delay_alu instid0(VALU_DEP_2) | instskip(NEXT) | instid1(VALU_DEP_2)
	v_or3_b32 v115, v119, v115, v128
	v_cmp_ne_u32_e32 vcc_lo, 0, v10
	s_delay_alu instid0(VALU_DEP_2)
	v_cndmask_b32_e32 v10, 0, v115, vcc_lo
.LBB4_4542:                             ;   in Loop: Header=BB4_4278 Depth=2
	s_or_b32 exec_lo, exec_lo, s26
.LBB4_4543:                             ;   in Loop: Header=BB4_4278 Depth=2
	s_delay_alu instid0(SALU_CYCLE_1) | instskip(SKIP_3) | instid1(VALU_DEP_1)
	s_or_b32 exec_lo, exec_lo, s25
	v_or_b32_e32 v117, v117, v114
	s_mov_b32 s10, 0
	s_mov_b32 s26, exec_lo
                                        ; implicit-def: $sgpr25
	v_and_b32_e32 v115, 0xff, v117
	s_delay_alu instid0(VALU_DEP_1)
	v_cmpx_lt_i16_e32 0x7f, v115
	s_xor_b32 s26, exec_lo, s26
	s_cbranch_execnz .LBB4_4829
; %bb.4544:                             ;   in Loop: Header=BB4_4278 Depth=2
	s_or_saveexec_b32 s26, s26
	v_mov_b32_e32 v114, s25
	s_xor_b32 exec_lo, exec_lo, s26
	s_cbranch_execnz .LBB4_4832
.LBB4_4545:                             ;   in Loop: Header=BB4_4278 Depth=2
	s_or_b32 exec_lo, exec_lo, s26
	s_and_saveexec_b32 s25, s10
	s_cbranch_execz .LBB4_4547
.LBB4_4546:                             ;   in Loop: Header=BB4_4278 Depth=2
	v_bfe_u32 v119, v117, 3, 4
	v_lshlrev_b32_e32 v128, 24, v117
	s_delay_alu instid0(VALU_DEP_2) | instskip(SKIP_1) | instid1(VALU_DEP_1)
	v_cmp_eq_u32_e32 vcc_lo, 0, v119
	v_and_b32_e32 v114, 7, v117
	v_clz_i32_u32_e32 v115, v114
	s_delay_alu instid0(VALU_DEP_1) | instskip(NEXT) | instid1(VALU_DEP_1)
	v_min_u32_e32 v115, 32, v115
	v_subrev_nc_u32_e32 v118, 28, v115
	v_sub_nc_u32_e32 v115, 29, v115
	s_delay_alu instid0(VALU_DEP_1) | instskip(NEXT) | instid1(VALU_DEP_1)
	v_dual_cndmask_b32 v115, v119, v115 :: v_dual_lshlrev_b32 v118, v118, v117
	v_and_b32_e32 v118, 7, v118
	s_delay_alu instid0(VALU_DEP_2) | instskip(NEXT) | instid1(VALU_DEP_2)
	v_lshl_add_u32 v115, v115, 23, 0x3b800000
	v_cndmask_b32_e32 v114, v114, v118, vcc_lo
	v_and_b32_e32 v118, 0x80000000, v128
	s_delay_alu instid0(VALU_DEP_2) | instskip(NEXT) | instid1(VALU_DEP_1)
	v_lshlrev_b32_e32 v114, 20, v114
	v_or3_b32 v114, v118, v115, v114
.LBB4_4547:                             ;   in Loop: Header=BB4_4278 Depth=2
	s_or_b32 exec_lo, exec_lo, s25
	v_and_b32_e32 v118, 0xff, v11
	s_mov_b32 s10, 0
	s_mov_b32 s26, exec_lo
                                        ; implicit-def: $sgpr25
	s_delay_alu instid0(VALU_DEP_1)
	v_cmpx_lt_i16_e32 0x7f, v118
	s_xor_b32 s26, exec_lo, s26
	s_cbranch_execnz .LBB4_4833
; %bb.4548:                             ;   in Loop: Header=BB4_4278 Depth=2
	s_or_saveexec_b32 s26, s26
	v_mov_b32_e32 v115, s25
	s_xor_b32 exec_lo, exec_lo, s26
	s_cbranch_execnz .LBB4_4836
.LBB4_4549:                             ;   in Loop: Header=BB4_4278 Depth=2
	s_or_b32 exec_lo, exec_lo, s26
	s_and_saveexec_b32 s25, s10
	s_cbranch_execz .LBB4_4551
.LBB4_4550:                             ;   in Loop: Header=BB4_4278 Depth=2
	v_bfe_u32 v128, v11, 3, 4
	v_lshlrev_b32_e32 v129, 24, v11
	s_delay_alu instid0(VALU_DEP_2) | instskip(SKIP_1) | instid1(VALU_DEP_1)
	v_cmp_eq_u32_e32 vcc_lo, 0, v128
	v_and_b32_e32 v115, 7, v11
	v_clz_i32_u32_e32 v118, v115
	s_delay_alu instid0(VALU_DEP_1) | instskip(NEXT) | instid1(VALU_DEP_1)
	v_min_u32_e32 v118, 32, v118
	v_subrev_nc_u32_e32 v119, 28, v118
	v_sub_nc_u32_e32 v118, 29, v118
	s_delay_alu instid0(VALU_DEP_1) | instskip(NEXT) | instid1(VALU_DEP_1)
	v_dual_cndmask_b32 v118, v128, v118 :: v_dual_lshlrev_b32 v119, v119, v11
	v_and_b32_e32 v119, 7, v119
	s_delay_alu instid0(VALU_DEP_2) | instskip(NEXT) | instid1(VALU_DEP_2)
	v_lshl_add_u32 v118, v118, 23, 0x3b800000
	v_cndmask_b32_e32 v115, v115, v119, vcc_lo
	v_and_b32_e32 v119, 0x80000000, v129
	s_delay_alu instid0(VALU_DEP_2) | instskip(NEXT) | instid1(VALU_DEP_1)
	v_lshlrev_b32_e32 v115, 20, v115
	v_or3_b32 v115, v119, v118, v115
.LBB4_4551:                             ;   in Loop: Header=BB4_4278 Depth=2
	s_or_b32 exec_lo, exec_lo, s25
	s_delay_alu instid0(VALU_DEP_1) | instskip(NEXT) | instid1(VALU_DEP_1)
	v_add_f32_e32 v115, v114, v115
	v_and_b32_e32 v114, 0x7f800000, v115
	s_delay_alu instid0(VALU_DEP_1)
	v_cmp_ne_u32_e32 vcc_lo, 0x7f800000, v114
	v_mov_b32_e32 v114, 0x80
	s_and_saveexec_b32 s25, vcc_lo
	s_cbranch_execz .LBB4_4559
; %bb.4552:                             ;   in Loop: Header=BB4_4278 Depth=2
	v_mov_b32_e32 v114, 0
	s_mov_b32 s26, exec_lo
	v_cmpx_ne_u32_e32 0, v115
	s_cbranch_execz .LBB4_4558
; %bb.4553:                             ;   in Loop: Header=BB4_4278 Depth=2
	v_bfe_u32 v114, v115, 23, 8
	v_and_b32_e32 v118, 0x7fffff, v115
	s_delay_alu instid0(VALU_DEP_2) | instskip(SKIP_1) | instid1(VALU_DEP_3)
	v_sub_nc_u32_e32 v119, 0x78, v114
	v_cmp_gt_u32_e32 vcc_lo, 0x79, v114
	v_or_b32_e32 v128, 0x800000, v118
	s_delay_alu instid0(VALU_DEP_3) | instskip(SKIP_2) | instid1(VALU_DEP_4)
	v_cndmask_b32_e32 v119, 0, v119, vcc_lo
	v_cmp_eq_u32_e32 vcc_lo, 0, v114
	v_add_nc_u32_e32 v114, 0xffffff89, v114
	v_cndmask_b32_e32 v118, v128, v118, vcc_lo
	s_delay_alu instid0(VALU_DEP_4) | instskip(NEXT) | instid1(VALU_DEP_3)
	v_cndmask_b32_e64 v119, v119, 0x77, vcc_lo
	v_cndmask_b32_e64 v114, v114, 0xffffff8a, vcc_lo
	s_delay_alu instid0(VALU_DEP_2) | instskip(SKIP_2) | instid1(VALU_DEP_4)
	v_lshrrev_b32_e32 v129, v119, v118
	v_lshl_add_u32 v128, 0x100000, v119, -1
	v_lshlrev_b32_e64 v131, v119, 0x80000
	v_add_nc_u32_e32 v119, v119, v114
	s_delay_alu instid0(VALU_DEP_4) | instskip(NEXT) | instid1(VALU_DEP_4)
	v_bfe_u32 v130, v129, 20, 1
	v_and_b32_e32 v118, v128, v118
	s_delay_alu instid0(VALU_DEP_2) | instskip(NEXT) | instid1(VALU_DEP_2)
	v_add_nc_u32_e32 v128, -1, v130
	v_cmp_eq_u32_e64 s10, v118, v131
	s_delay_alu instid0(VALU_DEP_1) | instskip(SKIP_2) | instid1(VALU_DEP_2)
	v_cndmask_b32_e64 v118, 0, v128, s10
	v_lshrrev_b32_e32 v128, 23, v129
	s_mov_b32 s10, exec_lo
	v_add_nc_u32_e32 v118, v118, v129
	s_delay_alu instid0(VALU_DEP_2) | instskip(NEXT) | instid1(VALU_DEP_2)
	v_xor_b32_e32 v128, 1, v128
	v_and_b32_e32 v114, 0xfffff, v118
	s_delay_alu instid0(VALU_DEP_1) | instskip(NEXT) | instid1(VALU_DEP_3)
	v_add_nc_u32_e32 v118, v114, v129
                                        ; implicit-def: $vgpr114
	v_cmpx_ne_u32_e64 v119, v128
	s_xor_b32 s10, exec_lo, s10
; %bb.4554:                             ;   in Loop: Header=BB4_4278 Depth=2
	s_delay_alu instid0(VALU_DEP_2) | instskip(SKIP_2) | instid1(VALU_DEP_2)
	v_cmp_lt_u32_e32 vcc_lo, 0xffffff, v118
	v_sub_nc_u32_e32 v114, v119, v128
	v_cndmask_b32_e64 v119, 0, 1, vcc_lo
	v_add_co_ci_u32_e32 v114, vcc_lo, 0, v114, vcc_lo
	s_delay_alu instid0(VALU_DEP_2)
	v_lshrrev_b32_e32 v118, v119, v118
; %bb.4555:                             ;   in Loop: Header=BB4_4278 Depth=2
	s_and_not1_saveexec_b32 s10, s10
; %bb.4556:                             ;   in Loop: Header=BB4_4278 Depth=2
	s_delay_alu instid0(VALU_DEP_1)
	v_bfe_u32 v114, v118, 23, 1
; %bb.4557:                             ;   in Loop: Header=BB4_4278 Depth=2
	s_or_b32 exec_lo, exec_lo, s10
	v_lshrrev_b32_e32 v118, 20, v118
	s_delay_alu instid0(VALU_DEP_2) | instskip(SKIP_2) | instid1(VALU_DEP_2)
	v_cmp_gt_i32_e32 vcc_lo, 16, v114
	v_lshrrev_b32_e32 v115, 24, v115
	v_min_i32_e32 v119, 15, v114
	v_dual_cndmask_b32 v118, 7, v118 :: v_dual_and_b32 v115, 0x80, v115
	s_delay_alu instid0(VALU_DEP_2) | instskip(NEXT) | instid1(VALU_DEP_2)
	v_lshlrev_b32_e32 v119, 3, v119
	v_and_b32_e32 v128, 7, v118
	v_or_b32_e32 v114, v114, v118
	s_delay_alu instid0(VALU_DEP_2) | instskip(NEXT) | instid1(VALU_DEP_2)
	v_or3_b32 v115, v119, v115, v128
	v_cmp_ne_u32_e32 vcc_lo, 0, v114
	s_delay_alu instid0(VALU_DEP_2)
	v_cndmask_b32_e32 v114, 0, v115, vcc_lo
.LBB4_4558:                             ;   in Loop: Header=BB4_4278 Depth=2
	s_or_b32 exec_lo, exec_lo, s26
.LBB4_4559:                             ;   in Loop: Header=BB4_4278 Depth=2
	s_delay_alu instid0(SALU_CYCLE_1) | instskip(SKIP_3) | instid1(VALU_DEP_1)
	s_or_b32 exec_lo, exec_lo, s25
	v_lshrrev_b16 v118, 8, v117
	s_mov_b32 s10, 0
	s_mov_b32 s26, exec_lo
                                        ; implicit-def: $sgpr25
	v_cmpx_lt_i16_e32 0x7f, v118
	s_xor_b32 s26, exec_lo, s26
	s_cbranch_execnz .LBB4_4837
; %bb.4560:                             ;   in Loop: Header=BB4_4278 Depth=2
	s_or_saveexec_b32 s26, s26
	v_mov_b32_e32 v115, s25
	s_xor_b32 exec_lo, exec_lo, s26
	s_cbranch_execnz .LBB4_4840
.LBB4_4561:                             ;   in Loop: Header=BB4_4278 Depth=2
	s_or_b32 exec_lo, exec_lo, s26
	s_and_saveexec_b32 s25, s10
	s_cbranch_execz .LBB4_4563
.LBB4_4562:                             ;   in Loop: Header=BB4_4278 Depth=2
	v_and_b32_e32 v115, 0xffff, v118
	s_delay_alu instid0(VALU_DEP_1) | instskip(NEXT) | instid1(VALU_DEP_1)
	v_and_b32_e32 v119, 7, v115
	v_clz_i32_u32_e32 v128, v119
	s_delay_alu instid0(VALU_DEP_1) | instskip(NEXT) | instid1(VALU_DEP_1)
	v_min_u32_e32 v128, 32, v128
	v_subrev_nc_u32_e32 v129, 28, v128
	v_sub_nc_u32_e32 v128, 29, v128
	s_delay_alu instid0(VALU_DEP_2) | instskip(SKIP_1) | instid1(VALU_DEP_2)
	v_lshlrev_b32_e32 v129, v129, v115
	v_bfe_u32 v115, v115, 3, 4
	v_and_b32_e32 v129, 7, v129
	s_delay_alu instid0(VALU_DEP_2) | instskip(SKIP_1) | instid1(VALU_DEP_1)
	v_cmp_eq_u32_e32 vcc_lo, 0, v115
	v_dual_cndmask_b32 v115, v115, v128 :: v_dual_lshlrev_b32 v118, 24, v118
	v_dual_cndmask_b32 v119, v119, v129 :: v_dual_and_b32 v118, 0x80000000, v118
	s_delay_alu instid0(VALU_DEP_2) | instskip(NEXT) | instid1(VALU_DEP_2)
	v_lshl_add_u32 v115, v115, 23, 0x3b800000
	v_lshlrev_b32_e32 v119, 20, v119
	s_delay_alu instid0(VALU_DEP_1)
	v_or3_b32 v115, v118, v115, v119
.LBB4_4563:                             ;   in Loop: Header=BB4_4278 Depth=2
	s_or_b32 exec_lo, exec_lo, s25
	v_lshrrev_b16 v118, 8, v11
	s_mov_b32 s10, 0
	s_mov_b32 s26, exec_lo
                                        ; implicit-def: $sgpr25
	s_delay_alu instid0(VALU_DEP_1)
	v_cmpx_lt_i16_e32 0x7f, v118
	s_xor_b32 s26, exec_lo, s26
	s_cbranch_execnz .LBB4_4841
; %bb.4564:                             ;   in Loop: Header=BB4_4278 Depth=2
	s_or_saveexec_b32 s26, s26
	v_mov_b32_e32 v119, s25
	s_xor_b32 exec_lo, exec_lo, s26
	s_cbranch_execnz .LBB4_4844
.LBB4_4565:                             ;   in Loop: Header=BB4_4278 Depth=2
	s_or_b32 exec_lo, exec_lo, s26
	s_and_saveexec_b32 s25, s10
	s_cbranch_execz .LBB4_4567
.LBB4_4566:                             ;   in Loop: Header=BB4_4278 Depth=2
	v_and_b32_e32 v119, 0xffff, v118
	v_lshlrev_b32_e32 v118, 24, v118
	s_delay_alu instid0(VALU_DEP_2) | instskip(NEXT) | instid1(VALU_DEP_2)
	v_and_b32_e32 v128, 7, v119
	v_and_b32_e32 v118, 0x80000000, v118
	s_delay_alu instid0(VALU_DEP_2) | instskip(NEXT) | instid1(VALU_DEP_1)
	v_clz_i32_u32_e32 v129, v128
	v_min_u32_e32 v129, 32, v129
	s_delay_alu instid0(VALU_DEP_1) | instskip(SKIP_1) | instid1(VALU_DEP_2)
	v_subrev_nc_u32_e32 v130, 28, v129
	v_sub_nc_u32_e32 v129, 29, v129
	v_lshlrev_b32_e32 v130, v130, v119
	v_bfe_u32 v119, v119, 3, 4
	s_delay_alu instid0(VALU_DEP_2) | instskip(NEXT) | instid1(VALU_DEP_2)
	v_and_b32_e32 v130, 7, v130
	v_cmp_eq_u32_e32 vcc_lo, 0, v119
	s_delay_alu instid0(VALU_DEP_2) | instskip(NEXT) | instid1(VALU_DEP_1)
	v_dual_cndmask_b32 v119, v119, v129 :: v_dual_cndmask_b32 v128, v128, v130
	v_lshl_add_u32 v119, v119, 23, 0x3b800000
	s_delay_alu instid0(VALU_DEP_2) | instskip(NEXT) | instid1(VALU_DEP_1)
	v_lshlrev_b32_e32 v128, 20, v128
	v_or3_b32 v119, v118, v119, v128
.LBB4_4567:                             ;   in Loop: Header=BB4_4278 Depth=2
	s_or_b32 exec_lo, exec_lo, s25
	s_delay_alu instid0(VALU_DEP_1) | instskip(NEXT) | instid1(VALU_DEP_1)
	v_add_f32_e32 v118, v115, v119
	v_and_b32_e32 v115, 0x7f800000, v118
	s_delay_alu instid0(VALU_DEP_1)
	v_cmp_ne_u32_e32 vcc_lo, 0x7f800000, v115
	v_mov_b32_e32 v115, 0x8000
	s_and_saveexec_b32 s25, vcc_lo
	s_cbranch_execz .LBB4_4575
; %bb.4568:                             ;   in Loop: Header=BB4_4278 Depth=2
	v_mov_b32_e32 v115, 0
	s_mov_b32 s26, exec_lo
	v_cmpx_ne_u32_e32 0, v118
	s_cbranch_execz .LBB4_4574
; %bb.4569:                             ;   in Loop: Header=BB4_4278 Depth=2
	v_bfe_u32 v115, v118, 23, 8
	s_delay_alu instid0(VALU_DEP_1) | instskip(SKIP_1) | instid1(VALU_DEP_2)
	v_sub_nc_u32_e32 v128, 0x78, v115
	v_cmp_gt_u32_e32 vcc_lo, 0x79, v115
	v_dual_cndmask_b32 v128, 0, v128 :: v_dual_and_b32 v119, 0x7fffff, v118
	s_delay_alu instid0(VALU_DEP_1) | instskip(SKIP_2) | instid1(VALU_DEP_4)
	v_or_b32_e32 v129, 0x800000, v119
	v_cmp_eq_u32_e32 vcc_lo, 0, v115
	v_add_nc_u32_e32 v115, 0xffffff89, v115
	v_cndmask_b32_e64 v128, v128, 0x77, vcc_lo
	s_delay_alu instid0(VALU_DEP_4) | instskip(NEXT) | instid1(VALU_DEP_3)
	v_cndmask_b32_e32 v119, v129, v119, vcc_lo
	v_cndmask_b32_e64 v115, v115, 0xffffff8a, vcc_lo
	s_delay_alu instid0(VALU_DEP_3) | instskip(NEXT) | instid1(VALU_DEP_3)
	v_lshl_add_u32 v129, 0x100000, v128, -1
	v_lshrrev_b32_e32 v130, v128, v119
	v_lshlrev_b32_e64 v132, v128, 0x80000
	s_delay_alu instid0(VALU_DEP_4) | instskip(NEXT) | instid1(VALU_DEP_4)
	v_add_nc_u32_e32 v128, v128, v115
	v_and_b32_e32 v119, v129, v119
	s_delay_alu instid0(VALU_DEP_4) | instskip(NEXT) | instid1(VALU_DEP_2)
	v_bfe_u32 v131, v130, 20, 1
	v_cmp_eq_u32_e64 s10, v119, v132
	s_delay_alu instid0(VALU_DEP_2) | instskip(NEXT) | instid1(VALU_DEP_1)
	v_add_nc_u32_e32 v129, -1, v131
	v_cndmask_b32_e64 v119, 0, v129, s10
	v_lshrrev_b32_e32 v129, 23, v130
	s_mov_b32 s10, exec_lo
	s_delay_alu instid0(VALU_DEP_2) | instskip(NEXT) | instid1(VALU_DEP_2)
	v_add_nc_u32_e32 v119, v119, v130
	v_xor_b32_e32 v129, 1, v129
	s_delay_alu instid0(VALU_DEP_2) | instskip(NEXT) | instid1(VALU_DEP_1)
	v_and_b32_e32 v115, 0xfffff, v119
	v_add_nc_u32_e32 v119, v115, v130
                                        ; implicit-def: $vgpr115
	s_delay_alu instid0(VALU_DEP_3)
	v_cmpx_ne_u32_e64 v128, v129
	s_xor_b32 s10, exec_lo, s10
; %bb.4570:                             ;   in Loop: Header=BB4_4278 Depth=2
	s_delay_alu instid0(VALU_DEP_2) | instskip(SKIP_2) | instid1(VALU_DEP_2)
	v_cmp_lt_u32_e32 vcc_lo, 0xffffff, v119
	v_sub_nc_u32_e32 v115, v128, v129
	v_cndmask_b32_e64 v128, 0, 1, vcc_lo
	v_add_co_ci_u32_e32 v115, vcc_lo, 0, v115, vcc_lo
	s_delay_alu instid0(VALU_DEP_2)
	v_lshrrev_b32_e32 v119, v128, v119
; %bb.4571:                             ;   in Loop: Header=BB4_4278 Depth=2
	s_and_not1_saveexec_b32 s10, s10
; %bb.4572:                             ;   in Loop: Header=BB4_4278 Depth=2
	s_delay_alu instid0(VALU_DEP_1)
	v_bfe_u32 v115, v119, 23, 1
; %bb.4573:                             ;   in Loop: Header=BB4_4278 Depth=2
	s_or_b32 exec_lo, exec_lo, s10
	v_lshrrev_b32_e32 v119, 20, v119
	s_delay_alu instid0(VALU_DEP_2) | instskip(SKIP_2) | instid1(VALU_DEP_2)
	v_cmp_gt_i32_e32 vcc_lo, 16, v115
	v_min_i32_e32 v128, 15, v115
	v_lshrrev_b32_e32 v118, 24, v118
	v_dual_cndmask_b32 v119, 7, v119 :: v_dual_lshlrev_b32 v128, 3, v128
	s_delay_alu instid0(VALU_DEP_2) | instskip(NEXT) | instid1(VALU_DEP_2)
	v_and_b32_e32 v118, 0x80, v118
	v_or_b32_e32 v115, v115, v119
	v_and_b32_e32 v129, 7, v119
	s_delay_alu instid0(VALU_DEP_2) | instskip(SKIP_1) | instid1(VALU_DEP_1)
	v_cmp_ne_u32_e32 vcc_lo, 0, v115
	v_and_b32_e32 v128, 0xf8, v128
	v_or3_b32 v118, v118, v128, v129
	s_delay_alu instid0(VALU_DEP_1) | instskip(NEXT) | instid1(VALU_DEP_1)
	v_lshlrev_b32_e32 v118, 8, v118
	v_cndmask_b32_e32 v115, 0, v118, vcc_lo
.LBB4_4574:                             ;   in Loop: Header=BB4_4278 Depth=2
	s_or_b32 exec_lo, exec_lo, s26
.LBB4_4575:                             ;   in Loop: Header=BB4_4278 Depth=2
	s_delay_alu instid0(SALU_CYCLE_1) | instskip(SKIP_3) | instid1(VALU_DEP_1)
	s_or_b32 exec_lo, exec_lo, s25
	v_or_b32_e32 v116, v116, v113
	s_mov_b32 s10, 0
	s_mov_b32 s26, exec_lo
                                        ; implicit-def: $sgpr25
	v_and_b32_e32 v118, 0xff, v116
	s_delay_alu instid0(VALU_DEP_1)
	v_cmpx_lt_i16_e32 0x7f, v118
	s_xor_b32 s26, exec_lo, s26
	s_cbranch_execnz .LBB4_4845
; %bb.4576:                             ;   in Loop: Header=BB4_4278 Depth=2
	s_or_saveexec_b32 s26, s26
	v_mov_b32_e32 v113, s25
	s_xor_b32 exec_lo, exec_lo, s26
	s_cbranch_execnz .LBB4_4848
.LBB4_4577:                             ;   in Loop: Header=BB4_4278 Depth=2
	s_or_b32 exec_lo, exec_lo, s26
	v_lshl_or_b32 v116, v116, 16, v117
	s_and_saveexec_b32 s25, s10
	s_cbranch_execz .LBB4_4579
.LBB4_4578:                             ;   in Loop: Header=BB4_4278 Depth=2
	s_delay_alu instid0(VALU_DEP_1) | instskip(SKIP_1) | instid1(VALU_DEP_2)
	v_bfe_u32 v113, v116, 16, 3
	v_lshrrev_b32_e32 v118, 16, v116
	v_clz_i32_u32_e32 v117, v113
	s_delay_alu instid0(VALU_DEP_1) | instskip(NEXT) | instid1(VALU_DEP_1)
	v_min_u32_e32 v117, 32, v117
	v_subrev_nc_u32_e32 v119, 28, v117
	v_sub_nc_u32_e32 v117, 29, v117
	s_delay_alu instid0(VALU_DEP_2) | instskip(SKIP_1) | instid1(VALU_DEP_1)
	v_lshlrev_b32_e32 v118, v119, v118
	v_bfe_u32 v119, v116, 19, 4
	v_cmp_eq_u32_e32 vcc_lo, 0, v119
	s_delay_alu instid0(VALU_DEP_3) | instskip(NEXT) | instid1(VALU_DEP_1)
	v_dual_cndmask_b32 v117, v119, v117 :: v_dual_and_b32 v118, 7, v118
	v_dual_cndmask_b32 v113, v113, v118 :: v_dual_lshlrev_b32 v128, 8, v116
	s_delay_alu instid0(VALU_DEP_2) | instskip(NEXT) | instid1(VALU_DEP_2)
	v_lshl_add_u32 v117, v117, 23, 0x3b800000
	v_and_b32_e32 v118, 0x80000000, v128
	s_delay_alu instid0(VALU_DEP_3) | instskip(NEXT) | instid1(VALU_DEP_1)
	v_lshlrev_b32_e32 v113, 20, v113
	v_or3_b32 v113, v118, v117, v113
.LBB4_4579:                             ;   in Loop: Header=BB4_4278 Depth=2
	s_or_b32 exec_lo, exec_lo, s25
	v_lshrrev_b32_e32 v117, 16, v11
	s_mov_b32 s10, 0
	s_mov_b32 s26, exec_lo
                                        ; implicit-def: $sgpr25
	s_delay_alu instid0(VALU_DEP_1) | instskip(NEXT) | instid1(VALU_DEP_1)
	v_and_b32_e32 v119, 0xff, v117
	v_cmpx_lt_i16_e32 0x7f, v119
	s_xor_b32 s26, exec_lo, s26
	s_cbranch_execnz .LBB4_4849
; %bb.4580:                             ;   in Loop: Header=BB4_4278 Depth=2
	s_or_saveexec_b32 s26, s26
	v_mov_b32_e32 v118, s25
	s_xor_b32 exec_lo, exec_lo, s26
	s_cbranch_execnz .LBB4_4852
.LBB4_4581:                             ;   in Loop: Header=BB4_4278 Depth=2
	s_or_b32 exec_lo, exec_lo, s26
	s_and_saveexec_b32 s25, s10
	s_cbranch_execz .LBB4_4583
.LBB4_4582:                             ;   in Loop: Header=BB4_4278 Depth=2
	v_bfe_u32 v118, v11, 16, 3
	v_lshlrev_b32_e32 v129, 8, v11
	s_delay_alu instid0(VALU_DEP_2) | instskip(NEXT) | instid1(VALU_DEP_1)
	v_clz_i32_u32_e32 v119, v118
	v_min_u32_e32 v119, 32, v119
	s_delay_alu instid0(VALU_DEP_1) | instskip(SKIP_1) | instid1(VALU_DEP_2)
	v_subrev_nc_u32_e32 v128, 28, v119
	v_sub_nc_u32_e32 v119, 29, v119
	v_lshlrev_b32_e32 v117, v128, v117
	v_bfe_u32 v128, v11, 19, 4
	s_delay_alu instid0(VALU_DEP_2) | instskip(NEXT) | instid1(VALU_DEP_2)
	v_and_b32_e32 v117, 7, v117
	v_cmp_eq_u32_e32 vcc_lo, 0, v128
	v_cndmask_b32_e32 v119, v128, v119, vcc_lo
	s_delay_alu instid0(VALU_DEP_3) | instskip(SKIP_1) | instid1(VALU_DEP_3)
	v_cndmask_b32_e32 v117, v118, v117, vcc_lo
	v_and_b32_e32 v118, 0x80000000, v129
	v_lshl_add_u32 v119, v119, 23, 0x3b800000
	s_delay_alu instid0(VALU_DEP_3) | instskip(NEXT) | instid1(VALU_DEP_1)
	v_lshlrev_b32_e32 v117, 20, v117
	v_or3_b32 v118, v118, v119, v117
.LBB4_4583:                             ;   in Loop: Header=BB4_4278 Depth=2
	s_or_b32 exec_lo, exec_lo, s25
	s_delay_alu instid0(VALU_DEP_1) | instskip(NEXT) | instid1(VALU_DEP_1)
	v_add_f32_e32 v117, v113, v118
	v_and_b32_e32 v113, 0x7f800000, v117
	s_delay_alu instid0(VALU_DEP_1)
	v_cmp_ne_u32_e32 vcc_lo, 0x7f800000, v113
	v_mov_b32_e32 v113, 0x80
	s_and_saveexec_b32 s25, vcc_lo
	s_cbranch_execz .LBB4_4591
; %bb.4584:                             ;   in Loop: Header=BB4_4278 Depth=2
	v_mov_b32_e32 v113, 0
	s_mov_b32 s26, exec_lo
	v_cmpx_ne_u32_e32 0, v117
	s_cbranch_execz .LBB4_4590
; %bb.4585:                             ;   in Loop: Header=BB4_4278 Depth=2
	v_bfe_u32 v113, v117, 23, 8
	s_delay_alu instid0(VALU_DEP_1) | instskip(SKIP_1) | instid1(VALU_DEP_2)
	v_sub_nc_u32_e32 v119, 0x78, v113
	v_cmp_gt_u32_e32 vcc_lo, 0x79, v113
	v_dual_cndmask_b32 v119, 0, v119 :: v_dual_and_b32 v118, 0x7fffff, v117
	s_delay_alu instid0(VALU_DEP_1) | instskip(SKIP_2) | instid1(VALU_DEP_4)
	v_or_b32_e32 v128, 0x800000, v118
	v_cmp_eq_u32_e32 vcc_lo, 0, v113
	v_add_nc_u32_e32 v113, 0xffffff89, v113
	v_cndmask_b32_e64 v119, v119, 0x77, vcc_lo
	s_delay_alu instid0(VALU_DEP_4) | instskip(NEXT) | instid1(VALU_DEP_3)
	v_cndmask_b32_e32 v118, v128, v118, vcc_lo
	v_cndmask_b32_e64 v113, v113, 0xffffff8a, vcc_lo
	s_delay_alu instid0(VALU_DEP_3) | instskip(NEXT) | instid1(VALU_DEP_3)
	v_lshl_add_u32 v128, 0x100000, v119, -1
	v_lshrrev_b32_e32 v129, v119, v118
	v_lshlrev_b32_e64 v131, v119, 0x80000
	s_delay_alu instid0(VALU_DEP_4) | instskip(NEXT) | instid1(VALU_DEP_4)
	v_add_nc_u32_e32 v119, v119, v113
	v_and_b32_e32 v118, v128, v118
	s_delay_alu instid0(VALU_DEP_4) | instskip(NEXT) | instid1(VALU_DEP_2)
	v_bfe_u32 v130, v129, 20, 1
	v_cmp_eq_u32_e64 s10, v118, v131
	s_delay_alu instid0(VALU_DEP_2) | instskip(NEXT) | instid1(VALU_DEP_1)
	v_add_nc_u32_e32 v128, -1, v130
	v_cndmask_b32_e64 v118, 0, v128, s10
	v_lshrrev_b32_e32 v128, 23, v129
	s_mov_b32 s10, exec_lo
	s_delay_alu instid0(VALU_DEP_2) | instskip(NEXT) | instid1(VALU_DEP_2)
	v_add_nc_u32_e32 v118, v118, v129
	v_xor_b32_e32 v128, 1, v128
	s_delay_alu instid0(VALU_DEP_2) | instskip(NEXT) | instid1(VALU_DEP_1)
	v_and_b32_e32 v113, 0xfffff, v118
	v_add_nc_u32_e32 v118, v113, v129
                                        ; implicit-def: $vgpr113
	s_delay_alu instid0(VALU_DEP_3)
	v_cmpx_ne_u32_e64 v119, v128
	s_xor_b32 s10, exec_lo, s10
; %bb.4586:                             ;   in Loop: Header=BB4_4278 Depth=2
	s_delay_alu instid0(VALU_DEP_2) | instskip(SKIP_2) | instid1(VALU_DEP_2)
	v_cmp_lt_u32_e32 vcc_lo, 0xffffff, v118
	v_sub_nc_u32_e32 v113, v119, v128
	v_cndmask_b32_e64 v119, 0, 1, vcc_lo
	v_add_co_ci_u32_e32 v113, vcc_lo, 0, v113, vcc_lo
	s_delay_alu instid0(VALU_DEP_2)
	v_lshrrev_b32_e32 v118, v119, v118
; %bb.4587:                             ;   in Loop: Header=BB4_4278 Depth=2
	s_and_not1_saveexec_b32 s10, s10
; %bb.4588:                             ;   in Loop: Header=BB4_4278 Depth=2
	s_delay_alu instid0(VALU_DEP_1)
	v_bfe_u32 v113, v118, 23, 1
; %bb.4589:                             ;   in Loop: Header=BB4_4278 Depth=2
	s_or_b32 exec_lo, exec_lo, s10
	v_lshrrev_b32_e32 v118, 20, v118
	s_delay_alu instid0(VALU_DEP_2) | instskip(SKIP_2) | instid1(VALU_DEP_2)
	v_cmp_gt_i32_e32 vcc_lo, 16, v113
	v_min_i32_e32 v119, 15, v113
	v_lshrrev_b32_e32 v117, 24, v117
	v_dual_cndmask_b32 v118, 7, v118 :: v_dual_lshlrev_b32 v119, 3, v119
	s_delay_alu instid0(VALU_DEP_2) | instskip(NEXT) | instid1(VALU_DEP_2)
	v_and_b32_e32 v117, 0x80, v117
	v_or_b32_e32 v113, v113, v118
	s_delay_alu instid0(VALU_DEP_3) | instskip(NEXT) | instid1(VALU_DEP_2)
	v_and_b32_e32 v119, 0xf8, v119
	v_cmp_ne_u32_e32 vcc_lo, 0, v113
	v_and_b32_e32 v128, 7, v118
	s_delay_alu instid0(VALU_DEP_1) | instskip(NEXT) | instid1(VALU_DEP_1)
	v_or3_b32 v117, v119, v117, v128
	v_cndmask_b32_e32 v113, 0, v117, vcc_lo
.LBB4_4590:                             ;   in Loop: Header=BB4_4278 Depth=2
	s_or_b32 exec_lo, exec_lo, s26
.LBB4_4591:                             ;   in Loop: Header=BB4_4278 Depth=2
	s_delay_alu instid0(SALU_CYCLE_1) | instskip(SKIP_3) | instid1(VALU_DEP_1)
	s_or_b32 exec_lo, exec_lo, s25
	v_lshrrev_b32_e32 v118, 24, v116
	s_mov_b32 s10, 0
	s_mov_b32 s26, exec_lo
                                        ; implicit-def: $sgpr25
	v_cmpx_lt_i16_e32 0x7f, v118
	s_xor_b32 s26, exec_lo, s26
	s_cbranch_execnz .LBB4_4853
; %bb.4592:                             ;   in Loop: Header=BB4_4278 Depth=2
	s_or_saveexec_b32 s26, s26
	v_mov_b32_e32 v117, s25
	s_xor_b32 exec_lo, exec_lo, s26
	s_cbranch_execnz .LBB4_4856
.LBB4_4593:                             ;   in Loop: Header=BB4_4278 Depth=2
	s_or_b32 exec_lo, exec_lo, s26
	s_and_saveexec_b32 s25, s10
	s_cbranch_execz .LBB4_4595
.LBB4_4594:                             ;   in Loop: Header=BB4_4278 Depth=2
	v_bfe_u32 v117, v116, 24, 3
	s_delay_alu instid0(VALU_DEP_1) | instskip(NEXT) | instid1(VALU_DEP_1)
	v_clz_i32_u32_e32 v119, v117
	v_min_u32_e32 v119, 32, v119
	s_delay_alu instid0(VALU_DEP_1) | instskip(SKIP_1) | instid1(VALU_DEP_2)
	v_subrev_nc_u32_e32 v128, 28, v119
	v_sub_nc_u32_e32 v119, 29, v119
	v_lshlrev_b32_e32 v118, v128, v118
	v_bfe_u32 v128, v116, 27, 4
	v_and_b32_e32 v116, 0x80000000, v116
	s_delay_alu instid0(VALU_DEP_2) | instskip(NEXT) | instid1(VALU_DEP_4)
	v_cmp_eq_u32_e32 vcc_lo, 0, v128
	v_dual_cndmask_b32 v119, v128, v119 :: v_dual_and_b32 v118, 7, v118
	s_delay_alu instid0(VALU_DEP_1) | instskip(NEXT) | instid1(VALU_DEP_2)
	v_cndmask_b32_e32 v117, v117, v118, vcc_lo
	v_lshl_add_u32 v118, v119, 23, 0x3b800000
	s_delay_alu instid0(VALU_DEP_2) | instskip(NEXT) | instid1(VALU_DEP_1)
	v_lshlrev_b32_e32 v117, 20, v117
	v_or3_b32 v117, v116, v118, v117
.LBB4_4595:                             ;   in Loop: Header=BB4_4278 Depth=2
	s_or_b32 exec_lo, exec_lo, s25
	v_lshrrev_b32_e32 v116, 24, v11
	s_mov_b32 s10, 0
	s_mov_b32 s26, exec_lo
                                        ; implicit-def: $sgpr25
	s_delay_alu instid0(VALU_DEP_1)
	v_cmpx_lt_i16_e32 0x7f, v116
	s_xor_b32 s26, exec_lo, s26
	s_cbranch_execnz .LBB4_4857
; %bb.4596:                             ;   in Loop: Header=BB4_4278 Depth=2
	s_or_saveexec_b32 s26, s26
	v_mov_b32_e32 v118, s25
	s_xor_b32 exec_lo, exec_lo, s26
	s_cbranch_execnz .LBB4_4860
.LBB4_4597:                             ;   in Loop: Header=BB4_4278 Depth=2
	s_or_b32 exec_lo, exec_lo, s26
	s_and_saveexec_b32 s25, s10
	s_cbranch_execz .LBB4_4599
.LBB4_4598:                             ;   in Loop: Header=BB4_4278 Depth=2
	v_bfe_u32 v118, v11, 24, 3
	s_delay_alu instid0(VALU_DEP_1) | instskip(NEXT) | instid1(VALU_DEP_1)
	v_clz_i32_u32_e32 v119, v118
	v_min_u32_e32 v119, 32, v119
	s_delay_alu instid0(VALU_DEP_1) | instskip(SKIP_1) | instid1(VALU_DEP_2)
	v_subrev_nc_u32_e32 v128, 28, v119
	v_sub_nc_u32_e32 v119, 29, v119
	v_lshlrev_b32_e32 v116, v128, v116
	v_bfe_u32 v128, v11, 27, 4
	v_and_b32_e32 v11, 0x80000000, v11
	s_delay_alu instid0(VALU_DEP_2) | instskip(NEXT) | instid1(VALU_DEP_4)
	v_cmp_eq_u32_e32 vcc_lo, 0, v128
	v_dual_cndmask_b32 v119, v128, v119 :: v_dual_and_b32 v116, 7, v116
	s_delay_alu instid0(VALU_DEP_1) | instskip(NEXT) | instid1(VALU_DEP_2)
	v_cndmask_b32_e32 v116, v118, v116, vcc_lo
	v_lshl_add_u32 v118, v119, 23, 0x3b800000
	s_delay_alu instid0(VALU_DEP_2) | instskip(NEXT) | instid1(VALU_DEP_1)
	v_lshlrev_b32_e32 v116, 20, v116
	v_or3_b32 v118, v11, v118, v116
.LBB4_4599:                             ;   in Loop: Header=BB4_4278 Depth=2
	s_or_b32 exec_lo, exec_lo, s25
	s_delay_alu instid0(VALU_DEP_1) | instskip(NEXT) | instid1(VALU_DEP_1)
	v_add_f32_e32 v116, v117, v118
	v_and_b32_e32 v11, 0x7f800000, v116
	s_delay_alu instid0(VALU_DEP_1)
	v_cmp_ne_u32_e32 vcc_lo, 0x7f800000, v11
	v_mov_b32_e32 v11, 0x8000
	s_and_saveexec_b32 s25, vcc_lo
	s_cbranch_execz .LBB4_4607
; %bb.4600:                             ;   in Loop: Header=BB4_4278 Depth=2
	v_mov_b32_e32 v11, 0
	s_mov_b32 s26, exec_lo
	v_cmpx_ne_u32_e32 0, v116
	s_cbranch_execz .LBB4_4606
; %bb.4601:                             ;   in Loop: Header=BB4_4278 Depth=2
	v_bfe_u32 v11, v116, 23, 8
	s_delay_alu instid0(VALU_DEP_1) | instskip(SKIP_1) | instid1(VALU_DEP_2)
	v_sub_nc_u32_e32 v118, 0x78, v11
	v_cmp_gt_u32_e32 vcc_lo, 0x79, v11
	v_dual_cndmask_b32 v118, 0, v118 :: v_dual_and_b32 v117, 0x7fffff, v116
	s_delay_alu instid0(VALU_DEP_1) | instskip(SKIP_2) | instid1(VALU_DEP_4)
	v_or_b32_e32 v119, 0x800000, v117
	v_cmp_eq_u32_e32 vcc_lo, 0, v11
	v_add_nc_u32_e32 v11, 0xffffff89, v11
	v_cndmask_b32_e64 v118, v118, 0x77, vcc_lo
	s_delay_alu instid0(VALU_DEP_2) | instskip(SKIP_1) | instid1(VALU_DEP_3)
	v_cndmask_b32_e64 v11, v11, 0xffffff8a, vcc_lo
	v_cndmask_b32_e32 v117, v119, v117, vcc_lo
	v_lshl_add_u32 v119, 0x100000, v118, -1
	v_lshlrev_b32_e64 v130, v118, 0x80000
	s_delay_alu instid0(VALU_DEP_3) | instskip(SKIP_1) | instid1(VALU_DEP_4)
	v_lshrrev_b32_e32 v128, v118, v117
	v_add_nc_u32_e32 v118, v118, v11
	v_and_b32_e32 v117, v119, v117
	s_delay_alu instid0(VALU_DEP_3) | instskip(NEXT) | instid1(VALU_DEP_2)
	v_bfe_u32 v129, v128, 20, 1
	v_cmp_eq_u32_e64 s10, v117, v130
	s_delay_alu instid0(VALU_DEP_2) | instskip(NEXT) | instid1(VALU_DEP_1)
	v_add_nc_u32_e32 v119, -1, v129
	v_cndmask_b32_e64 v117, 0, v119, s10
	v_lshrrev_b32_e32 v119, 23, v128
	s_mov_b32 s10, exec_lo
	s_delay_alu instid0(VALU_DEP_2) | instskip(NEXT) | instid1(VALU_DEP_2)
	v_add_nc_u32_e32 v117, v117, v128
	v_xor_b32_e32 v119, 1, v119
	s_delay_alu instid0(VALU_DEP_2) | instskip(NEXT) | instid1(VALU_DEP_1)
	v_and_b32_e32 v11, 0xfffff, v117
	v_add_nc_u32_e32 v117, v11, v128
                                        ; implicit-def: $vgpr11
	s_delay_alu instid0(VALU_DEP_3)
	v_cmpx_ne_u32_e64 v118, v119
	s_xor_b32 s10, exec_lo, s10
; %bb.4602:                             ;   in Loop: Header=BB4_4278 Depth=2
	s_delay_alu instid0(VALU_DEP_2) | instskip(SKIP_2) | instid1(VALU_DEP_2)
	v_cmp_lt_u32_e32 vcc_lo, 0xffffff, v117
	v_sub_nc_u32_e32 v11, v118, v119
	v_cndmask_b32_e64 v118, 0, 1, vcc_lo
	v_add_co_ci_u32_e32 v11, vcc_lo, 0, v11, vcc_lo
	s_delay_alu instid0(VALU_DEP_2)
	v_lshrrev_b32_e32 v117, v118, v117
; %bb.4603:                             ;   in Loop: Header=BB4_4278 Depth=2
	s_and_not1_saveexec_b32 s10, s10
; %bb.4604:                             ;   in Loop: Header=BB4_4278 Depth=2
	s_delay_alu instid0(VALU_DEP_1)
	v_bfe_u32 v11, v117, 23, 1
; %bb.4605:                             ;   in Loop: Header=BB4_4278 Depth=2
	s_or_b32 exec_lo, exec_lo, s10
	v_lshrrev_b32_e32 v117, 20, v117
	s_delay_alu instid0(VALU_DEP_2) | instskip(SKIP_2) | instid1(VALU_DEP_2)
	v_cmp_gt_i32_e32 vcc_lo, 16, v11
	v_min_i32_e32 v118, 15, v11
	v_lshrrev_b32_e32 v116, 24, v116
	v_dual_cndmask_b32 v117, 7, v117 :: v_dual_lshlrev_b32 v118, 3, v118
	s_delay_alu instid0(VALU_DEP_2) | instskip(NEXT) | instid1(VALU_DEP_2)
	v_and_b32_e32 v116, 0x80, v116
	v_or_b32_e32 v11, v11, v117
	v_and_b32_e32 v119, 7, v117
	s_delay_alu instid0(VALU_DEP_2) | instskip(SKIP_1) | instid1(VALU_DEP_1)
	v_cmp_ne_u32_e32 vcc_lo, 0, v11
	v_and_b32_e32 v118, 0xf8, v118
	v_or3_b32 v116, v116, v118, v119
	s_delay_alu instid0(VALU_DEP_1) | instskip(NEXT) | instid1(VALU_DEP_1)
	v_lshlrev_b32_e32 v116, 8, v116
	v_cndmask_b32_e32 v11, 0, v116, vcc_lo
.LBB4_4606:                             ;   in Loop: Header=BB4_4278 Depth=2
	s_or_b32 exec_lo, exec_lo, s26
.LBB4_4607:                             ;   in Loop: Header=BB4_4278 Depth=2
	s_delay_alu instid0(SALU_CYCLE_1) | instskip(SKIP_3) | instid1(VALU_DEP_1)
	s_or_b32 exec_lo, exec_lo, s25
	v_and_b32_e32 v117, 0xff, v103
	s_mov_b32 s10, 0
	s_mov_b32 s26, exec_lo
                                        ; implicit-def: $sgpr25
	v_cmpx_lt_i16_e32 0x7f, v117
	s_xor_b32 s26, exec_lo, s26
	s_cbranch_execnz .LBB4_4861
; %bb.4608:                             ;   in Loop: Header=BB4_4278 Depth=2
	s_or_saveexec_b32 s26, s26
	v_mov_b32_e32 v116, s25
	s_xor_b32 exec_lo, exec_lo, s26
	s_cbranch_execnz .LBB4_4864
.LBB4_4609:                             ;   in Loop: Header=BB4_4278 Depth=2
	s_or_b32 exec_lo, exec_lo, s26
	s_and_saveexec_b32 s25, s10
	s_cbranch_execz .LBB4_4611
.LBB4_4610:                             ;   in Loop: Header=BB4_4278 Depth=2
	v_bfe_u32 v119, v103, 3, 4
	s_delay_alu instid0(VALU_DEP_1) | instskip(SKIP_1) | instid1(VALU_DEP_1)
	v_cmp_eq_u32_e32 vcc_lo, 0, v119
	v_and_b32_e32 v116, 7, v103
	v_clz_i32_u32_e32 v117, v116
	s_delay_alu instid0(VALU_DEP_1) | instskip(NEXT) | instid1(VALU_DEP_1)
	v_min_u32_e32 v117, 32, v117
	v_subrev_nc_u32_e32 v118, 28, v117
	v_sub_nc_u32_e32 v117, 29, v117
	s_delay_alu instid0(VALU_DEP_1) | instskip(NEXT) | instid1(VALU_DEP_1)
	v_dual_cndmask_b32 v117, v119, v117 :: v_dual_lshlrev_b32 v118, v118, v103
	v_and_b32_e32 v118, 7, v118
	v_lshlrev_b32_e32 v103, 24, v103
	s_delay_alu instid0(VALU_DEP_3) | instskip(NEXT) | instid1(VALU_DEP_2)
	v_lshl_add_u32 v117, v117, 23, 0x3b800000
	v_dual_cndmask_b32 v116, v116, v118 :: v_dual_and_b32 v103, 0x80000000, v103
	s_delay_alu instid0(VALU_DEP_1) | instskip(NEXT) | instid1(VALU_DEP_1)
	v_lshlrev_b32_e32 v116, 20, v116
	v_or3_b32 v116, v103, v117, v116
.LBB4_4611:                             ;   in Loop: Header=BB4_4278 Depth=2
	s_or_b32 exec_lo, exec_lo, s25
	v_and_b32_e32 v117, 0xff, v12
	s_mov_b32 s10, 0
	s_mov_b32 s26, exec_lo
                                        ; implicit-def: $sgpr25
	s_delay_alu instid0(VALU_DEP_1)
	v_cmpx_lt_i16_e32 0x7f, v117
	s_xor_b32 s26, exec_lo, s26
	s_cbranch_execnz .LBB4_4865
; %bb.4612:                             ;   in Loop: Header=BB4_4278 Depth=2
	s_or_saveexec_b32 s26, s26
	v_mov_b32_e32 v103, s25
	s_xor_b32 exec_lo, exec_lo, s26
	s_cbranch_execnz .LBB4_4868
.LBB4_4613:                             ;   in Loop: Header=BB4_4278 Depth=2
	s_or_b32 exec_lo, exec_lo, s26
	s_and_saveexec_b32 s25, s10
	s_cbranch_execz .LBB4_4615
.LBB4_4614:                             ;   in Loop: Header=BB4_4278 Depth=2
	v_and_b32_e32 v103, 7, v12
	v_bfe_u32 v119, v12, 3, 4
	s_delay_alu instid0(VALU_DEP_2) | instskip(NEXT) | instid1(VALU_DEP_2)
	v_clz_i32_u32_e32 v117, v103
	v_cmp_eq_u32_e32 vcc_lo, 0, v119
	s_delay_alu instid0(VALU_DEP_2) | instskip(NEXT) | instid1(VALU_DEP_1)
	v_min_u32_e32 v117, 32, v117
	v_subrev_nc_u32_e32 v118, 28, v117
	v_sub_nc_u32_e32 v117, 29, v117
	s_delay_alu instid0(VALU_DEP_1) | instskip(NEXT) | instid1(VALU_DEP_1)
	v_dual_cndmask_b32 v117, v119, v117 :: v_dual_lshlrev_b32 v118, v118, v12
	v_and_b32_e32 v118, 7, v118
	v_lshlrev_b32_e32 v128, 24, v12
	s_delay_alu instid0(VALU_DEP_3) | instskip(NEXT) | instid1(VALU_DEP_2)
	v_lshl_add_u32 v117, v117, 23, 0x3b800000
	v_dual_cndmask_b32 v103, v103, v118 :: v_dual_and_b32 v118, 0x80000000, v128
	s_delay_alu instid0(VALU_DEP_1) | instskip(NEXT) | instid1(VALU_DEP_1)
	v_lshlrev_b32_e32 v103, 20, v103
	v_or3_b32 v103, v118, v117, v103
.LBB4_4615:                             ;   in Loop: Header=BB4_4278 Depth=2
	s_or_b32 exec_lo, exec_lo, s25
	s_delay_alu instid0(VALU_DEP_1) | instskip(NEXT) | instid1(VALU_DEP_1)
	v_add_f32_e32 v116, v116, v103
	v_and_b32_e32 v103, 0x7f800000, v116
	s_delay_alu instid0(VALU_DEP_1)
	v_cmp_ne_u32_e32 vcc_lo, 0x7f800000, v103
	v_mov_b32_e32 v103, 0x80
	s_and_saveexec_b32 s25, vcc_lo
	s_cbranch_execz .LBB4_4623
; %bb.4616:                             ;   in Loop: Header=BB4_4278 Depth=2
	v_mov_b32_e32 v103, 0
	s_mov_b32 s26, exec_lo
	v_cmpx_ne_u32_e32 0, v116
	s_cbranch_execz .LBB4_4622
; %bb.4617:                             ;   in Loop: Header=BB4_4278 Depth=2
	v_bfe_u32 v103, v116, 23, 8
	s_delay_alu instid0(VALU_DEP_1) | instskip(SKIP_1) | instid1(VALU_DEP_2)
	v_sub_nc_u32_e32 v118, 0x78, v103
	v_cmp_gt_u32_e32 vcc_lo, 0x79, v103
	v_dual_cndmask_b32 v118, 0, v118 :: v_dual_and_b32 v117, 0x7fffff, v116
	s_delay_alu instid0(VALU_DEP_1) | instskip(SKIP_2) | instid1(VALU_DEP_4)
	v_or_b32_e32 v119, 0x800000, v117
	v_cmp_eq_u32_e32 vcc_lo, 0, v103
	v_add_nc_u32_e32 v103, 0xffffff89, v103
	v_cndmask_b32_e64 v118, v118, 0x77, vcc_lo
	s_delay_alu instid0(VALU_DEP_2) | instskip(SKIP_1) | instid1(VALU_DEP_3)
	v_cndmask_b32_e64 v103, v103, 0xffffff8a, vcc_lo
	v_cndmask_b32_e32 v117, v119, v117, vcc_lo
	v_lshl_add_u32 v119, 0x100000, v118, -1
	v_lshlrev_b32_e64 v130, v118, 0x80000
	s_delay_alu instid0(VALU_DEP_3) | instskip(SKIP_1) | instid1(VALU_DEP_4)
	v_lshrrev_b32_e32 v128, v118, v117
	v_add_nc_u32_e32 v118, v118, v103
	v_and_b32_e32 v117, v119, v117
	s_delay_alu instid0(VALU_DEP_3) | instskip(NEXT) | instid1(VALU_DEP_2)
	v_bfe_u32 v129, v128, 20, 1
	v_cmp_eq_u32_e64 s10, v117, v130
	s_delay_alu instid0(VALU_DEP_2) | instskip(NEXT) | instid1(VALU_DEP_1)
	v_add_nc_u32_e32 v119, -1, v129
	v_cndmask_b32_e64 v117, 0, v119, s10
	v_lshrrev_b32_e32 v119, 23, v128
	s_mov_b32 s10, exec_lo
	s_delay_alu instid0(VALU_DEP_2) | instskip(NEXT) | instid1(VALU_DEP_2)
	v_add_nc_u32_e32 v117, v117, v128
	v_xor_b32_e32 v119, 1, v119
	s_delay_alu instid0(VALU_DEP_2) | instskip(NEXT) | instid1(VALU_DEP_1)
	v_and_b32_e32 v103, 0xfffff, v117
	v_add_nc_u32_e32 v117, v103, v128
                                        ; implicit-def: $vgpr103
	s_delay_alu instid0(VALU_DEP_3)
	v_cmpx_ne_u32_e64 v118, v119
	s_xor_b32 s10, exec_lo, s10
; %bb.4618:                             ;   in Loop: Header=BB4_4278 Depth=2
	s_delay_alu instid0(VALU_DEP_2) | instskip(SKIP_2) | instid1(VALU_DEP_2)
	v_cmp_lt_u32_e32 vcc_lo, 0xffffff, v117
	v_sub_nc_u32_e32 v103, v118, v119
	v_cndmask_b32_e64 v118, 0, 1, vcc_lo
	v_add_co_ci_u32_e32 v103, vcc_lo, 0, v103, vcc_lo
	s_delay_alu instid0(VALU_DEP_2)
	v_lshrrev_b32_e32 v117, v118, v117
; %bb.4619:                             ;   in Loop: Header=BB4_4278 Depth=2
	s_and_not1_saveexec_b32 s10, s10
; %bb.4620:                             ;   in Loop: Header=BB4_4278 Depth=2
	s_delay_alu instid0(VALU_DEP_1)
	v_bfe_u32 v103, v117, 23, 1
; %bb.4621:                             ;   in Loop: Header=BB4_4278 Depth=2
	s_or_b32 exec_lo, exec_lo, s10
	v_lshrrev_b32_e32 v117, 20, v117
	s_delay_alu instid0(VALU_DEP_2) | instskip(SKIP_2) | instid1(VALU_DEP_2)
	v_cmp_gt_i32_e32 vcc_lo, 16, v103
	v_lshrrev_b32_e32 v116, 24, v116
	v_min_i32_e32 v118, 15, v103
	v_dual_cndmask_b32 v117, 7, v117 :: v_dual_and_b32 v116, 0x80, v116
	s_delay_alu instid0(VALU_DEP_1) | instskip(SKIP_1) | instid1(VALU_DEP_2)
	v_or_b32_e32 v103, v103, v117
	v_and_b32_e32 v119, 7, v117
	v_cmp_ne_u32_e32 vcc_lo, 0, v103
	v_lshlrev_b32_e32 v118, 3, v118
	s_delay_alu instid0(VALU_DEP_1) | instskip(NEXT) | instid1(VALU_DEP_1)
	v_or3_b32 v116, v118, v116, v119
	v_cndmask_b32_e32 v103, 0, v116, vcc_lo
.LBB4_4622:                             ;   in Loop: Header=BB4_4278 Depth=2
	s_or_b32 exec_lo, exec_lo, s26
.LBB4_4623:                             ;   in Loop: Header=BB4_4278 Depth=2
	s_delay_alu instid0(SALU_CYCLE_1) | instskip(SKIP_3) | instid1(VALU_DEP_1)
	s_or_b32 exec_lo, exec_lo, s25
	v_and_b32_e32 v117, 0xff, v101
	s_mov_b32 s10, 0
	s_mov_b32 s26, exec_lo
                                        ; implicit-def: $sgpr25
	v_cmpx_lt_i16_e32 0x7f, v117
	s_xor_b32 s26, exec_lo, s26
	s_cbranch_execnz .LBB4_4869
; %bb.4624:                             ;   in Loop: Header=BB4_4278 Depth=2
	s_or_saveexec_b32 s26, s26
	v_mov_b32_e32 v116, s25
	s_xor_b32 exec_lo, exec_lo, s26
	s_cbranch_execnz .LBB4_4872
.LBB4_4625:                             ;   in Loop: Header=BB4_4278 Depth=2
	s_or_b32 exec_lo, exec_lo, s26
	s_and_saveexec_b32 s25, s10
	s_cbranch_execz .LBB4_4627
.LBB4_4626:                             ;   in Loop: Header=BB4_4278 Depth=2
	v_and_b32_e32 v116, 7, v101
	v_bfe_u32 v119, v101, 3, 4
	s_delay_alu instid0(VALU_DEP_2) | instskip(NEXT) | instid1(VALU_DEP_2)
	v_clz_i32_u32_e32 v117, v116
	v_cmp_eq_u32_e32 vcc_lo, 0, v119
	s_delay_alu instid0(VALU_DEP_2) | instskip(NEXT) | instid1(VALU_DEP_1)
	v_min_u32_e32 v117, 32, v117
	v_subrev_nc_u32_e32 v118, 28, v117
	v_sub_nc_u32_e32 v117, 29, v117
	s_delay_alu instid0(VALU_DEP_2) | instskip(NEXT) | instid1(VALU_DEP_1)
	v_lshlrev_b32_e32 v118, v118, v101
	v_dual_cndmask_b32 v117, v119, v117 :: v_dual_and_b32 v118, 7, v118
	v_lshlrev_b32_e32 v101, 24, v101
	s_delay_alu instid0(VALU_DEP_2) | instskip(NEXT) | instid1(VALU_DEP_2)
	v_lshl_add_u32 v117, v117, 23, 0x3b800000
	v_dual_cndmask_b32 v116, v116, v118 :: v_dual_and_b32 v101, 0x80000000, v101
	s_delay_alu instid0(VALU_DEP_1) | instskip(NEXT) | instid1(VALU_DEP_1)
	v_lshlrev_b32_e32 v116, 20, v116
	v_or3_b32 v116, v101, v117, v116
.LBB4_4627:                             ;   in Loop: Header=BB4_4278 Depth=2
	s_or_b32 exec_lo, exec_lo, s25
	v_lshrrev_b16 v101, 8, v12
	s_mov_b32 s10, 0
	s_mov_b32 s26, exec_lo
                                        ; implicit-def: $sgpr25
	s_delay_alu instid0(VALU_DEP_1)
	v_cmpx_lt_i16_e32 0x7f, v101
	s_xor_b32 s26, exec_lo, s26
	s_cbranch_execnz .LBB4_4873
; %bb.4628:                             ;   in Loop: Header=BB4_4278 Depth=2
	s_or_saveexec_b32 s26, s26
	v_mov_b32_e32 v117, s25
	s_xor_b32 exec_lo, exec_lo, s26
	s_cbranch_execnz .LBB4_4876
.LBB4_4629:                             ;   in Loop: Header=BB4_4278 Depth=2
	s_or_b32 exec_lo, exec_lo, s26
	s_and_saveexec_b32 s25, s10
	s_cbranch_execz .LBB4_4631
.LBB4_4630:                             ;   in Loop: Header=BB4_4278 Depth=2
	v_and_b32_e32 v117, 0xffff, v101
	v_lshlrev_b32_e32 v101, 24, v101
	s_delay_alu instid0(VALU_DEP_2) | instskip(NEXT) | instid1(VALU_DEP_2)
	v_and_b32_e32 v118, 7, v117
	v_and_b32_e32 v101, 0x80000000, v101
	s_delay_alu instid0(VALU_DEP_2) | instskip(NEXT) | instid1(VALU_DEP_1)
	v_clz_i32_u32_e32 v119, v118
	v_min_u32_e32 v119, 32, v119
	s_delay_alu instid0(VALU_DEP_1) | instskip(SKIP_1) | instid1(VALU_DEP_2)
	v_subrev_nc_u32_e32 v128, 28, v119
	v_sub_nc_u32_e32 v119, 29, v119
	v_lshlrev_b32_e32 v128, v128, v117
	v_bfe_u32 v117, v117, 3, 4
	s_delay_alu instid0(VALU_DEP_2) | instskip(NEXT) | instid1(VALU_DEP_2)
	v_and_b32_e32 v128, 7, v128
	v_cmp_eq_u32_e32 vcc_lo, 0, v117
	s_delay_alu instid0(VALU_DEP_2) | instskip(NEXT) | instid1(VALU_DEP_1)
	v_dual_cndmask_b32 v117, v117, v119 :: v_dual_cndmask_b32 v118, v118, v128
	v_lshl_add_u32 v117, v117, 23, 0x3b800000
	s_delay_alu instid0(VALU_DEP_2) | instskip(NEXT) | instid1(VALU_DEP_1)
	v_lshlrev_b32_e32 v118, 20, v118
	v_or3_b32 v117, v101, v117, v118
.LBB4_4631:                             ;   in Loop: Header=BB4_4278 Depth=2
	s_or_b32 exec_lo, exec_lo, s25
	s_delay_alu instid0(VALU_DEP_1) | instskip(NEXT) | instid1(VALU_DEP_1)
	v_add_f32_e32 v116, v116, v117
	v_and_b32_e32 v101, 0x7f800000, v116
	s_delay_alu instid0(VALU_DEP_1)
	v_cmp_ne_u32_e32 vcc_lo, 0x7f800000, v101
	v_mov_b32_e32 v101, 0x80
	s_and_saveexec_b32 s25, vcc_lo
	s_cbranch_execz .LBB4_4639
; %bb.4632:                             ;   in Loop: Header=BB4_4278 Depth=2
	v_mov_b32_e32 v101, 0
	s_mov_b32 s26, exec_lo
	v_cmpx_ne_u32_e32 0, v116
	s_cbranch_execz .LBB4_4638
; %bb.4633:                             ;   in Loop: Header=BB4_4278 Depth=2
	v_bfe_u32 v101, v116, 23, 8
	s_delay_alu instid0(VALU_DEP_1) | instskip(SKIP_1) | instid1(VALU_DEP_2)
	v_sub_nc_u32_e32 v118, 0x78, v101
	v_cmp_gt_u32_e32 vcc_lo, 0x79, v101
	v_dual_cndmask_b32 v118, 0, v118 :: v_dual_and_b32 v117, 0x7fffff, v116
	s_delay_alu instid0(VALU_DEP_1) | instskip(SKIP_2) | instid1(VALU_DEP_4)
	v_or_b32_e32 v119, 0x800000, v117
	v_cmp_eq_u32_e32 vcc_lo, 0, v101
	v_add_nc_u32_e32 v101, 0xffffff89, v101
	v_cndmask_b32_e64 v118, v118, 0x77, vcc_lo
	s_delay_alu instid0(VALU_DEP_4) | instskip(NEXT) | instid1(VALU_DEP_3)
	v_cndmask_b32_e32 v117, v119, v117, vcc_lo
	v_cndmask_b32_e64 v101, v101, 0xffffff8a, vcc_lo
	s_delay_alu instid0(VALU_DEP_3) | instskip(NEXT) | instid1(VALU_DEP_3)
	v_lshl_add_u32 v119, 0x100000, v118, -1
	v_lshrrev_b32_e32 v128, v118, v117
	v_lshlrev_b32_e64 v130, v118, 0x80000
	s_delay_alu instid0(VALU_DEP_4) | instskip(NEXT) | instid1(VALU_DEP_4)
	v_add_nc_u32_e32 v118, v118, v101
	v_and_b32_e32 v117, v119, v117
	s_delay_alu instid0(VALU_DEP_4) | instskip(NEXT) | instid1(VALU_DEP_2)
	v_bfe_u32 v129, v128, 20, 1
	v_cmp_eq_u32_e64 s10, v117, v130
	s_delay_alu instid0(VALU_DEP_2) | instskip(NEXT) | instid1(VALU_DEP_1)
	v_add_nc_u32_e32 v119, -1, v129
	v_cndmask_b32_e64 v117, 0, v119, s10
	v_lshrrev_b32_e32 v119, 23, v128
	s_mov_b32 s10, exec_lo
	s_delay_alu instid0(VALU_DEP_2) | instskip(NEXT) | instid1(VALU_DEP_2)
	v_add_nc_u32_e32 v117, v117, v128
	v_xor_b32_e32 v119, 1, v119
	s_delay_alu instid0(VALU_DEP_2) | instskip(NEXT) | instid1(VALU_DEP_1)
	v_and_b32_e32 v101, 0xfffff, v117
	v_add_nc_u32_e32 v117, v101, v128
                                        ; implicit-def: $vgpr101
	s_delay_alu instid0(VALU_DEP_3)
	v_cmpx_ne_u32_e64 v118, v119
	s_xor_b32 s10, exec_lo, s10
; %bb.4634:                             ;   in Loop: Header=BB4_4278 Depth=2
	s_delay_alu instid0(VALU_DEP_2) | instskip(SKIP_2) | instid1(VALU_DEP_2)
	v_cmp_lt_u32_e32 vcc_lo, 0xffffff, v117
	v_sub_nc_u32_e32 v101, v118, v119
	v_cndmask_b32_e64 v118, 0, 1, vcc_lo
	v_add_co_ci_u32_e32 v101, vcc_lo, 0, v101, vcc_lo
	s_delay_alu instid0(VALU_DEP_2)
	v_lshrrev_b32_e32 v117, v118, v117
; %bb.4635:                             ;   in Loop: Header=BB4_4278 Depth=2
	s_and_not1_saveexec_b32 s10, s10
; %bb.4636:                             ;   in Loop: Header=BB4_4278 Depth=2
	s_delay_alu instid0(VALU_DEP_1)
	v_bfe_u32 v101, v117, 23, 1
; %bb.4637:                             ;   in Loop: Header=BB4_4278 Depth=2
	s_or_b32 exec_lo, exec_lo, s10
	v_lshrrev_b32_e32 v117, 20, v117
	s_delay_alu instid0(VALU_DEP_2) | instskip(SKIP_2) | instid1(VALU_DEP_2)
	v_cmp_gt_i32_e32 vcc_lo, 16, v101
	v_lshrrev_b32_e32 v116, 24, v116
	v_min_i32_e32 v118, 15, v101
	v_dual_cndmask_b32 v117, 7, v117 :: v_dual_and_b32 v116, 0x80, v116
	s_delay_alu instid0(VALU_DEP_1) | instskip(SKIP_1) | instid1(VALU_DEP_2)
	v_or_b32_e32 v101, v101, v117
	v_and_b32_e32 v119, 7, v117
	v_cmp_ne_u32_e32 vcc_lo, 0, v101
	v_lshlrev_b32_e32 v118, 3, v118
	s_delay_alu instid0(VALU_DEP_1) | instskip(NEXT) | instid1(VALU_DEP_1)
	v_or3_b32 v116, v118, v116, v119
	v_cndmask_b32_e32 v101, 0, v116, vcc_lo
.LBB4_4638:                             ;   in Loop: Header=BB4_4278 Depth=2
	s_or_b32 exec_lo, exec_lo, s26
.LBB4_4639:                             ;   in Loop: Header=BB4_4278 Depth=2
	s_delay_alu instid0(SALU_CYCLE_1) | instskip(SKIP_3) | instid1(VALU_DEP_1)
	s_or_b32 exec_lo, exec_lo, s25
	v_and_b32_e32 v117, 0xff, v100
	s_mov_b32 s10, 0
	s_mov_b32 s26, exec_lo
                                        ; implicit-def: $sgpr25
	v_cmpx_lt_i16_e32 0x7f, v117
	s_xor_b32 s26, exec_lo, s26
	s_cbranch_execnz .LBB4_4877
; %bb.4640:                             ;   in Loop: Header=BB4_4278 Depth=2
	s_or_saveexec_b32 s26, s26
	v_mov_b32_e32 v116, s25
	s_xor_b32 exec_lo, exec_lo, s26
	s_cbranch_execnz .LBB4_4880
.LBB4_4641:                             ;   in Loop: Header=BB4_4278 Depth=2
	s_or_b32 exec_lo, exec_lo, s26
	s_and_saveexec_b32 s25, s10
	s_cbranch_execz .LBB4_4643
.LBB4_4642:                             ;   in Loop: Header=BB4_4278 Depth=2
	v_bfe_u32 v119, v100, 3, 4
	s_delay_alu instid0(VALU_DEP_1) | instskip(SKIP_1) | instid1(VALU_DEP_1)
	v_cmp_eq_u32_e32 vcc_lo, 0, v119
	v_and_b32_e32 v116, 7, v100
	v_clz_i32_u32_e32 v117, v116
	s_delay_alu instid0(VALU_DEP_1) | instskip(NEXT) | instid1(VALU_DEP_1)
	v_min_u32_e32 v117, 32, v117
	v_subrev_nc_u32_e32 v118, 28, v117
	v_sub_nc_u32_e32 v117, 29, v117
	s_delay_alu instid0(VALU_DEP_1) | instskip(SKIP_1) | instid1(VALU_DEP_2)
	v_dual_cndmask_b32 v117, v119, v117 :: v_dual_lshlrev_b32 v118, v118, v100
	v_lshlrev_b32_e32 v100, 24, v100
	v_and_b32_e32 v118, 7, v118
	s_delay_alu instid0(VALU_DEP_3) | instskip(NEXT) | instid1(VALU_DEP_3)
	v_lshl_add_u32 v117, v117, 23, 0x3b800000
	v_and_b32_e32 v100, 0x80000000, v100
	s_delay_alu instid0(VALU_DEP_3) | instskip(NEXT) | instid1(VALU_DEP_1)
	v_cndmask_b32_e32 v116, v116, v118, vcc_lo
	v_lshlrev_b32_e32 v116, 20, v116
	s_delay_alu instid0(VALU_DEP_1)
	v_or3_b32 v116, v100, v117, v116
.LBB4_4643:                             ;   in Loop: Header=BB4_4278 Depth=2
	s_or_b32 exec_lo, exec_lo, s25
	v_lshrrev_b32_e32 v100, 16, v12
	s_mov_b32 s10, 0
	s_mov_b32 s26, exec_lo
                                        ; implicit-def: $sgpr25
	s_delay_alu instid0(VALU_DEP_1) | instskip(NEXT) | instid1(VALU_DEP_1)
	v_and_b32_e32 v118, 0xff, v100
	v_cmpx_lt_i16_e32 0x7f, v118
	s_xor_b32 s26, exec_lo, s26
	s_cbranch_execnz .LBB4_4881
; %bb.4644:                             ;   in Loop: Header=BB4_4278 Depth=2
	s_or_saveexec_b32 s26, s26
	v_mov_b32_e32 v117, s25
	s_xor_b32 exec_lo, exec_lo, s26
	s_cbranch_execnz .LBB4_4884
.LBB4_4645:                             ;   in Loop: Header=BB4_4278 Depth=2
	s_or_b32 exec_lo, exec_lo, s26
	s_and_saveexec_b32 s25, s10
	s_cbranch_execz .LBB4_4647
.LBB4_4646:                             ;   in Loop: Header=BB4_4278 Depth=2
	v_bfe_u32 v117, v12, 16, 3
	v_lshlrev_b32_e32 v128, 8, v12
	s_delay_alu instid0(VALU_DEP_2) | instskip(NEXT) | instid1(VALU_DEP_1)
	v_clz_i32_u32_e32 v118, v117
	v_min_u32_e32 v118, 32, v118
	s_delay_alu instid0(VALU_DEP_1) | instskip(SKIP_1) | instid1(VALU_DEP_2)
	v_subrev_nc_u32_e32 v119, 28, v118
	v_sub_nc_u32_e32 v118, 29, v118
	v_lshlrev_b32_e32 v100, v119, v100
	v_bfe_u32 v119, v12, 19, 4
	s_delay_alu instid0(VALU_DEP_2) | instskip(NEXT) | instid1(VALU_DEP_2)
	v_and_b32_e32 v100, 7, v100
	v_cmp_eq_u32_e32 vcc_lo, 0, v119
	v_cndmask_b32_e32 v118, v119, v118, vcc_lo
	s_delay_alu instid0(VALU_DEP_3) | instskip(SKIP_1) | instid1(VALU_DEP_3)
	v_cndmask_b32_e32 v100, v117, v100, vcc_lo
	v_and_b32_e32 v117, 0x80000000, v128
	v_lshl_add_u32 v118, v118, 23, 0x3b800000
	s_delay_alu instid0(VALU_DEP_3) | instskip(NEXT) | instid1(VALU_DEP_1)
	v_lshlrev_b32_e32 v100, 20, v100
	v_or3_b32 v117, v117, v118, v100
.LBB4_4647:                             ;   in Loop: Header=BB4_4278 Depth=2
	s_or_b32 exec_lo, exec_lo, s25
	s_delay_alu instid0(VALU_DEP_1) | instskip(NEXT) | instid1(VALU_DEP_1)
	v_add_f32_e32 v116, v116, v117
	v_and_b32_e32 v100, 0x7f800000, v116
	s_delay_alu instid0(VALU_DEP_1)
	v_cmp_ne_u32_e32 vcc_lo, 0x7f800000, v100
	v_mov_b32_e32 v100, 0x80
	s_and_saveexec_b32 s25, vcc_lo
	s_cbranch_execz .LBB4_4655
; %bb.4648:                             ;   in Loop: Header=BB4_4278 Depth=2
	v_mov_b32_e32 v100, 0
	s_mov_b32 s26, exec_lo
	v_cmpx_ne_u32_e32 0, v116
	s_cbranch_execz .LBB4_4654
; %bb.4649:                             ;   in Loop: Header=BB4_4278 Depth=2
	v_bfe_u32 v100, v116, 23, 8
	s_delay_alu instid0(VALU_DEP_1) | instskip(SKIP_1) | instid1(VALU_DEP_2)
	v_sub_nc_u32_e32 v118, 0x78, v100
	v_cmp_gt_u32_e32 vcc_lo, 0x79, v100
	v_dual_cndmask_b32 v118, 0, v118 :: v_dual_and_b32 v117, 0x7fffff, v116
	s_delay_alu instid0(VALU_DEP_1) | instskip(SKIP_2) | instid1(VALU_DEP_4)
	v_or_b32_e32 v119, 0x800000, v117
	v_cmp_eq_u32_e32 vcc_lo, 0, v100
	v_add_nc_u32_e32 v100, 0xffffff89, v100
	v_cndmask_b32_e64 v118, v118, 0x77, vcc_lo
	s_delay_alu instid0(VALU_DEP_4) | instskip(NEXT) | instid1(VALU_DEP_3)
	v_cndmask_b32_e32 v117, v119, v117, vcc_lo
	v_cndmask_b32_e64 v100, v100, 0xffffff8a, vcc_lo
	s_delay_alu instid0(VALU_DEP_3) | instskip(NEXT) | instid1(VALU_DEP_3)
	v_lshl_add_u32 v119, 0x100000, v118, -1
	v_lshrrev_b32_e32 v128, v118, v117
	v_lshlrev_b32_e64 v130, v118, 0x80000
	s_delay_alu instid0(VALU_DEP_4) | instskip(NEXT) | instid1(VALU_DEP_4)
	v_add_nc_u32_e32 v118, v118, v100
	v_and_b32_e32 v117, v119, v117
	s_delay_alu instid0(VALU_DEP_4) | instskip(NEXT) | instid1(VALU_DEP_2)
	v_bfe_u32 v129, v128, 20, 1
	v_cmp_eq_u32_e64 s10, v117, v130
	s_delay_alu instid0(VALU_DEP_2) | instskip(NEXT) | instid1(VALU_DEP_1)
	v_add_nc_u32_e32 v119, -1, v129
	v_cndmask_b32_e64 v117, 0, v119, s10
	v_lshrrev_b32_e32 v119, 23, v128
	s_mov_b32 s10, exec_lo
	s_delay_alu instid0(VALU_DEP_2) | instskip(NEXT) | instid1(VALU_DEP_2)
	v_add_nc_u32_e32 v117, v117, v128
	v_xor_b32_e32 v119, 1, v119
	s_delay_alu instid0(VALU_DEP_2) | instskip(NEXT) | instid1(VALU_DEP_1)
	v_and_b32_e32 v100, 0xfffff, v117
	v_add_nc_u32_e32 v117, v100, v128
                                        ; implicit-def: $vgpr100
	s_delay_alu instid0(VALU_DEP_3)
	v_cmpx_ne_u32_e64 v118, v119
	s_xor_b32 s10, exec_lo, s10
; %bb.4650:                             ;   in Loop: Header=BB4_4278 Depth=2
	s_delay_alu instid0(VALU_DEP_2) | instskip(SKIP_2) | instid1(VALU_DEP_2)
	v_cmp_lt_u32_e32 vcc_lo, 0xffffff, v117
	v_sub_nc_u32_e32 v100, v118, v119
	v_cndmask_b32_e64 v118, 0, 1, vcc_lo
	v_add_co_ci_u32_e32 v100, vcc_lo, 0, v100, vcc_lo
	s_delay_alu instid0(VALU_DEP_2)
	v_lshrrev_b32_e32 v117, v118, v117
; %bb.4651:                             ;   in Loop: Header=BB4_4278 Depth=2
	s_and_not1_saveexec_b32 s10, s10
; %bb.4652:                             ;   in Loop: Header=BB4_4278 Depth=2
	s_delay_alu instid0(VALU_DEP_1)
	v_bfe_u32 v100, v117, 23, 1
; %bb.4653:                             ;   in Loop: Header=BB4_4278 Depth=2
	s_or_b32 exec_lo, exec_lo, s10
	v_lshrrev_b32_e32 v117, 20, v117
	s_delay_alu instid0(VALU_DEP_2) | instskip(SKIP_2) | instid1(VALU_DEP_2)
	v_cmp_gt_i32_e32 vcc_lo, 16, v100
	v_lshrrev_b32_e32 v116, 24, v116
	v_min_i32_e32 v118, 15, v100
	v_dual_cndmask_b32 v117, 7, v117 :: v_dual_and_b32 v116, 0x80, v116
	s_delay_alu instid0(VALU_DEP_2) | instskip(NEXT) | instid1(VALU_DEP_2)
	v_lshlrev_b32_e32 v118, 3, v118
	v_or_b32_e32 v100, v100, v117
	s_delay_alu instid0(VALU_DEP_1) | instskip(SKIP_1) | instid1(VALU_DEP_1)
	v_cmp_ne_u32_e32 vcc_lo, 0, v100
	v_and_b32_e32 v119, 7, v117
	v_or3_b32 v116, v118, v116, v119
	s_delay_alu instid0(VALU_DEP_1)
	v_cndmask_b32_e32 v100, 0, v116, vcc_lo
.LBB4_4654:                             ;   in Loop: Header=BB4_4278 Depth=2
	s_or_b32 exec_lo, exec_lo, s26
.LBB4_4655:                             ;   in Loop: Header=BB4_4278 Depth=2
	s_delay_alu instid0(SALU_CYCLE_1) | instskip(SKIP_3) | instid1(VALU_DEP_1)
	s_or_b32 exec_lo, exec_lo, s25
	v_and_b32_e32 v117, 0xff, v97
	s_mov_b32 s10, 0
	s_mov_b32 s26, exec_lo
                                        ; implicit-def: $sgpr25
	v_cmpx_lt_i16_e32 0x7f, v117
	s_xor_b32 s26, exec_lo, s26
	s_cbranch_execnz .LBB4_4885
; %bb.4656:                             ;   in Loop: Header=BB4_4278 Depth=2
	s_or_saveexec_b32 s26, s26
	v_mov_b32_e32 v116, s25
	s_xor_b32 exec_lo, exec_lo, s26
	s_cbranch_execnz .LBB4_4888
.LBB4_4657:                             ;   in Loop: Header=BB4_4278 Depth=2
	s_or_b32 exec_lo, exec_lo, s26
	s_and_saveexec_b32 s25, s10
	s_cbranch_execz .LBB4_4659
.LBB4_4658:                             ;   in Loop: Header=BB4_4278 Depth=2
	v_lshlrev_b32_e32 v97, 8, v97
	s_delay_alu instid0(VALU_DEP_1) | instskip(SKIP_1) | instid1(VALU_DEP_2)
	v_and_b32_e32 v116, 0xff00, v97
	v_bfe_u32 v97, v97, 11, 4
	v_bfe_u32 v118, v116, 8, 3
	s_delay_alu instid0(VALU_DEP_2) | instskip(NEXT) | instid1(VALU_DEP_2)
	v_cmp_eq_u32_e32 vcc_lo, 0, v97
	v_clz_i32_u32_e32 v119, v118
	s_delay_alu instid0(VALU_DEP_1) | instskip(NEXT) | instid1(VALU_DEP_1)
	v_min_u32_e32 v119, 32, v119
	v_subrev_nc_u32_e32 v128, 28, v119
	v_sub_nc_u32_e32 v119, 29, v119
	s_delay_alu instid0(VALU_DEP_2) | instskip(NEXT) | instid1(VALU_DEP_2)
	v_lshlrev_b32_e32 v117, v128, v117
	v_cndmask_b32_e32 v97, v97, v119, vcc_lo
	s_delay_alu instid0(VALU_DEP_2) | instskip(SKIP_1) | instid1(VALU_DEP_3)
	v_and_b32_e32 v117, 7, v117
	v_lshlrev_b32_e32 v116, 16, v116
	v_lshl_add_u32 v97, v97, 23, 0x3b800000
	s_delay_alu instid0(VALU_DEP_2) | instskip(NEXT) | instid1(VALU_DEP_1)
	v_dual_cndmask_b32 v117, v118, v117 :: v_dual_and_b32 v116, 0x80000000, v116
	v_lshlrev_b32_e32 v117, 20, v117
	s_delay_alu instid0(VALU_DEP_1)
	v_or3_b32 v116, v116, v97, v117
.LBB4_4659:                             ;   in Loop: Header=BB4_4278 Depth=2
	s_or_b32 exec_lo, exec_lo, s25
	v_lshrrev_b32_e32 v97, 24, v12
	s_mov_b32 s10, 0
	s_mov_b32 s26, exec_lo
                                        ; implicit-def: $sgpr25
	s_delay_alu instid0(VALU_DEP_1)
	v_cmpx_lt_i16_e32 0x7f, v97
	s_xor_b32 s26, exec_lo, s26
	s_cbranch_execnz .LBB4_4889
; %bb.4660:                             ;   in Loop: Header=BB4_4278 Depth=2
	s_or_saveexec_b32 s26, s26
	v_mov_b32_e32 v117, s25
	s_xor_b32 exec_lo, exec_lo, s26
	s_cbranch_execnz .LBB4_4892
.LBB4_4661:                             ;   in Loop: Header=BB4_4278 Depth=2
	s_or_b32 exec_lo, exec_lo, s26
	s_and_saveexec_b32 s25, s10
	s_cbranch_execz .LBB4_4663
.LBB4_4662:                             ;   in Loop: Header=BB4_4278 Depth=2
	v_bfe_u32 v117, v12, 24, 3
	s_delay_alu instid0(VALU_DEP_1) | instskip(NEXT) | instid1(VALU_DEP_1)
	v_clz_i32_u32_e32 v118, v117
	v_min_u32_e32 v118, 32, v118
	s_delay_alu instid0(VALU_DEP_1) | instskip(SKIP_1) | instid1(VALU_DEP_2)
	v_subrev_nc_u32_e32 v119, 28, v118
	v_sub_nc_u32_e32 v118, 29, v118
	v_lshlrev_b32_e32 v97, v119, v97
	v_bfe_u32 v119, v12, 27, 4
	v_and_b32_e32 v12, 0x80000000, v12
	s_delay_alu instid0(VALU_DEP_2) | instskip(NEXT) | instid1(VALU_DEP_4)
	v_cmp_eq_u32_e32 vcc_lo, 0, v119
	v_dual_cndmask_b32 v118, v119, v118 :: v_dual_and_b32 v97, 7, v97
	s_delay_alu instid0(VALU_DEP_1) | instskip(NEXT) | instid1(VALU_DEP_2)
	v_cndmask_b32_e32 v97, v117, v97, vcc_lo
	v_lshl_add_u32 v117, v118, 23, 0x3b800000
	s_delay_alu instid0(VALU_DEP_2) | instskip(NEXT) | instid1(VALU_DEP_1)
	v_lshlrev_b32_e32 v97, 20, v97
	v_or3_b32 v117, v12, v117, v97
.LBB4_4663:                             ;   in Loop: Header=BB4_4278 Depth=2
	s_or_b32 exec_lo, exec_lo, s25
	s_delay_alu instid0(VALU_DEP_1) | instskip(NEXT) | instid1(VALU_DEP_1)
	v_add_f32_e32 v97, v116, v117
	v_and_b32_e32 v12, 0x7f800000, v97
	s_delay_alu instid0(VALU_DEP_1)
	v_cmp_ne_u32_e32 vcc_lo, 0x7f800000, v12
	v_mov_b32_e32 v12, 0x80
	s_and_saveexec_b32 s25, vcc_lo
	s_cbranch_execz .LBB4_4671
; %bb.4664:                             ;   in Loop: Header=BB4_4278 Depth=2
	v_mov_b32_e32 v12, 0
	s_mov_b32 s26, exec_lo
	v_cmpx_ne_u32_e32 0, v97
	s_cbranch_execz .LBB4_4670
; %bb.4665:                             ;   in Loop: Header=BB4_4278 Depth=2
	v_bfe_u32 v12, v97, 23, 8
	v_and_b32_e32 v116, 0x7fffff, v97
	s_delay_alu instid0(VALU_DEP_2) | instskip(SKIP_1) | instid1(VALU_DEP_3)
	v_sub_nc_u32_e32 v117, 0x78, v12
	v_cmp_gt_u32_e32 vcc_lo, 0x79, v12
	v_or_b32_e32 v118, 0x800000, v116
	s_delay_alu instid0(VALU_DEP_3) | instskip(SKIP_2) | instid1(VALU_DEP_4)
	v_cndmask_b32_e32 v117, 0, v117, vcc_lo
	v_cmp_eq_u32_e32 vcc_lo, 0, v12
	v_add_nc_u32_e32 v12, 0xffffff89, v12
	v_cndmask_b32_e32 v116, v118, v116, vcc_lo
	s_delay_alu instid0(VALU_DEP_4) | instskip(NEXT) | instid1(VALU_DEP_3)
	v_cndmask_b32_e64 v117, v117, 0x77, vcc_lo
	v_cndmask_b32_e64 v12, v12, 0xffffff8a, vcc_lo
	s_delay_alu instid0(VALU_DEP_2) | instskip(SKIP_2) | instid1(VALU_DEP_4)
	v_lshrrev_b32_e32 v119, v117, v116
	v_lshl_add_u32 v118, 0x100000, v117, -1
	v_lshlrev_b32_e64 v129, v117, 0x80000
	v_add_nc_u32_e32 v117, v117, v12
	s_delay_alu instid0(VALU_DEP_4) | instskip(NEXT) | instid1(VALU_DEP_4)
	v_bfe_u32 v128, v119, 20, 1
	v_and_b32_e32 v116, v118, v116
	s_delay_alu instid0(VALU_DEP_2) | instskip(NEXT) | instid1(VALU_DEP_2)
	v_add_nc_u32_e32 v118, -1, v128
	v_cmp_eq_u32_e64 s10, v116, v129
	s_delay_alu instid0(VALU_DEP_1) | instskip(SKIP_2) | instid1(VALU_DEP_2)
	v_cndmask_b32_e64 v116, 0, v118, s10
	v_lshrrev_b32_e32 v118, 23, v119
	s_mov_b32 s10, exec_lo
	v_add_nc_u32_e32 v116, v116, v119
	s_delay_alu instid0(VALU_DEP_2) | instskip(NEXT) | instid1(VALU_DEP_2)
	v_xor_b32_e32 v118, 1, v118
	v_and_b32_e32 v12, 0xfffff, v116
	s_delay_alu instid0(VALU_DEP_1) | instskip(NEXT) | instid1(VALU_DEP_3)
	v_add_nc_u32_e32 v116, v12, v119
                                        ; implicit-def: $vgpr12
	v_cmpx_ne_u32_e64 v117, v118
	s_xor_b32 s10, exec_lo, s10
; %bb.4666:                             ;   in Loop: Header=BB4_4278 Depth=2
	s_delay_alu instid0(VALU_DEP_2) | instskip(SKIP_2) | instid1(VALU_DEP_2)
	v_cmp_lt_u32_e32 vcc_lo, 0xffffff, v116
	v_sub_nc_u32_e32 v12, v117, v118
	v_cndmask_b32_e64 v117, 0, 1, vcc_lo
	v_add_co_ci_u32_e32 v12, vcc_lo, 0, v12, vcc_lo
	s_delay_alu instid0(VALU_DEP_2)
	v_lshrrev_b32_e32 v116, v117, v116
; %bb.4667:                             ;   in Loop: Header=BB4_4278 Depth=2
	s_and_not1_saveexec_b32 s10, s10
; %bb.4668:                             ;   in Loop: Header=BB4_4278 Depth=2
	s_delay_alu instid0(VALU_DEP_1)
	v_bfe_u32 v12, v116, 23, 1
; %bb.4669:                             ;   in Loop: Header=BB4_4278 Depth=2
	s_or_b32 exec_lo, exec_lo, s10
	v_lshrrev_b32_e32 v116, 20, v116
	s_delay_alu instid0(VALU_DEP_2) | instskip(SKIP_2) | instid1(VALU_DEP_2)
	v_cmp_gt_i32_e32 vcc_lo, 16, v12
	v_lshrrev_b32_e32 v97, 24, v97
	v_min_i32_e32 v117, 15, v12
	v_dual_cndmask_b32 v116, 7, v116 :: v_dual_and_b32 v97, 0x80, v97
	s_delay_alu instid0(VALU_DEP_2) | instskip(NEXT) | instid1(VALU_DEP_2)
	v_lshlrev_b32_e32 v117, 3, v117
	v_and_b32_e32 v118, 7, v116
	v_or_b32_e32 v12, v12, v116
	s_delay_alu instid0(VALU_DEP_2) | instskip(NEXT) | instid1(VALU_DEP_2)
	v_or3_b32 v97, v117, v97, v118
	v_cmp_ne_u32_e32 vcc_lo, 0, v12
	s_delay_alu instid0(VALU_DEP_2)
	v_cndmask_b32_e32 v12, 0, v97, vcc_lo
.LBB4_4670:                             ;   in Loop: Header=BB4_4278 Depth=2
	s_or_b32 exec_lo, exec_lo, s26
.LBB4_4671:                             ;   in Loop: Header=BB4_4278 Depth=2
	s_delay_alu instid0(SALU_CYCLE_1) | instskip(SKIP_3) | instid1(VALU_DEP_1)
	s_or_b32 exec_lo, exec_lo, s25
	v_or_b32_e32 v97, v102, v96
	s_mov_b32 s10, 0
	s_mov_b32 s26, exec_lo
                                        ; implicit-def: $sgpr25
	v_and_b32_e32 v102, 0xff, v97
	s_delay_alu instid0(VALU_DEP_1)
	v_cmpx_lt_i16_e32 0x7f, v102
	s_xor_b32 s26, exec_lo, s26
	s_cbranch_execnz .LBB4_4893
; %bb.4672:                             ;   in Loop: Header=BB4_4278 Depth=2
	s_or_saveexec_b32 s26, s26
	v_mov_b32_e32 v96, s25
	s_xor_b32 exec_lo, exec_lo, s26
	s_cbranch_execnz .LBB4_4896
.LBB4_4673:                             ;   in Loop: Header=BB4_4278 Depth=2
	s_or_b32 exec_lo, exec_lo, s26
	s_and_saveexec_b32 s25, s10
	s_cbranch_execz .LBB4_4675
.LBB4_4674:                             ;   in Loop: Header=BB4_4278 Depth=2
	v_and_b32_e32 v96, 7, v97
	v_bfe_u32 v117, v97, 3, 4
	v_lshlrev_b32_e32 v118, 24, v97
	s_delay_alu instid0(VALU_DEP_3) | instskip(NEXT) | instid1(VALU_DEP_3)
	v_clz_i32_u32_e32 v102, v96
	v_cmp_eq_u32_e32 vcc_lo, 0, v117
	s_delay_alu instid0(VALU_DEP_2) | instskip(NEXT) | instid1(VALU_DEP_1)
	v_min_u32_e32 v102, 32, v102
	v_subrev_nc_u32_e32 v116, 28, v102
	v_sub_nc_u32_e32 v102, 29, v102
	s_delay_alu instid0(VALU_DEP_2) | instskip(NEXT) | instid1(VALU_DEP_2)
	v_lshlrev_b32_e32 v116, v116, v97
	v_cndmask_b32_e32 v102, v117, v102, vcc_lo
	s_delay_alu instid0(VALU_DEP_2) | instskip(NEXT) | instid1(VALU_DEP_2)
	v_and_b32_e32 v116, 7, v116
	v_lshl_add_u32 v102, v102, 23, 0x3b800000
	s_delay_alu instid0(VALU_DEP_2) | instskip(SKIP_1) | instid1(VALU_DEP_2)
	v_cndmask_b32_e32 v96, v96, v116, vcc_lo
	v_and_b32_e32 v116, 0x80000000, v118
	v_lshlrev_b32_e32 v96, 20, v96
	s_delay_alu instid0(VALU_DEP_1)
	v_or3_b32 v96, v116, v102, v96
.LBB4_4675:                             ;   in Loop: Header=BB4_4278 Depth=2
	s_or_b32 exec_lo, exec_lo, s25
	v_and_b32_e32 v116, 0xff, v13
	s_mov_b32 s10, 0
	s_mov_b32 s26, exec_lo
                                        ; implicit-def: $sgpr25
	s_delay_alu instid0(VALU_DEP_1)
	v_cmpx_lt_i16_e32 0x7f, v116
	s_xor_b32 s26, exec_lo, s26
	s_cbranch_execnz .LBB4_4897
; %bb.4676:                             ;   in Loop: Header=BB4_4278 Depth=2
	s_or_saveexec_b32 s26, s26
	v_mov_b32_e32 v102, s25
	s_xor_b32 exec_lo, exec_lo, s26
	s_cbranch_execnz .LBB4_4900
.LBB4_4677:                             ;   in Loop: Header=BB4_4278 Depth=2
	s_or_b32 exec_lo, exec_lo, s26
	s_and_saveexec_b32 s25, s10
	s_cbranch_execz .LBB4_4679
.LBB4_4678:                             ;   in Loop: Header=BB4_4278 Depth=2
	v_and_b32_e32 v102, 7, v13
	v_bfe_u32 v118, v13, 3, 4
	v_lshlrev_b32_e32 v119, 24, v13
	s_delay_alu instid0(VALU_DEP_3) | instskip(NEXT) | instid1(VALU_DEP_3)
	v_clz_i32_u32_e32 v116, v102
	v_cmp_eq_u32_e32 vcc_lo, 0, v118
	s_delay_alu instid0(VALU_DEP_2) | instskip(NEXT) | instid1(VALU_DEP_1)
	v_min_u32_e32 v116, 32, v116
	v_subrev_nc_u32_e32 v117, 28, v116
	v_sub_nc_u32_e32 v116, 29, v116
	s_delay_alu instid0(VALU_DEP_1) | instskip(NEXT) | instid1(VALU_DEP_1)
	v_dual_cndmask_b32 v116, v118, v116 :: v_dual_lshlrev_b32 v117, v117, v13
	v_and_b32_e32 v117, 7, v117
	s_delay_alu instid0(VALU_DEP_2) | instskip(NEXT) | instid1(VALU_DEP_2)
	v_lshl_add_u32 v116, v116, 23, 0x3b800000
	v_dual_cndmask_b32 v102, v102, v117 :: v_dual_and_b32 v117, 0x80000000, v119
	s_delay_alu instid0(VALU_DEP_1) | instskip(NEXT) | instid1(VALU_DEP_1)
	v_lshlrev_b32_e32 v102, 20, v102
	v_or3_b32 v102, v117, v116, v102
.LBB4_4679:                             ;   in Loop: Header=BB4_4278 Depth=2
	s_or_b32 exec_lo, exec_lo, s25
	s_delay_alu instid0(VALU_DEP_1) | instskip(NEXT) | instid1(VALU_DEP_1)
	v_add_f32_e32 v102, v96, v102
	v_and_b32_e32 v96, 0x7f800000, v102
	s_delay_alu instid0(VALU_DEP_1)
	v_cmp_ne_u32_e32 vcc_lo, 0x7f800000, v96
	v_mov_b32_e32 v96, 0x80
	s_and_saveexec_b32 s25, vcc_lo
	s_cbranch_execz .LBB4_4687
; %bb.4680:                             ;   in Loop: Header=BB4_4278 Depth=2
	v_mov_b32_e32 v96, 0
	s_mov_b32 s26, exec_lo
	v_cmpx_ne_u32_e32 0, v102
	s_cbranch_execz .LBB4_4686
; %bb.4681:                             ;   in Loop: Header=BB4_4278 Depth=2
	v_bfe_u32 v96, v102, 23, 8
	s_delay_alu instid0(VALU_DEP_1) | instskip(SKIP_1) | instid1(VALU_DEP_2)
	v_sub_nc_u32_e32 v117, 0x78, v96
	v_cmp_gt_u32_e32 vcc_lo, 0x79, v96
	v_dual_cndmask_b32 v117, 0, v117 :: v_dual_and_b32 v116, 0x7fffff, v102
	s_delay_alu instid0(VALU_DEP_1) | instskip(SKIP_2) | instid1(VALU_DEP_4)
	v_or_b32_e32 v118, 0x800000, v116
	v_cmp_eq_u32_e32 vcc_lo, 0, v96
	v_add_nc_u32_e32 v96, 0xffffff89, v96
	v_cndmask_b32_e64 v117, v117, 0x77, vcc_lo
	s_delay_alu instid0(VALU_DEP_4) | instskip(NEXT) | instid1(VALU_DEP_3)
	v_cndmask_b32_e32 v116, v118, v116, vcc_lo
	v_cndmask_b32_e64 v96, v96, 0xffffff8a, vcc_lo
	s_delay_alu instid0(VALU_DEP_3) | instskip(NEXT) | instid1(VALU_DEP_3)
	v_lshl_add_u32 v118, 0x100000, v117, -1
	v_lshrrev_b32_e32 v119, v117, v116
	v_lshlrev_b32_e64 v129, v117, 0x80000
	s_delay_alu instid0(VALU_DEP_4) | instskip(NEXT) | instid1(VALU_DEP_4)
	v_add_nc_u32_e32 v117, v117, v96
	v_and_b32_e32 v116, v118, v116
	s_delay_alu instid0(VALU_DEP_4) | instskip(NEXT) | instid1(VALU_DEP_2)
	v_bfe_u32 v128, v119, 20, 1
	v_cmp_eq_u32_e64 s10, v116, v129
	s_delay_alu instid0(VALU_DEP_2) | instskip(NEXT) | instid1(VALU_DEP_1)
	v_add_nc_u32_e32 v118, -1, v128
	v_cndmask_b32_e64 v116, 0, v118, s10
	v_lshrrev_b32_e32 v118, 23, v119
	s_mov_b32 s10, exec_lo
	s_delay_alu instid0(VALU_DEP_2) | instskip(NEXT) | instid1(VALU_DEP_2)
	v_add_nc_u32_e32 v116, v116, v119
	v_xor_b32_e32 v118, 1, v118
	s_delay_alu instid0(VALU_DEP_2) | instskip(NEXT) | instid1(VALU_DEP_1)
	v_and_b32_e32 v96, 0xfffff, v116
	v_add_nc_u32_e32 v116, v96, v119
                                        ; implicit-def: $vgpr96
	s_delay_alu instid0(VALU_DEP_3)
	v_cmpx_ne_u32_e64 v117, v118
	s_xor_b32 s10, exec_lo, s10
; %bb.4682:                             ;   in Loop: Header=BB4_4278 Depth=2
	s_delay_alu instid0(VALU_DEP_2) | instskip(SKIP_2) | instid1(VALU_DEP_2)
	v_cmp_lt_u32_e32 vcc_lo, 0xffffff, v116
	v_sub_nc_u32_e32 v96, v117, v118
	v_cndmask_b32_e64 v117, 0, 1, vcc_lo
	v_add_co_ci_u32_e32 v96, vcc_lo, 0, v96, vcc_lo
	s_delay_alu instid0(VALU_DEP_2)
	v_lshrrev_b32_e32 v116, v117, v116
; %bb.4683:                             ;   in Loop: Header=BB4_4278 Depth=2
	s_and_not1_saveexec_b32 s10, s10
; %bb.4684:                             ;   in Loop: Header=BB4_4278 Depth=2
	s_delay_alu instid0(VALU_DEP_1)
	v_bfe_u32 v96, v116, 23, 1
; %bb.4685:                             ;   in Loop: Header=BB4_4278 Depth=2
	s_or_b32 exec_lo, exec_lo, s10
	v_lshrrev_b32_e32 v116, 20, v116
	s_delay_alu instid0(VALU_DEP_2) | instskip(SKIP_2) | instid1(VALU_DEP_4)
	v_cmp_gt_i32_e32 vcc_lo, 16, v96
	v_lshrrev_b32_e32 v102, 24, v102
	v_min_i32_e32 v117, 15, v96
	v_cndmask_b32_e32 v116, 7, v116, vcc_lo
	s_delay_alu instid0(VALU_DEP_3) | instskip(NEXT) | instid1(VALU_DEP_3)
	v_and_b32_e32 v102, 0x80, v102
	v_lshlrev_b32_e32 v117, 3, v117
	s_delay_alu instid0(VALU_DEP_3) | instskip(SKIP_1) | instid1(VALU_DEP_2)
	v_and_b32_e32 v118, 7, v116
	v_or_b32_e32 v96, v96, v116
	v_or3_b32 v102, v117, v102, v118
	s_delay_alu instid0(VALU_DEP_2) | instskip(NEXT) | instid1(VALU_DEP_2)
	v_cmp_ne_u32_e32 vcc_lo, 0, v96
	v_cndmask_b32_e32 v96, 0, v102, vcc_lo
.LBB4_4686:                             ;   in Loop: Header=BB4_4278 Depth=2
	s_or_b32 exec_lo, exec_lo, s26
.LBB4_4687:                             ;   in Loop: Header=BB4_4278 Depth=2
	s_delay_alu instid0(SALU_CYCLE_1) | instskip(SKIP_3) | instid1(VALU_DEP_1)
	s_or_b32 exec_lo, exec_lo, s25
	v_lshrrev_b16 v116, 8, v97
	s_mov_b32 s10, 0
	s_mov_b32 s26, exec_lo
                                        ; implicit-def: $sgpr25
	v_cmpx_lt_i16_e32 0x7f, v116
	s_xor_b32 s26, exec_lo, s26
	s_cbranch_execnz .LBB4_4901
; %bb.4688:                             ;   in Loop: Header=BB4_4278 Depth=2
	s_or_saveexec_b32 s26, s26
	v_mov_b32_e32 v102, s25
	s_xor_b32 exec_lo, exec_lo, s26
	s_cbranch_execnz .LBB4_4904
.LBB4_4689:                             ;   in Loop: Header=BB4_4278 Depth=2
	s_or_b32 exec_lo, exec_lo, s26
	s_and_saveexec_b32 s25, s10
	s_cbranch_execz .LBB4_4691
.LBB4_4690:                             ;   in Loop: Header=BB4_4278 Depth=2
	v_and_b32_e32 v102, 0xffff, v116
	v_lshlrev_b32_e32 v116, 24, v116
	s_delay_alu instid0(VALU_DEP_2) | instskip(NEXT) | instid1(VALU_DEP_2)
	v_and_b32_e32 v117, 7, v102
	v_and_b32_e32 v116, 0x80000000, v116
	s_delay_alu instid0(VALU_DEP_2) | instskip(NEXT) | instid1(VALU_DEP_1)
	v_clz_i32_u32_e32 v118, v117
	v_min_u32_e32 v118, 32, v118
	s_delay_alu instid0(VALU_DEP_1) | instskip(SKIP_1) | instid1(VALU_DEP_2)
	v_subrev_nc_u32_e32 v119, 28, v118
	v_sub_nc_u32_e32 v118, 29, v118
	v_lshlrev_b32_e32 v119, v119, v102
	v_bfe_u32 v102, v102, 3, 4
	s_delay_alu instid0(VALU_DEP_1) | instskip(NEXT) | instid1(VALU_DEP_3)
	v_cmp_eq_u32_e32 vcc_lo, 0, v102
	v_dual_cndmask_b32 v102, v102, v118 :: v_dual_and_b32 v119, 7, v119
	s_delay_alu instid0(VALU_DEP_1) | instskip(NEXT) | instid1(VALU_DEP_2)
	v_cndmask_b32_e32 v117, v117, v119, vcc_lo
	v_lshl_add_u32 v102, v102, 23, 0x3b800000
	s_delay_alu instid0(VALU_DEP_2) | instskip(NEXT) | instid1(VALU_DEP_1)
	v_lshlrev_b32_e32 v117, 20, v117
	v_or3_b32 v102, v116, v102, v117
.LBB4_4691:                             ;   in Loop: Header=BB4_4278 Depth=2
	s_or_b32 exec_lo, exec_lo, s25
	v_lshrrev_b16 v116, 8, v13
	s_mov_b32 s10, 0
	s_mov_b32 s26, exec_lo
                                        ; implicit-def: $sgpr25
	s_delay_alu instid0(VALU_DEP_1)
	v_cmpx_lt_i16_e32 0x7f, v116
	s_xor_b32 s26, exec_lo, s26
	s_cbranch_execnz .LBB4_4905
; %bb.4692:                             ;   in Loop: Header=BB4_4278 Depth=2
	s_or_saveexec_b32 s26, s26
	v_mov_b32_e32 v117, s25
	s_xor_b32 exec_lo, exec_lo, s26
	s_cbranch_execnz .LBB4_4908
.LBB4_4693:                             ;   in Loop: Header=BB4_4278 Depth=2
	s_or_b32 exec_lo, exec_lo, s26
	s_and_saveexec_b32 s25, s10
	s_cbranch_execz .LBB4_4695
.LBB4_4694:                             ;   in Loop: Header=BB4_4278 Depth=2
	v_and_b32_e32 v117, 0xffff, v116
	v_lshlrev_b32_e32 v116, 24, v116
	s_delay_alu instid0(VALU_DEP_2) | instskip(NEXT) | instid1(VALU_DEP_2)
	v_and_b32_e32 v118, 7, v117
	v_and_b32_e32 v116, 0x80000000, v116
	s_delay_alu instid0(VALU_DEP_2) | instskip(NEXT) | instid1(VALU_DEP_1)
	v_clz_i32_u32_e32 v119, v118
	v_min_u32_e32 v119, 32, v119
	s_delay_alu instid0(VALU_DEP_1) | instskip(SKIP_1) | instid1(VALU_DEP_2)
	v_subrev_nc_u32_e32 v128, 28, v119
	v_sub_nc_u32_e32 v119, 29, v119
	v_lshlrev_b32_e32 v128, v128, v117
	v_bfe_u32 v117, v117, 3, 4
	s_delay_alu instid0(VALU_DEP_2) | instskip(NEXT) | instid1(VALU_DEP_2)
	v_and_b32_e32 v128, 7, v128
	v_cmp_eq_u32_e32 vcc_lo, 0, v117
	s_delay_alu instid0(VALU_DEP_2) | instskip(NEXT) | instid1(VALU_DEP_1)
	v_dual_cndmask_b32 v117, v117, v119 :: v_dual_cndmask_b32 v118, v118, v128
	v_lshl_add_u32 v117, v117, 23, 0x3b800000
	s_delay_alu instid0(VALU_DEP_2) | instskip(NEXT) | instid1(VALU_DEP_1)
	v_lshlrev_b32_e32 v118, 20, v118
	v_or3_b32 v117, v116, v117, v118
.LBB4_4695:                             ;   in Loop: Header=BB4_4278 Depth=2
	s_or_b32 exec_lo, exec_lo, s25
	s_delay_alu instid0(VALU_DEP_1) | instskip(NEXT) | instid1(VALU_DEP_1)
	v_add_f32_e32 v116, v102, v117
	v_and_b32_e32 v102, 0x7f800000, v116
	s_delay_alu instid0(VALU_DEP_1)
	v_cmp_ne_u32_e32 vcc_lo, 0x7f800000, v102
	v_mov_b32_e32 v102, 0x8000
	s_and_saveexec_b32 s25, vcc_lo
	s_cbranch_execz .LBB4_4703
; %bb.4696:                             ;   in Loop: Header=BB4_4278 Depth=2
	v_mov_b32_e32 v102, 0
	s_mov_b32 s26, exec_lo
	v_cmpx_ne_u32_e32 0, v116
	s_cbranch_execz .LBB4_4702
; %bb.4697:                             ;   in Loop: Header=BB4_4278 Depth=2
	v_bfe_u32 v102, v116, 23, 8
	s_delay_alu instid0(VALU_DEP_1) | instskip(SKIP_1) | instid1(VALU_DEP_2)
	v_sub_nc_u32_e32 v118, 0x78, v102
	v_cmp_gt_u32_e32 vcc_lo, 0x79, v102
	v_dual_cndmask_b32 v118, 0, v118 :: v_dual_and_b32 v117, 0x7fffff, v116
	s_delay_alu instid0(VALU_DEP_1) | instskip(SKIP_2) | instid1(VALU_DEP_4)
	v_or_b32_e32 v119, 0x800000, v117
	v_cmp_eq_u32_e32 vcc_lo, 0, v102
	v_add_nc_u32_e32 v102, 0xffffff89, v102
	v_cndmask_b32_e64 v118, v118, 0x77, vcc_lo
	s_delay_alu instid0(VALU_DEP_4) | instskip(NEXT) | instid1(VALU_DEP_3)
	v_cndmask_b32_e32 v117, v119, v117, vcc_lo
	v_cndmask_b32_e64 v102, v102, 0xffffff8a, vcc_lo
	s_delay_alu instid0(VALU_DEP_3) | instskip(NEXT) | instid1(VALU_DEP_3)
	v_lshl_add_u32 v119, 0x100000, v118, -1
	v_lshrrev_b32_e32 v128, v118, v117
	v_lshlrev_b32_e64 v130, v118, 0x80000
	s_delay_alu instid0(VALU_DEP_4) | instskip(NEXT) | instid1(VALU_DEP_4)
	v_add_nc_u32_e32 v118, v118, v102
	v_and_b32_e32 v117, v119, v117
	s_delay_alu instid0(VALU_DEP_4) | instskip(NEXT) | instid1(VALU_DEP_2)
	v_bfe_u32 v129, v128, 20, 1
	v_cmp_eq_u32_e64 s10, v117, v130
	s_delay_alu instid0(VALU_DEP_2) | instskip(NEXT) | instid1(VALU_DEP_1)
	v_add_nc_u32_e32 v119, -1, v129
	v_cndmask_b32_e64 v117, 0, v119, s10
	v_lshrrev_b32_e32 v119, 23, v128
	s_mov_b32 s10, exec_lo
	s_delay_alu instid0(VALU_DEP_2) | instskip(NEXT) | instid1(VALU_DEP_2)
	v_add_nc_u32_e32 v117, v117, v128
	v_xor_b32_e32 v119, 1, v119
	s_delay_alu instid0(VALU_DEP_2) | instskip(NEXT) | instid1(VALU_DEP_1)
	v_and_b32_e32 v102, 0xfffff, v117
	v_add_nc_u32_e32 v117, v102, v128
                                        ; implicit-def: $vgpr102
	s_delay_alu instid0(VALU_DEP_3)
	v_cmpx_ne_u32_e64 v118, v119
	s_xor_b32 s10, exec_lo, s10
; %bb.4698:                             ;   in Loop: Header=BB4_4278 Depth=2
	s_delay_alu instid0(VALU_DEP_2) | instskip(SKIP_2) | instid1(VALU_DEP_2)
	v_cmp_lt_u32_e32 vcc_lo, 0xffffff, v117
	v_sub_nc_u32_e32 v102, v118, v119
	v_cndmask_b32_e64 v118, 0, 1, vcc_lo
	v_add_co_ci_u32_e32 v102, vcc_lo, 0, v102, vcc_lo
	s_delay_alu instid0(VALU_DEP_2)
	v_lshrrev_b32_e32 v117, v118, v117
; %bb.4699:                             ;   in Loop: Header=BB4_4278 Depth=2
	s_and_not1_saveexec_b32 s10, s10
; %bb.4700:                             ;   in Loop: Header=BB4_4278 Depth=2
	s_delay_alu instid0(VALU_DEP_1)
	v_bfe_u32 v102, v117, 23, 1
; %bb.4701:                             ;   in Loop: Header=BB4_4278 Depth=2
	s_or_b32 exec_lo, exec_lo, s10
	v_lshrrev_b32_e32 v117, 20, v117
	s_delay_alu instid0(VALU_DEP_2) | instskip(SKIP_2) | instid1(VALU_DEP_2)
	v_cmp_gt_i32_e32 vcc_lo, 16, v102
	v_min_i32_e32 v118, 15, v102
	v_lshrrev_b32_e32 v116, 24, v116
	v_dual_cndmask_b32 v117, 7, v117 :: v_dual_lshlrev_b32 v118, 3, v118
	s_delay_alu instid0(VALU_DEP_2) | instskip(NEXT) | instid1(VALU_DEP_2)
	v_and_b32_e32 v116, 0x80, v116
	v_or_b32_e32 v102, v102, v117
	s_delay_alu instid0(VALU_DEP_3) | instskip(NEXT) | instid1(VALU_DEP_2)
	v_and_b32_e32 v118, 0xf8, v118
	v_cmp_ne_u32_e32 vcc_lo, 0, v102
	v_and_b32_e32 v119, 7, v117
	s_delay_alu instid0(VALU_DEP_1) | instskip(NEXT) | instid1(VALU_DEP_1)
	v_or3_b32 v116, v116, v118, v119
	v_lshlrev_b32_e32 v116, 8, v116
	s_delay_alu instid0(VALU_DEP_1)
	v_cndmask_b32_e32 v102, 0, v116, vcc_lo
.LBB4_4702:                             ;   in Loop: Header=BB4_4278 Depth=2
	s_or_b32 exec_lo, exec_lo, s26
.LBB4_4703:                             ;   in Loop: Header=BB4_4278 Depth=2
	s_delay_alu instid0(SALU_CYCLE_1) | instskip(SKIP_3) | instid1(VALU_DEP_1)
	s_or_b32 exec_lo, exec_lo, s25
	v_or_b32_e32 v99, v99, v87
	s_mov_b32 s10, 0
	s_mov_b32 s26, exec_lo
                                        ; implicit-def: $sgpr25
	v_and_b32_e32 v116, 0xff, v99
	s_delay_alu instid0(VALU_DEP_1)
	v_cmpx_lt_i16_e32 0x7f, v116
	s_xor_b32 s26, exec_lo, s26
	s_cbranch_execnz .LBB4_4909
; %bb.4704:                             ;   in Loop: Header=BB4_4278 Depth=2
	s_or_saveexec_b32 s26, s26
	v_mov_b32_e32 v87, s25
	s_xor_b32 exec_lo, exec_lo, s26
	s_cbranch_execnz .LBB4_4912
.LBB4_4705:                             ;   in Loop: Header=BB4_4278 Depth=2
	s_or_b32 exec_lo, exec_lo, s26
	v_lshl_or_b32 v97, v99, 16, v97
	s_and_saveexec_b32 s25, s10
	s_cbranch_execz .LBB4_4707
.LBB4_4706:                             ;   in Loop: Header=BB4_4278 Depth=2
	s_delay_alu instid0(VALU_DEP_1) | instskip(SKIP_1) | instid1(VALU_DEP_2)
	v_bfe_u32 v87, v97, 16, 3
	v_lshrrev_b32_e32 v116, 16, v97
	v_clz_i32_u32_e32 v99, v87
	s_delay_alu instid0(VALU_DEP_1) | instskip(NEXT) | instid1(VALU_DEP_1)
	v_min_u32_e32 v99, 32, v99
	v_subrev_nc_u32_e32 v117, 28, v99
	v_sub_nc_u32_e32 v99, 29, v99
	s_delay_alu instid0(VALU_DEP_2) | instskip(SKIP_1) | instid1(VALU_DEP_1)
	v_lshlrev_b32_e32 v116, v117, v116
	v_bfe_u32 v117, v97, 19, 4
	v_cmp_eq_u32_e32 vcc_lo, 0, v117
	s_delay_alu instid0(VALU_DEP_3) | instskip(NEXT) | instid1(VALU_DEP_1)
	v_dual_cndmask_b32 v99, v117, v99 :: v_dual_and_b32 v116, 7, v116
	v_dual_cndmask_b32 v87, v87, v116 :: v_dual_lshlrev_b32 v118, 8, v97
	s_delay_alu instid0(VALU_DEP_2) | instskip(NEXT) | instid1(VALU_DEP_2)
	v_lshl_add_u32 v99, v99, 23, 0x3b800000
	v_and_b32_e32 v116, 0x80000000, v118
	s_delay_alu instid0(VALU_DEP_3) | instskip(NEXT) | instid1(VALU_DEP_1)
	v_lshlrev_b32_e32 v87, 20, v87
	v_or3_b32 v87, v116, v99, v87
.LBB4_4707:                             ;   in Loop: Header=BB4_4278 Depth=2
	s_or_b32 exec_lo, exec_lo, s25
	v_lshrrev_b32_e32 v99, 16, v13
	s_mov_b32 s10, 0
	s_mov_b32 s26, exec_lo
                                        ; implicit-def: $sgpr25
	s_delay_alu instid0(VALU_DEP_1) | instskip(NEXT) | instid1(VALU_DEP_1)
	v_and_b32_e32 v117, 0xff, v99
	v_cmpx_lt_i16_e32 0x7f, v117
	s_xor_b32 s26, exec_lo, s26
	s_cbranch_execnz .LBB4_4913
; %bb.4708:                             ;   in Loop: Header=BB4_4278 Depth=2
	s_or_saveexec_b32 s26, s26
	v_mov_b32_e32 v116, s25
	s_xor_b32 exec_lo, exec_lo, s26
	s_cbranch_execnz .LBB4_4916
.LBB4_4709:                             ;   in Loop: Header=BB4_4278 Depth=2
	s_or_b32 exec_lo, exec_lo, s26
	s_and_saveexec_b32 s25, s10
	s_cbranch_execz .LBB4_4711
.LBB4_4710:                             ;   in Loop: Header=BB4_4278 Depth=2
	v_bfe_u32 v116, v13, 16, 3
	v_lshlrev_b32_e32 v119, 8, v13
	s_delay_alu instid0(VALU_DEP_2) | instskip(NEXT) | instid1(VALU_DEP_1)
	v_clz_i32_u32_e32 v117, v116
	v_min_u32_e32 v117, 32, v117
	s_delay_alu instid0(VALU_DEP_1) | instskip(SKIP_1) | instid1(VALU_DEP_2)
	v_subrev_nc_u32_e32 v118, 28, v117
	v_sub_nc_u32_e32 v117, 29, v117
	v_lshlrev_b32_e32 v99, v118, v99
	v_bfe_u32 v118, v13, 19, 4
	s_delay_alu instid0(VALU_DEP_2) | instskip(NEXT) | instid1(VALU_DEP_2)
	v_and_b32_e32 v99, 7, v99
	v_cmp_eq_u32_e32 vcc_lo, 0, v118
	v_cndmask_b32_e32 v117, v118, v117, vcc_lo
	s_delay_alu instid0(VALU_DEP_3) | instskip(SKIP_1) | instid1(VALU_DEP_3)
	v_cndmask_b32_e32 v99, v116, v99, vcc_lo
	v_and_b32_e32 v116, 0x80000000, v119
	v_lshl_add_u32 v117, v117, 23, 0x3b800000
	s_delay_alu instid0(VALU_DEP_3) | instskip(NEXT) | instid1(VALU_DEP_1)
	v_lshlrev_b32_e32 v99, 20, v99
	v_or3_b32 v116, v116, v117, v99
.LBB4_4711:                             ;   in Loop: Header=BB4_4278 Depth=2
	s_or_b32 exec_lo, exec_lo, s25
	s_delay_alu instid0(VALU_DEP_1) | instskip(NEXT) | instid1(VALU_DEP_1)
	v_add_f32_e32 v99, v87, v116
	v_and_b32_e32 v87, 0x7f800000, v99
	s_delay_alu instid0(VALU_DEP_1)
	v_cmp_ne_u32_e32 vcc_lo, 0x7f800000, v87
	v_mov_b32_e32 v87, 0x80
	s_and_saveexec_b32 s25, vcc_lo
	s_cbranch_execz .LBB4_4719
; %bb.4712:                             ;   in Loop: Header=BB4_4278 Depth=2
	v_mov_b32_e32 v87, 0
	s_mov_b32 s26, exec_lo
	v_cmpx_ne_u32_e32 0, v99
	s_cbranch_execz .LBB4_4718
; %bb.4713:                             ;   in Loop: Header=BB4_4278 Depth=2
	v_bfe_u32 v87, v99, 23, 8
	s_delay_alu instid0(VALU_DEP_1) | instskip(SKIP_1) | instid1(VALU_DEP_2)
	v_sub_nc_u32_e32 v117, 0x78, v87
	v_cmp_gt_u32_e32 vcc_lo, 0x79, v87
	v_dual_cndmask_b32 v117, 0, v117 :: v_dual_and_b32 v116, 0x7fffff, v99
	s_delay_alu instid0(VALU_DEP_1) | instskip(SKIP_2) | instid1(VALU_DEP_4)
	v_or_b32_e32 v118, 0x800000, v116
	v_cmp_eq_u32_e32 vcc_lo, 0, v87
	v_add_nc_u32_e32 v87, 0xffffff89, v87
	v_cndmask_b32_e64 v117, v117, 0x77, vcc_lo
	s_delay_alu instid0(VALU_DEP_4) | instskip(NEXT) | instid1(VALU_DEP_3)
	v_cndmask_b32_e32 v116, v118, v116, vcc_lo
	v_cndmask_b32_e64 v87, v87, 0xffffff8a, vcc_lo
	s_delay_alu instid0(VALU_DEP_3) | instskip(NEXT) | instid1(VALU_DEP_3)
	v_lshl_add_u32 v118, 0x100000, v117, -1
	v_lshrrev_b32_e32 v119, v117, v116
	v_lshlrev_b32_e64 v129, v117, 0x80000
	s_delay_alu instid0(VALU_DEP_4) | instskip(NEXT) | instid1(VALU_DEP_4)
	v_add_nc_u32_e32 v117, v117, v87
	v_and_b32_e32 v116, v118, v116
	s_delay_alu instid0(VALU_DEP_4) | instskip(NEXT) | instid1(VALU_DEP_2)
	v_bfe_u32 v128, v119, 20, 1
	v_cmp_eq_u32_e64 s10, v116, v129
	s_delay_alu instid0(VALU_DEP_2) | instskip(NEXT) | instid1(VALU_DEP_1)
	v_add_nc_u32_e32 v118, -1, v128
	v_cndmask_b32_e64 v116, 0, v118, s10
	v_lshrrev_b32_e32 v118, 23, v119
	s_mov_b32 s10, exec_lo
	s_delay_alu instid0(VALU_DEP_2) | instskip(NEXT) | instid1(VALU_DEP_2)
	v_add_nc_u32_e32 v116, v116, v119
	v_xor_b32_e32 v118, 1, v118
	s_delay_alu instid0(VALU_DEP_2) | instskip(NEXT) | instid1(VALU_DEP_1)
	v_and_b32_e32 v87, 0xfffff, v116
	v_add_nc_u32_e32 v116, v87, v119
                                        ; implicit-def: $vgpr87
	s_delay_alu instid0(VALU_DEP_3)
	v_cmpx_ne_u32_e64 v117, v118
	s_xor_b32 s10, exec_lo, s10
; %bb.4714:                             ;   in Loop: Header=BB4_4278 Depth=2
	s_delay_alu instid0(VALU_DEP_2) | instskip(SKIP_2) | instid1(VALU_DEP_2)
	v_cmp_lt_u32_e32 vcc_lo, 0xffffff, v116
	v_sub_nc_u32_e32 v87, v117, v118
	v_cndmask_b32_e64 v117, 0, 1, vcc_lo
	v_add_co_ci_u32_e32 v87, vcc_lo, 0, v87, vcc_lo
	s_delay_alu instid0(VALU_DEP_2)
	v_lshrrev_b32_e32 v116, v117, v116
; %bb.4715:                             ;   in Loop: Header=BB4_4278 Depth=2
	s_and_not1_saveexec_b32 s10, s10
; %bb.4716:                             ;   in Loop: Header=BB4_4278 Depth=2
	s_delay_alu instid0(VALU_DEP_1)
	v_bfe_u32 v87, v116, 23, 1
; %bb.4717:                             ;   in Loop: Header=BB4_4278 Depth=2
	s_or_b32 exec_lo, exec_lo, s10
	v_lshrrev_b32_e32 v116, 20, v116
	s_delay_alu instid0(VALU_DEP_2) | instskip(SKIP_2) | instid1(VALU_DEP_2)
	v_cmp_gt_i32_e32 vcc_lo, 16, v87
	v_min_i32_e32 v117, 15, v87
	v_lshrrev_b32_e32 v99, 24, v99
	v_dual_cndmask_b32 v116, 7, v116 :: v_dual_lshlrev_b32 v117, 3, v117
	s_delay_alu instid0(VALU_DEP_2) | instskip(NEXT) | instid1(VALU_DEP_2)
	v_and_b32_e32 v99, 0x80, v99
	v_or_b32_e32 v87, v87, v116
	s_delay_alu instid0(VALU_DEP_3) | instskip(NEXT) | instid1(VALU_DEP_2)
	v_and_b32_e32 v117, 0xf8, v117
	v_cmp_ne_u32_e32 vcc_lo, 0, v87
	v_and_b32_e32 v118, 7, v116
	s_delay_alu instid0(VALU_DEP_1) | instskip(NEXT) | instid1(VALU_DEP_1)
	v_or3_b32 v99, v117, v99, v118
	v_cndmask_b32_e32 v87, 0, v99, vcc_lo
.LBB4_4718:                             ;   in Loop: Header=BB4_4278 Depth=2
	s_or_b32 exec_lo, exec_lo, s26
.LBB4_4719:                             ;   in Loop: Header=BB4_4278 Depth=2
	s_delay_alu instid0(SALU_CYCLE_1) | instskip(SKIP_3) | instid1(VALU_DEP_1)
	s_or_b32 exec_lo, exec_lo, s25
	v_lshrrev_b32_e32 v116, 24, v97
	s_mov_b32 s10, 0
	s_mov_b32 s26, exec_lo
                                        ; implicit-def: $sgpr25
	v_cmpx_lt_i16_e32 0x7f, v116
	s_xor_b32 s26, exec_lo, s26
	s_cbranch_execnz .LBB4_4917
; %bb.4720:                             ;   in Loop: Header=BB4_4278 Depth=2
	s_or_saveexec_b32 s26, s26
	v_mov_b32_e32 v99, s25
	s_xor_b32 exec_lo, exec_lo, s26
	s_cbranch_execnz .LBB4_4920
.LBB4_4721:                             ;   in Loop: Header=BB4_4278 Depth=2
	s_or_b32 exec_lo, exec_lo, s26
	s_and_saveexec_b32 s25, s10
	s_cbranch_execz .LBB4_4723
.LBB4_4722:                             ;   in Loop: Header=BB4_4278 Depth=2
	v_bfe_u32 v99, v97, 24, 3
	s_delay_alu instid0(VALU_DEP_1) | instskip(NEXT) | instid1(VALU_DEP_1)
	v_clz_i32_u32_e32 v117, v99
	v_min_u32_e32 v117, 32, v117
	s_delay_alu instid0(VALU_DEP_1) | instskip(SKIP_1) | instid1(VALU_DEP_2)
	v_subrev_nc_u32_e32 v118, 28, v117
	v_sub_nc_u32_e32 v117, 29, v117
	v_lshlrev_b32_e32 v116, v118, v116
	v_bfe_u32 v118, v97, 27, 4
	v_and_b32_e32 v97, 0x80000000, v97
	s_delay_alu instid0(VALU_DEP_2) | instskip(NEXT) | instid1(VALU_DEP_4)
	v_cmp_eq_u32_e32 vcc_lo, 0, v118
	v_dual_cndmask_b32 v117, v118, v117 :: v_dual_and_b32 v116, 7, v116
	s_delay_alu instid0(VALU_DEP_1) | instskip(NEXT) | instid1(VALU_DEP_2)
	v_cndmask_b32_e32 v99, v99, v116, vcc_lo
	v_lshl_add_u32 v116, v117, 23, 0x3b800000
	s_delay_alu instid0(VALU_DEP_2) | instskip(NEXT) | instid1(VALU_DEP_1)
	v_lshlrev_b32_e32 v99, 20, v99
	v_or3_b32 v99, v97, v116, v99
.LBB4_4723:                             ;   in Loop: Header=BB4_4278 Depth=2
	s_or_b32 exec_lo, exec_lo, s25
	v_lshrrev_b32_e32 v97, 24, v13
	s_mov_b32 s10, 0
	s_mov_b32 s26, exec_lo
                                        ; implicit-def: $sgpr25
	s_delay_alu instid0(VALU_DEP_1)
	v_cmpx_lt_i16_e32 0x7f, v97
	s_xor_b32 s26, exec_lo, s26
	s_cbranch_execnz .LBB4_4921
; %bb.4724:                             ;   in Loop: Header=BB4_4278 Depth=2
	s_or_saveexec_b32 s26, s26
	v_mov_b32_e32 v116, s25
	s_xor_b32 exec_lo, exec_lo, s26
	s_cbranch_execnz .LBB4_4924
.LBB4_4725:                             ;   in Loop: Header=BB4_4278 Depth=2
	s_or_b32 exec_lo, exec_lo, s26
	s_and_saveexec_b32 s25, s10
	s_cbranch_execz .LBB4_4727
.LBB4_4726:                             ;   in Loop: Header=BB4_4278 Depth=2
	v_bfe_u32 v116, v13, 24, 3
	s_delay_alu instid0(VALU_DEP_1) | instskip(NEXT) | instid1(VALU_DEP_1)
	v_clz_i32_u32_e32 v117, v116
	v_min_u32_e32 v117, 32, v117
	s_delay_alu instid0(VALU_DEP_1) | instskip(SKIP_1) | instid1(VALU_DEP_2)
	v_subrev_nc_u32_e32 v118, 28, v117
	v_sub_nc_u32_e32 v117, 29, v117
	v_lshlrev_b32_e32 v97, v118, v97
	v_bfe_u32 v118, v13, 27, 4
	v_and_b32_e32 v13, 0x80000000, v13
	s_delay_alu instid0(VALU_DEP_3) | instskip(NEXT) | instid1(VALU_DEP_3)
	v_and_b32_e32 v97, 7, v97
	v_cmp_eq_u32_e32 vcc_lo, 0, v118
	v_cndmask_b32_e32 v117, v118, v117, vcc_lo
	s_delay_alu instid0(VALU_DEP_3) | instskip(NEXT) | instid1(VALU_DEP_2)
	v_cndmask_b32_e32 v97, v116, v97, vcc_lo
	v_lshl_add_u32 v116, v117, 23, 0x3b800000
	s_delay_alu instid0(VALU_DEP_2) | instskip(NEXT) | instid1(VALU_DEP_1)
	v_lshlrev_b32_e32 v97, 20, v97
	v_or3_b32 v116, v13, v116, v97
.LBB4_4727:                             ;   in Loop: Header=BB4_4278 Depth=2
	s_or_b32 exec_lo, exec_lo, s25
	s_delay_alu instid0(VALU_DEP_1) | instskip(NEXT) | instid1(VALU_DEP_1)
	v_add_f32_e32 v13, v99, v116
	v_and_b32_e32 v97, 0x7f800000, v13
	s_delay_alu instid0(VALU_DEP_1)
	v_cmp_ne_u32_e32 vcc_lo, 0x7f800000, v97
	v_mov_b32_e32 v97, 0x8000
	s_and_saveexec_b32 s25, vcc_lo
	s_cbranch_execz .LBB4_4277
; %bb.4728:                             ;   in Loop: Header=BB4_4278 Depth=2
	v_mov_b32_e32 v97, 0
	s_mov_b32 s26, exec_lo
	v_cmpx_ne_u32_e32 0, v13
	s_cbranch_execz .LBB4_4276
; %bb.4729:                             ;   in Loop: Header=BB4_4278 Depth=2
	v_bfe_u32 v97, v13, 23, 8
	s_delay_alu instid0(VALU_DEP_1) | instskip(SKIP_1) | instid1(VALU_DEP_2)
	v_sub_nc_u32_e32 v116, 0x78, v97
	v_cmp_gt_u32_e32 vcc_lo, 0x79, v97
	v_dual_cndmask_b32 v116, 0, v116 :: v_dual_and_b32 v99, 0x7fffff, v13
	s_delay_alu instid0(VALU_DEP_1) | instskip(SKIP_2) | instid1(VALU_DEP_4)
	v_or_b32_e32 v117, 0x800000, v99
	v_cmp_eq_u32_e32 vcc_lo, 0, v97
	v_add_nc_u32_e32 v97, 0xffffff89, v97
	v_cndmask_b32_e64 v116, v116, 0x77, vcc_lo
	s_delay_alu instid0(VALU_DEP_2) | instskip(SKIP_1) | instid1(VALU_DEP_3)
	v_cndmask_b32_e64 v97, v97, 0xffffff8a, vcc_lo
	v_cndmask_b32_e32 v99, v117, v99, vcc_lo
	v_lshl_add_u32 v117, 0x100000, v116, -1
	v_lshlrev_b32_e64 v128, v116, 0x80000
	s_delay_alu instid0(VALU_DEP_3) | instskip(SKIP_1) | instid1(VALU_DEP_4)
	v_lshrrev_b32_e32 v118, v116, v99
	v_add_nc_u32_e32 v116, v116, v97
	v_and_b32_e32 v99, v117, v99
	s_delay_alu instid0(VALU_DEP_3) | instskip(NEXT) | instid1(VALU_DEP_2)
	v_bfe_u32 v119, v118, 20, 1
	v_cmp_eq_u32_e64 s10, v99, v128
	s_delay_alu instid0(VALU_DEP_2) | instskip(NEXT) | instid1(VALU_DEP_1)
	v_add_nc_u32_e32 v117, -1, v119
	v_cndmask_b32_e64 v99, 0, v117, s10
	v_lshrrev_b32_e32 v117, 23, v118
	s_mov_b32 s10, exec_lo
	s_delay_alu instid0(VALU_DEP_2) | instskip(NEXT) | instid1(VALU_DEP_2)
	v_add_nc_u32_e32 v99, v99, v118
	v_xor_b32_e32 v117, 1, v117
	s_delay_alu instid0(VALU_DEP_2) | instskip(NEXT) | instid1(VALU_DEP_1)
	v_and_b32_e32 v97, 0xfffff, v99
	v_add_nc_u32_e32 v99, v97, v118
                                        ; implicit-def: $vgpr97
	s_delay_alu instid0(VALU_DEP_3)
	v_cmpx_ne_u32_e64 v116, v117
	s_xor_b32 s10, exec_lo, s10
; %bb.4730:                             ;   in Loop: Header=BB4_4278 Depth=2
	s_delay_alu instid0(VALU_DEP_2) | instskip(SKIP_2) | instid1(VALU_DEP_2)
	v_cmp_lt_u32_e32 vcc_lo, 0xffffff, v99
	v_sub_nc_u32_e32 v97, v116, v117
	v_cndmask_b32_e64 v116, 0, 1, vcc_lo
	v_add_co_ci_u32_e32 v97, vcc_lo, 0, v97, vcc_lo
	s_delay_alu instid0(VALU_DEP_2)
	v_lshrrev_b32_e32 v99, v116, v99
; %bb.4731:                             ;   in Loop: Header=BB4_4278 Depth=2
	s_and_not1_saveexec_b32 s10, s10
	s_cbranch_execz .LBB4_4275
; %bb.4732:                             ;   in Loop: Header=BB4_4278 Depth=2
	s_delay_alu instid0(VALU_DEP_1)
	v_bfe_u32 v97, v99, 23, 1
	s_branch .LBB4_4275
.LBB4_4733:                             ;   in Loop: Header=BB4_4278 Depth=2
	s_mov_b32 s10, -1
	s_mov_b32 s28, exec_lo
                                        ; implicit-def: $sgpr26
	v_cmpx_eq_u16_e32 0x80, v87
; %bb.4734:                             ;   in Loop: Header=BB4_4278 Depth=2
	s_mov_b32 s26, 0x7f800001
	s_xor_b32 s10, exec_lo, -1
; %bb.4735:                             ;   in Loop: Header=BB4_4278 Depth=2
	s_or_b32 exec_lo, exec_lo, s28
	s_delay_alu instid0(SALU_CYCLE_1)
	s_and_b32 s10, s10, exec_lo
                                        ; implicit-def: $vgpr87
	s_or_saveexec_b32 s27, s27
	v_mov_b32_e32 v86, s26
	s_xor_b32 exec_lo, exec_lo, s27
	s_cbranch_execz .LBB4_4289
.LBB4_4736:                             ;   in Loop: Header=BB4_4278 Depth=2
	v_cmp_ne_u16_e32 vcc_lo, 0, v87
	v_mov_b32_e32 v86, 0
	s_and_not1_b32 s10, s10, exec_lo
	s_and_b32 s26, vcc_lo, exec_lo
	s_delay_alu instid0(SALU_CYCLE_1)
	s_or_b32 s10, s10, s26
	s_or_b32 exec_lo, exec_lo, s27
	s_and_saveexec_b32 s26, s10
	s_cbranch_execnz .LBB4_4290
	s_branch .LBB4_4291
.LBB4_4737:                             ;   in Loop: Header=BB4_4278 Depth=2
	s_mov_b32 s10, -1
	s_mov_b32 s28, exec_lo
                                        ; implicit-def: $sgpr26
	v_cmpx_eq_u16_e32 0x80, v87
; %bb.4738:                             ;   in Loop: Header=BB4_4278 Depth=2
	s_mov_b32 s26, 0x7f800001
	s_xor_b32 s10, exec_lo, -1
; %bb.4739:                             ;   in Loop: Header=BB4_4278 Depth=2
	s_or_b32 exec_lo, exec_lo, s28
	s_delay_alu instid0(SALU_CYCLE_1)
	s_and_b32 s10, s10, exec_lo
	s_or_saveexec_b32 s27, s27
	v_mov_b32_e32 v96, s26
	s_xor_b32 exec_lo, exec_lo, s27
	s_cbranch_execz .LBB4_4301
.LBB4_4740:                             ;   in Loop: Header=BB4_4278 Depth=2
	v_cmp_ne_u16_e32 vcc_lo, 0, v87
	v_mov_b32_e32 v96, 0
	s_and_not1_b32 s10, s10, exec_lo
	s_and_b32 s26, vcc_lo, exec_lo
	s_delay_alu instid0(SALU_CYCLE_1)
	s_or_b32 s10, s10, s26
	s_or_b32 exec_lo, exec_lo, s27
	s_and_saveexec_b32 s26, s10
	s_cbranch_execnz .LBB4_4302
	s_branch .LBB4_4303
.LBB4_4741:                             ;   in Loop: Header=BB4_4278 Depth=2
	s_mov_b32 s10, -1
	s_mov_b32 s28, exec_lo
                                        ; implicit-def: $sgpr26
	v_cmpx_eq_u16_e32 0x80, v97
; %bb.4742:                             ;   in Loop: Header=BB4_4278 Depth=2
	s_mov_b32 s26, 0x7f800001
	s_xor_b32 s10, exec_lo, -1
; %bb.4743:                             ;   in Loop: Header=BB4_4278 Depth=2
	s_or_b32 exec_lo, exec_lo, s28
	s_delay_alu instid0(SALU_CYCLE_1)
	s_and_b32 s10, s10, exec_lo
                                        ; implicit-def: $vgpr97
	s_or_saveexec_b32 s27, s27
	v_mov_b32_e32 v96, s26
	s_xor_b32 exec_lo, exec_lo, s27
	s_cbranch_execz .LBB4_4313
.LBB4_4744:                             ;   in Loop: Header=BB4_4278 Depth=2
	v_cmp_ne_u16_e32 vcc_lo, 0, v97
	v_mov_b32_e32 v96, 0
	s_and_not1_b32 s10, s10, exec_lo
	s_and_b32 s26, vcc_lo, exec_lo
	s_delay_alu instid0(SALU_CYCLE_1)
	s_or_b32 s10, s10, s26
	s_or_b32 exec_lo, exec_lo, s27
	s_and_saveexec_b32 s26, s10
	s_cbranch_execnz .LBB4_4314
	s_branch .LBB4_4315
.LBB4_4745:                             ;   in Loop: Header=BB4_4278 Depth=2
	s_mov_b32 s10, -1
	s_mov_b32 s28, exec_lo
                                        ; implicit-def: $sgpr26
	v_cmpx_eq_u16_e32 0x80, v87
; %bb.4746:                             ;   in Loop: Header=BB4_4278 Depth=2
	s_mov_b32 s26, 0x7f800001
	s_xor_b32 s10, exec_lo, -1
; %bb.4747:                             ;   in Loop: Header=BB4_4278 Depth=2
	s_or_b32 exec_lo, exec_lo, s28
	s_delay_alu instid0(SALU_CYCLE_1)
	s_and_b32 s10, s10, exec_lo
	s_or_saveexec_b32 s27, s27
	v_mov_b32_e32 v96, s26
	s_xor_b32 exec_lo, exec_lo, s27
	s_cbranch_execz .LBB4_4325
.LBB4_4748:                             ;   in Loop: Header=BB4_4278 Depth=2
	v_cmp_ne_u16_e32 vcc_lo, 0, v87
	v_mov_b32_e32 v96, 0
	s_and_not1_b32 s10, s10, exec_lo
	s_and_b32 s26, vcc_lo, exec_lo
	s_delay_alu instid0(SALU_CYCLE_1)
	s_or_b32 s10, s10, s26
	s_or_b32 exec_lo, exec_lo, s27
	s_and_saveexec_b32 s26, s10
	s_cbranch_execnz .LBB4_4326
	s_branch .LBB4_4327
.LBB4_4749:                             ;   in Loop: Header=BB4_4278 Depth=2
	s_mov_b32 s10, -1
	s_mov_b32 s28, exec_lo
                                        ; implicit-def: $sgpr26
	v_cmpx_eq_u16_e32 0x80, v87
; %bb.4750:                             ;   in Loop: Header=BB4_4278 Depth=2
	s_mov_b32 s26, 0x7f800001
	s_xor_b32 s10, exec_lo, -1
; %bb.4751:                             ;   in Loop: Header=BB4_4278 Depth=2
	s_or_b32 exec_lo, exec_lo, s28
	s_delay_alu instid0(SALU_CYCLE_1)
	s_and_b32 s10, s10, exec_lo
                                        ; implicit-def: $vgpr87
	s_or_saveexec_b32 s27, s27
	v_mov_b32_e32 v10, s26
	s_xor_b32 exec_lo, exec_lo, s27
	s_cbranch_execz .LBB4_4337
.LBB4_4752:                             ;   in Loop: Header=BB4_4278 Depth=2
	v_cmp_ne_u16_e32 vcc_lo, 0, v87
	v_mov_b32_e32 v10, 0
	s_and_not1_b32 s10, s10, exec_lo
	s_and_b32 s26, vcc_lo, exec_lo
	s_delay_alu instid0(SALU_CYCLE_1)
	s_or_b32 s10, s10, s26
	s_or_b32 exec_lo, exec_lo, s27
	s_and_saveexec_b32 s26, s10
	s_cbranch_execnz .LBB4_4338
	s_branch .LBB4_4339
.LBB4_4753:                             ;   in Loop: Header=BB4_4278 Depth=2
	s_mov_b32 s10, -1
	s_mov_b32 s28, exec_lo
                                        ; implicit-def: $sgpr26
	v_cmpx_eq_u16_e32 0x80, v10
; %bb.4754:                             ;   in Loop: Header=BB4_4278 Depth=2
	s_mov_b32 s26, 0x7f800001
	s_xor_b32 s10, exec_lo, -1
; %bb.4755:                             ;   in Loop: Header=BB4_4278 Depth=2
	s_or_b32 exec_lo, exec_lo, s28
	s_delay_alu instid0(SALU_CYCLE_1)
	s_and_b32 s10, s10, exec_lo
	s_or_saveexec_b32 s27, s27
	v_mov_b32_e32 v87, s26
	s_xor_b32 exec_lo, exec_lo, s27
	s_cbranch_execz .LBB4_4349
.LBB4_4756:                             ;   in Loop: Header=BB4_4278 Depth=2
	v_cmp_ne_u16_e32 vcc_lo, 0, v10
	v_mov_b32_e32 v87, 0
	s_and_not1_b32 s10, s10, exec_lo
	s_and_b32 s26, vcc_lo, exec_lo
	s_delay_alu instid0(SALU_CYCLE_1)
	s_or_b32 s10, s10, s26
	s_or_b32 exec_lo, exec_lo, s27
	s_and_saveexec_b32 s26, s10
	s_cbranch_execnz .LBB4_4350
	s_branch .LBB4_4351
.LBB4_4757:                             ;   in Loop: Header=BB4_4278 Depth=2
	s_mov_b32 s10, -1
	s_mov_b32 s28, exec_lo
                                        ; implicit-def: $sgpr26
	v_cmpx_eq_u16_e32 0x80, v96
; %bb.4758:                             ;   in Loop: Header=BB4_4278 Depth=2
	s_mov_b32 s26, 0x7f800001
	s_xor_b32 s10, exec_lo, -1
; %bb.4759:                             ;   in Loop: Header=BB4_4278 Depth=2
	s_or_b32 exec_lo, exec_lo, s28
	s_delay_alu instid0(SALU_CYCLE_1)
	s_and_b32 s10, s10, exec_lo
                                        ; implicit-def: $vgpr96
	s_or_saveexec_b32 s27, s27
	v_mov_b32_e32 v87, s26
	s_xor_b32 exec_lo, exec_lo, s27
	s_cbranch_execz .LBB4_4361
.LBB4_4760:                             ;   in Loop: Header=BB4_4278 Depth=2
	v_cmp_ne_u16_e32 vcc_lo, 0, v96
	v_mov_b32_e32 v87, 0
	s_and_not1_b32 s10, s10, exec_lo
	s_and_b32 s26, vcc_lo, exec_lo
	s_delay_alu instid0(SALU_CYCLE_1)
	s_or_b32 s10, s10, s26
	s_or_b32 exec_lo, exec_lo, s27
	s_and_saveexec_b32 s26, s10
	s_cbranch_execnz .LBB4_4362
	s_branch .LBB4_4363
.LBB4_4761:                             ;   in Loop: Header=BB4_4278 Depth=2
	s_mov_b32 s10, -1
	s_mov_b32 s28, exec_lo
                                        ; implicit-def: $sgpr26
	v_cmpx_eq_u16_e32 0x80, v10
; %bb.4762:                             ;   in Loop: Header=BB4_4278 Depth=2
	s_mov_b32 s26, 0x7f800001
	s_xor_b32 s10, exec_lo, -1
; %bb.4763:                             ;   in Loop: Header=BB4_4278 Depth=2
	s_or_b32 exec_lo, exec_lo, s28
	s_delay_alu instid0(SALU_CYCLE_1)
	s_and_b32 s10, s10, exec_lo
	s_or_saveexec_b32 s27, s27
	v_mov_b32_e32 v87, s26
	s_xor_b32 exec_lo, exec_lo, s27
	s_cbranch_execz .LBB4_4373
.LBB4_4764:                             ;   in Loop: Header=BB4_4278 Depth=2
	v_cmp_ne_u16_e32 vcc_lo, 0, v10
	v_mov_b32_e32 v87, 0
	s_and_not1_b32 s10, s10, exec_lo
	s_and_b32 s26, vcc_lo, exec_lo
	s_delay_alu instid0(SALU_CYCLE_1)
	s_or_b32 s10, s10, s26
	s_or_b32 exec_lo, exec_lo, s27
	s_and_saveexec_b32 s26, s10
	s_cbranch_execnz .LBB4_4374
	s_branch .LBB4_4375
.LBB4_4765:                             ;   in Loop: Header=BB4_4278 Depth=2
	s_mov_b32 s10, -1
	s_mov_b32 s28, exec_lo
                                        ; implicit-def: $sgpr26
	v_cmpx_eq_u16_e32 0x80, v11
; %bb.4766:                             ;   in Loop: Header=BB4_4278 Depth=2
	s_mov_b32 s26, 0x7f800001
	s_xor_b32 s10, exec_lo, -1
; %bb.4767:                             ;   in Loop: Header=BB4_4278 Depth=2
	s_or_b32 exec_lo, exec_lo, s28
	s_delay_alu instid0(SALU_CYCLE_1)
	s_and_b32 s10, s10, exec_lo
                                        ; implicit-def: $vgpr11
	s_or_saveexec_b32 s27, s27
	v_mov_b32_e32 v10, s26
	s_xor_b32 exec_lo, exec_lo, s27
	s_cbranch_execz .LBB4_4385
.LBB4_4768:                             ;   in Loop: Header=BB4_4278 Depth=2
	v_cmp_ne_u16_e32 vcc_lo, 0, v11
	v_mov_b32_e32 v10, 0
	s_and_not1_b32 s10, s10, exec_lo
	s_and_b32 s26, vcc_lo, exec_lo
	s_delay_alu instid0(SALU_CYCLE_1)
	s_or_b32 s10, s10, s26
	s_or_b32 exec_lo, exec_lo, s27
	s_and_saveexec_b32 s26, s10
	s_cbranch_execnz .LBB4_4386
	s_branch .LBB4_4387
.LBB4_4769:                             ;   in Loop: Header=BB4_4278 Depth=2
	s_mov_b32 s10, -1
	s_mov_b32 s28, exec_lo
                                        ; implicit-def: $sgpr26
	v_cmpx_eq_u16_e32 0x80, v10
; %bb.4770:                             ;   in Loop: Header=BB4_4278 Depth=2
	s_mov_b32 s26, 0x7f800001
	s_xor_b32 s10, exec_lo, -1
; %bb.4771:                             ;   in Loop: Header=BB4_4278 Depth=2
	s_or_b32 exec_lo, exec_lo, s28
	s_delay_alu instid0(SALU_CYCLE_1)
	s_and_b32 s10, s10, exec_lo
	s_or_saveexec_b32 s27, s27
	v_mov_b32_e32 v11, s26
	s_xor_b32 exec_lo, exec_lo, s27
	s_cbranch_execz .LBB4_4397
.LBB4_4772:                             ;   in Loop: Header=BB4_4278 Depth=2
	v_cmp_ne_u16_e32 vcc_lo, 0, v10
	v_mov_b32_e32 v11, 0
	s_and_not1_b32 s10, s10, exec_lo
	s_and_b32 s26, vcc_lo, exec_lo
	s_delay_alu instid0(SALU_CYCLE_1)
	s_or_b32 s10, s10, s26
	s_or_b32 exec_lo, exec_lo, s27
	s_and_saveexec_b32 s26, s10
	s_cbranch_execnz .LBB4_4398
	s_branch .LBB4_4399
.LBB4_4773:                             ;   in Loop: Header=BB4_4278 Depth=2
	s_mov_b32 s10, -1
	s_mov_b32 s28, exec_lo
                                        ; implicit-def: $sgpr26
	v_cmpx_eq_u16_e32 0x80, v87
; %bb.4774:                             ;   in Loop: Header=BB4_4278 Depth=2
	s_mov_b32 s26, 0x7f800001
	s_xor_b32 s10, exec_lo, -1
; %bb.4775:                             ;   in Loop: Header=BB4_4278 Depth=2
	s_or_b32 exec_lo, exec_lo, s28
	s_delay_alu instid0(SALU_CYCLE_1)
	s_and_b32 s10, s10, exec_lo
                                        ; implicit-def: $vgpr87
	s_or_saveexec_b32 s27, s27
	v_mov_b32_e32 v11, s26
	s_xor_b32 exec_lo, exec_lo, s27
	s_cbranch_execz .LBB4_4409
.LBB4_4776:                             ;   in Loop: Header=BB4_4278 Depth=2
	v_cmp_ne_u16_e32 vcc_lo, 0, v87
	v_mov_b32_e32 v11, 0
	s_and_not1_b32 s10, s10, exec_lo
	s_and_b32 s26, vcc_lo, exec_lo
	s_delay_alu instid0(SALU_CYCLE_1)
	s_or_b32 s10, s10, s26
	s_or_b32 exec_lo, exec_lo, s27
	s_and_saveexec_b32 s26, s10
	s_cbranch_execnz .LBB4_4410
	s_branch .LBB4_4411
.LBB4_4777:                             ;   in Loop: Header=BB4_4278 Depth=2
	s_mov_b32 s10, -1
	s_mov_b32 s28, exec_lo
                                        ; implicit-def: $sgpr26
	v_cmpx_eq_u16_e32 0x80, v10
; %bb.4778:                             ;   in Loop: Header=BB4_4278 Depth=2
	s_mov_b32 s26, 0x7f800001
	s_xor_b32 s10, exec_lo, -1
; %bb.4779:                             ;   in Loop: Header=BB4_4278 Depth=2
	s_or_b32 exec_lo, exec_lo, s28
	s_delay_alu instid0(SALU_CYCLE_1)
	s_and_b32 s10, s10, exec_lo
	s_or_saveexec_b32 s27, s27
	v_mov_b32_e32 v11, s26
	s_xor_b32 exec_lo, exec_lo, s27
	s_cbranch_execz .LBB4_4421
.LBB4_4780:                             ;   in Loop: Header=BB4_4278 Depth=2
	v_cmp_ne_u16_e32 vcc_lo, 0, v10
	v_mov_b32_e32 v11, 0
	s_and_not1_b32 s10, s10, exec_lo
	s_and_b32 s26, vcc_lo, exec_lo
	s_delay_alu instid0(SALU_CYCLE_1)
	s_or_b32 s10, s10, s26
	s_or_b32 exec_lo, exec_lo, s27
	s_and_saveexec_b32 s26, s10
	s_cbranch_execnz .LBB4_4422
	s_branch .LBB4_4423
.LBB4_4781:                             ;   in Loop: Header=BB4_4278 Depth=2
	s_mov_b32 s10, -1
	s_mov_b32 s28, exec_lo
                                        ; implicit-def: $sgpr26
	v_cmpx_eq_u16_e32 0x80, v11
; %bb.4782:                             ;   in Loop: Header=BB4_4278 Depth=2
	s_mov_b32 s26, 0x7f800001
	s_xor_b32 s10, exec_lo, -1
; %bb.4783:                             ;   in Loop: Header=BB4_4278 Depth=2
	s_or_b32 exec_lo, exec_lo, s28
	s_delay_alu instid0(SALU_CYCLE_1)
	s_and_b32 s10, s10, exec_lo
                                        ; implicit-def: $vgpr11
	s_or_saveexec_b32 s27, s27
	v_mov_b32_e32 v10, s26
	s_xor_b32 exec_lo, exec_lo, s27
	s_cbranch_execz .LBB4_4433
.LBB4_4784:                             ;   in Loop: Header=BB4_4278 Depth=2
	v_cmp_ne_u16_e32 vcc_lo, 0, v11
	v_mov_b32_e32 v10, 0
	s_and_not1_b32 s10, s10, exec_lo
	s_and_b32 s26, vcc_lo, exec_lo
	s_delay_alu instid0(SALU_CYCLE_1)
	s_or_b32 s10, s10, s26
	s_or_b32 exec_lo, exec_lo, s27
	s_and_saveexec_b32 s26, s10
	s_cbranch_execnz .LBB4_4434
	s_branch .LBB4_4435
.LBB4_4785:                             ;   in Loop: Header=BB4_4278 Depth=2
	s_mov_b32 s10, -1
	s_mov_b32 s28, exec_lo
                                        ; implicit-def: $sgpr26
	v_cmpx_eq_u16_e32 0x80, v10
; %bb.4786:                             ;   in Loop: Header=BB4_4278 Depth=2
	s_mov_b32 s26, 0x7f800001
	s_xor_b32 s10, exec_lo, -1
; %bb.4787:                             ;   in Loop: Header=BB4_4278 Depth=2
	s_or_b32 exec_lo, exec_lo, s28
	s_delay_alu instid0(SALU_CYCLE_1)
	s_and_b32 s10, s10, exec_lo
	s_or_saveexec_b32 s27, s27
	v_mov_b32_e32 v11, s26
	s_xor_b32 exec_lo, exec_lo, s27
	s_cbranch_execz .LBB4_4445
.LBB4_4788:                             ;   in Loop: Header=BB4_4278 Depth=2
	v_cmp_ne_u16_e32 vcc_lo, 0, v10
	v_mov_b32_e32 v11, 0
	s_and_not1_b32 s10, s10, exec_lo
	s_and_b32 s26, vcc_lo, exec_lo
	s_delay_alu instid0(SALU_CYCLE_1)
	s_or_b32 s10, s10, s26
	s_or_b32 exec_lo, exec_lo, s27
	s_and_saveexec_b32 s26, s10
	s_cbranch_execnz .LBB4_4446
	s_branch .LBB4_4447
.LBB4_4789:                             ;   in Loop: Header=BB4_4278 Depth=2
	s_mov_b32 s10, -1
	s_mov_b32 s28, exec_lo
                                        ; implicit-def: $sgpr26
	v_cmpx_eq_u16_e32 0x80, v12
; %bb.4790:                             ;   in Loop: Header=BB4_4278 Depth=2
	s_mov_b32 s26, 0x7f800001
	s_xor_b32 s10, exec_lo, -1
; %bb.4791:                             ;   in Loop: Header=BB4_4278 Depth=2
	s_or_b32 exec_lo, exec_lo, s28
	s_delay_alu instid0(SALU_CYCLE_1)
	s_and_b32 s10, s10, exec_lo
                                        ; implicit-def: $vgpr12
	s_or_saveexec_b32 s27, s27
	v_mov_b32_e32 v11, s26
	s_xor_b32 exec_lo, exec_lo, s27
	s_cbranch_execz .LBB4_4457
.LBB4_4792:                             ;   in Loop: Header=BB4_4278 Depth=2
	v_cmp_ne_u16_e32 vcc_lo, 0, v12
	v_mov_b32_e32 v11, 0
	s_and_not1_b32 s10, s10, exec_lo
	s_and_b32 s26, vcc_lo, exec_lo
	s_delay_alu instid0(SALU_CYCLE_1)
	s_or_b32 s10, s10, s26
	s_or_b32 exec_lo, exec_lo, s27
	s_and_saveexec_b32 s26, s10
	s_cbranch_execnz .LBB4_4458
	s_branch .LBB4_4459
.LBB4_4793:                             ;   in Loop: Header=BB4_4278 Depth=2
	s_mov_b32 s10, -1
	s_mov_b32 s28, exec_lo
                                        ; implicit-def: $sgpr26
	v_cmpx_eq_u16_e32 0x80, v10
; %bb.4794:                             ;   in Loop: Header=BB4_4278 Depth=2
	s_mov_b32 s26, 0x7f800001
	s_xor_b32 s10, exec_lo, -1
; %bb.4795:                             ;   in Loop: Header=BB4_4278 Depth=2
	s_or_b32 exec_lo, exec_lo, s28
	s_delay_alu instid0(SALU_CYCLE_1)
	s_and_b32 s10, s10, exec_lo
	s_or_saveexec_b32 s27, s27
	v_mov_b32_e32 v11, s26
	s_xor_b32 exec_lo, exec_lo, s27
	s_cbranch_execz .LBB4_4469
.LBB4_4796:                             ;   in Loop: Header=BB4_4278 Depth=2
	v_cmp_ne_u16_e32 vcc_lo, 0, v10
	v_mov_b32_e32 v11, 0
	s_and_not1_b32 s10, s10, exec_lo
	s_and_b32 s26, vcc_lo, exec_lo
	s_delay_alu instid0(SALU_CYCLE_1)
	s_or_b32 s10, s10, s26
	s_or_b32 exec_lo, exec_lo, s27
	s_and_saveexec_b32 s26, s10
	s_cbranch_execnz .LBB4_4470
	s_branch .LBB4_4471
.LBB4_4797:                             ;   in Loop: Header=BB4_4278 Depth=2
	s_mov_b32 s10, -1
	s_mov_b32 s27, exec_lo
                                        ; implicit-def: $sgpr25
	v_cmpx_eq_u16_e32 0x80, v119
; %bb.4798:                             ;   in Loop: Header=BB4_4278 Depth=2
	s_mov_b32 s25, 0x7f800001
	s_xor_b32 s10, exec_lo, -1
; %bb.4799:                             ;   in Loop: Header=BB4_4278 Depth=2
	s_or_b32 exec_lo, exec_lo, s27
	s_delay_alu instid0(SALU_CYCLE_1)
	s_and_b32 s10, s10, exec_lo
                                        ; implicit-def: $vgpr119
	s_or_saveexec_b32 s26, s26
	v_mov_b32_e32 v118, s25
	s_xor_b32 exec_lo, exec_lo, s26
	s_cbranch_execz .LBB4_4481
.LBB4_4800:                             ;   in Loop: Header=BB4_4278 Depth=2
	v_cmp_ne_u16_e32 vcc_lo, 0, v119
	v_mov_b32_e32 v118, 0
	s_and_not1_b32 s10, s10, exec_lo
	s_and_b32 s25, vcc_lo, exec_lo
	s_delay_alu instid0(SALU_CYCLE_1)
	s_or_b32 s10, s10, s25
	s_or_b32 exec_lo, exec_lo, s26
	s_and_saveexec_b32 s25, s10
	s_cbranch_execnz .LBB4_4482
	s_branch .LBB4_4483
.LBB4_4801:                             ;   in Loop: Header=BB4_4278 Depth=2
	s_mov_b32 s10, -1
	s_mov_b32 s27, exec_lo
                                        ; implicit-def: $sgpr25
	v_cmpx_eq_u16_e32 0x80, v119
; %bb.4802:                             ;   in Loop: Header=BB4_4278 Depth=2
	s_mov_b32 s25, 0x7f800001
	s_xor_b32 s10, exec_lo, -1
; %bb.4803:                             ;   in Loop: Header=BB4_4278 Depth=2
	s_or_b32 exec_lo, exec_lo, s27
	s_delay_alu instid0(SALU_CYCLE_1)
	s_and_b32 s10, s10, exec_lo
                                        ; implicit-def: $vgpr119
	s_or_saveexec_b32 s26, s26
	v_mov_b32_e32 v86, s25
	s_xor_b32 exec_lo, exec_lo, s26
	s_cbranch_execz .LBB4_4485
.LBB4_4804:                             ;   in Loop: Header=BB4_4278 Depth=2
	v_cmp_ne_u16_e32 vcc_lo, 0, v119
	v_mov_b32_e32 v86, 0
	s_and_not1_b32 s10, s10, exec_lo
	s_and_b32 s25, vcc_lo, exec_lo
	s_delay_alu instid0(SALU_CYCLE_1)
	s_or_b32 s10, s10, s25
	s_or_b32 exec_lo, exec_lo, s26
	s_and_saveexec_b32 s25, s10
	s_cbranch_execnz .LBB4_4486
	s_branch .LBB4_4487
.LBB4_4805:                             ;   in Loop: Header=BB4_4278 Depth=2
	s_mov_b32 s10, -1
	s_mov_b32 s27, exec_lo
                                        ; implicit-def: $sgpr25
	v_cmpx_eq_u16_e32 0x80, v119
; %bb.4806:                             ;   in Loop: Header=BB4_4278 Depth=2
	s_mov_b32 s25, 0x7f800001
	s_xor_b32 s10, exec_lo, -1
; %bb.4807:                             ;   in Loop: Header=BB4_4278 Depth=2
	s_or_b32 exec_lo, exec_lo, s27
	s_delay_alu instid0(SALU_CYCLE_1)
	s_and_b32 s10, s10, exec_lo
                                        ; implicit-def: $vgpr119
	s_or_saveexec_b32 s26, s26
	v_mov_b32_e32 v118, s25
	s_xor_b32 exec_lo, exec_lo, s26
	s_cbranch_execz .LBB4_4497
.LBB4_4808:                             ;   in Loop: Header=BB4_4278 Depth=2
	v_cmp_ne_u16_e32 vcc_lo, 0, v119
	v_mov_b32_e32 v118, 0
	s_and_not1_b32 s10, s10, exec_lo
	s_and_b32 s25, vcc_lo, exec_lo
	s_delay_alu instid0(SALU_CYCLE_1)
	s_or_b32 s10, s10, s25
	s_or_b32 exec_lo, exec_lo, s26
	s_and_saveexec_b32 s25, s10
	s_cbranch_execnz .LBB4_4498
	s_branch .LBB4_4499
.LBB4_4809:                             ;   in Loop: Header=BB4_4278 Depth=2
	s_mov_b32 s10, -1
	s_mov_b32 s27, exec_lo
                                        ; implicit-def: $sgpr25
	v_cmpx_eq_u16_e32 0x80, v98
; %bb.4810:                             ;   in Loop: Header=BB4_4278 Depth=2
	s_mov_b32 s25, 0x7f800001
	s_xor_b32 s10, exec_lo, -1
; %bb.4811:                             ;   in Loop: Header=BB4_4278 Depth=2
	s_or_b32 exec_lo, exec_lo, s27
	s_delay_alu instid0(SALU_CYCLE_1)
	s_and_b32 s10, s10, exec_lo
	s_or_saveexec_b32 s26, s26
	v_mov_b32_e32 v119, s25
	s_xor_b32 exec_lo, exec_lo, s26
	s_cbranch_execz .LBB4_4501
.LBB4_4812:                             ;   in Loop: Header=BB4_4278 Depth=2
	v_cmp_ne_u16_e32 vcc_lo, 0, v98
	v_mov_b32_e32 v119, 0
	s_and_not1_b32 s10, s10, exec_lo
	s_and_b32 s25, vcc_lo, exec_lo
	s_delay_alu instid0(SALU_CYCLE_1)
	s_or_b32 s10, s10, s25
	s_or_b32 exec_lo, exec_lo, s26
	s_and_saveexec_b32 s25, s10
	s_cbranch_execnz .LBB4_4502
	s_branch .LBB4_4503
.LBB4_4813:                             ;   in Loop: Header=BB4_4278 Depth=2
	s_mov_b32 s10, -1
	s_mov_b32 s27, exec_lo
                                        ; implicit-def: $sgpr25
	v_cmpx_eq_u16_e32 0x80, v119
; %bb.4814:                             ;   in Loop: Header=BB4_4278 Depth=2
	s_mov_b32 s25, 0x7f800001
	s_xor_b32 s10, exec_lo, -1
; %bb.4815:                             ;   in Loop: Header=BB4_4278 Depth=2
	s_or_b32 exec_lo, exec_lo, s27
	s_delay_alu instid0(SALU_CYCLE_1)
	s_and_b32 s10, s10, exec_lo
                                        ; implicit-def: $vgpr119
	s_or_saveexec_b32 s26, s26
	v_mov_b32_e32 v118, s25
	s_xor_b32 exec_lo, exec_lo, s26
	s_cbranch_execz .LBB4_4513
.LBB4_4816:                             ;   in Loop: Header=BB4_4278 Depth=2
	v_cmp_ne_u16_e32 vcc_lo, 0, v119
	v_mov_b32_e32 v118, 0
	s_and_not1_b32 s10, s10, exec_lo
	s_and_b32 s25, vcc_lo, exec_lo
	s_delay_alu instid0(SALU_CYCLE_1)
	s_or_b32 s10, s10, s25
	s_or_b32 exec_lo, exec_lo, s26
	s_and_saveexec_b32 s25, s10
	s_cbranch_execnz .LBB4_4514
	s_branch .LBB4_4515
.LBB4_4817:                             ;   in Loop: Header=BB4_4278 Depth=2
	s_mov_b32 s10, -1
	s_mov_b32 s27, exec_lo
                                        ; implicit-def: $sgpr25
	v_cmpx_eq_u16_e64 0x80, v128
; %bb.4818:                             ;   in Loop: Header=BB4_4278 Depth=2
	s_mov_b32 s25, 0x7f800001
	s_xor_b32 s10, exec_lo, -1
; %bb.4819:                             ;   in Loop: Header=BB4_4278 Depth=2
	s_or_b32 exec_lo, exec_lo, s27
	s_delay_alu instid0(SALU_CYCLE_1)
	s_and_b32 s10, s10, exec_lo
                                        ; implicit-def: $vgpr128
	s_or_saveexec_b32 s26, s26
	v_mov_b32_e32 v119, s25
	s_xor_b32 exec_lo, exec_lo, s26
	s_cbranch_execz .LBB4_4517
.LBB4_4820:                             ;   in Loop: Header=BB4_4278 Depth=2
	v_cmp_ne_u16_e64 vcc_lo, 0, v128
	v_mov_b32_e32 v119, 0
	s_and_not1_b32 s10, s10, exec_lo
	s_delay_alu instid0(VALU_DEP_2) | instskip(NEXT) | instid1(SALU_CYCLE_1)
	s_and_b32 s25, vcc_lo, exec_lo
	s_or_b32 s10, s10, s25
	s_or_b32 exec_lo, exec_lo, s26
	s_and_saveexec_b32 s25, s10
	s_cbranch_execnz .LBB4_4518
	s_branch .LBB4_4519
.LBB4_4821:                             ;   in Loop: Header=BB4_4278 Depth=2
	s_mov_b32 s10, -1
	s_mov_b32 s27, exec_lo
                                        ; implicit-def: $sgpr25
	v_cmpx_eq_u16_e32 0x80, v119
; %bb.4822:                             ;   in Loop: Header=BB4_4278 Depth=2
	s_mov_b32 s25, 0x7f800001
	s_xor_b32 s10, exec_lo, -1
; %bb.4823:                             ;   in Loop: Header=BB4_4278 Depth=2
	s_or_b32 exec_lo, exec_lo, s27
	s_delay_alu instid0(SALU_CYCLE_1)
	s_and_b32 s10, s10, exec_lo
	s_or_saveexec_b32 s26, s26
	v_mov_b32_e32 v118, s25
	s_xor_b32 exec_lo, exec_lo, s26
	s_cbranch_execz .LBB4_4529
.LBB4_4824:                             ;   in Loop: Header=BB4_4278 Depth=2
	v_cmp_ne_u16_e32 vcc_lo, 0, v119
	v_mov_b32_e32 v118, 0
	s_and_not1_b32 s10, s10, exec_lo
	s_and_b32 s25, vcc_lo, exec_lo
	s_delay_alu instid0(SALU_CYCLE_1)
	s_or_b32 s10, s10, s25
	s_or_b32 exec_lo, exec_lo, s26
	s_and_saveexec_b32 s25, s10
	s_cbranch_execnz .LBB4_4530
	s_branch .LBB4_4531
.LBB4_4825:                             ;   in Loop: Header=BB4_4278 Depth=2
	s_mov_b32 s10, -1
	s_mov_b32 s27, exec_lo
                                        ; implicit-def: $sgpr25
	v_cmpx_eq_u16_e32 0x80, v115
; %bb.4826:                             ;   in Loop: Header=BB4_4278 Depth=2
	s_mov_b32 s25, 0x7f800001
	s_xor_b32 s10, exec_lo, -1
; %bb.4827:                             ;   in Loop: Header=BB4_4278 Depth=2
	s_or_b32 exec_lo, exec_lo, s27
	s_delay_alu instid0(SALU_CYCLE_1)
	s_and_b32 s10, s10, exec_lo
	s_or_saveexec_b32 s26, s26
	v_mov_b32_e32 v119, s25
	s_xor_b32 exec_lo, exec_lo, s26
	s_cbranch_execz .LBB4_4533
.LBB4_4828:                             ;   in Loop: Header=BB4_4278 Depth=2
	v_cmp_ne_u16_e32 vcc_lo, 0, v115
	v_mov_b32_e32 v119, 0
	s_and_not1_b32 s10, s10, exec_lo
	s_and_b32 s25, vcc_lo, exec_lo
	s_delay_alu instid0(SALU_CYCLE_1)
	s_or_b32 s10, s10, s25
	s_or_b32 exec_lo, exec_lo, s26
	s_and_saveexec_b32 s25, s10
	s_cbranch_execnz .LBB4_4534
	s_branch .LBB4_4535
.LBB4_4829:                             ;   in Loop: Header=BB4_4278 Depth=2
	s_mov_b32 s10, -1
	s_mov_b32 s27, exec_lo
                                        ; implicit-def: $sgpr25
	v_cmpx_eq_u16_e32 0x80, v115
; %bb.4830:                             ;   in Loop: Header=BB4_4278 Depth=2
	s_mov_b32 s25, 0x7f800001
	s_xor_b32 s10, exec_lo, -1
; %bb.4831:                             ;   in Loop: Header=BB4_4278 Depth=2
	s_or_b32 exec_lo, exec_lo, s27
	s_delay_alu instid0(SALU_CYCLE_1)
	s_and_b32 s10, s10, exec_lo
                                        ; implicit-def: $vgpr115
	s_or_saveexec_b32 s26, s26
	v_mov_b32_e32 v114, s25
	s_xor_b32 exec_lo, exec_lo, s26
	s_cbranch_execz .LBB4_4545
.LBB4_4832:                             ;   in Loop: Header=BB4_4278 Depth=2
	v_cmp_ne_u16_e32 vcc_lo, 0, v115
	v_mov_b32_e32 v114, 0
	s_and_not1_b32 s10, s10, exec_lo
	s_and_b32 s25, vcc_lo, exec_lo
	s_delay_alu instid0(SALU_CYCLE_1)
	s_or_b32 s10, s10, s25
	s_or_b32 exec_lo, exec_lo, s26
	s_and_saveexec_b32 s25, s10
	s_cbranch_execnz .LBB4_4546
	s_branch .LBB4_4547
.LBB4_4833:                             ;   in Loop: Header=BB4_4278 Depth=2
	s_mov_b32 s10, -1
	s_mov_b32 s27, exec_lo
                                        ; implicit-def: $sgpr25
	v_cmpx_eq_u16_e32 0x80, v118
; %bb.4834:                             ;   in Loop: Header=BB4_4278 Depth=2
	s_mov_b32 s25, 0x7f800001
	s_xor_b32 s10, exec_lo, -1
; %bb.4835:                             ;   in Loop: Header=BB4_4278 Depth=2
	s_or_b32 exec_lo, exec_lo, s27
	s_delay_alu instid0(SALU_CYCLE_1)
	s_and_b32 s10, s10, exec_lo
                                        ; implicit-def: $vgpr118
	s_or_saveexec_b32 s26, s26
	v_mov_b32_e32 v115, s25
	s_xor_b32 exec_lo, exec_lo, s26
	s_cbranch_execz .LBB4_4549
.LBB4_4836:                             ;   in Loop: Header=BB4_4278 Depth=2
	v_cmp_ne_u16_e32 vcc_lo, 0, v118
	v_mov_b32_e32 v115, 0
	s_and_not1_b32 s10, s10, exec_lo
	s_and_b32 s25, vcc_lo, exec_lo
	s_delay_alu instid0(SALU_CYCLE_1)
	s_or_b32 s10, s10, s25
	s_or_b32 exec_lo, exec_lo, s26
	s_and_saveexec_b32 s25, s10
	s_cbranch_execnz .LBB4_4550
	s_branch .LBB4_4551
.LBB4_4837:                             ;   in Loop: Header=BB4_4278 Depth=2
	s_mov_b32 s10, -1
	s_mov_b32 s27, exec_lo
                                        ; implicit-def: $sgpr25
	v_cmpx_eq_u16_e32 0x80, v118
; %bb.4838:                             ;   in Loop: Header=BB4_4278 Depth=2
	s_mov_b32 s25, 0x7f800001
	s_xor_b32 s10, exec_lo, -1
; %bb.4839:                             ;   in Loop: Header=BB4_4278 Depth=2
	s_or_b32 exec_lo, exec_lo, s27
	s_delay_alu instid0(SALU_CYCLE_1)
	s_and_b32 s10, s10, exec_lo
	s_or_saveexec_b32 s26, s26
	v_mov_b32_e32 v115, s25
	s_xor_b32 exec_lo, exec_lo, s26
	s_cbranch_execz .LBB4_4561
.LBB4_4840:                             ;   in Loop: Header=BB4_4278 Depth=2
	v_cmp_ne_u16_e32 vcc_lo, 0, v118
	v_mov_b32_e32 v115, 0
	s_and_not1_b32 s10, s10, exec_lo
	s_and_b32 s25, vcc_lo, exec_lo
	s_delay_alu instid0(SALU_CYCLE_1)
	s_or_b32 s10, s10, s25
	s_or_b32 exec_lo, exec_lo, s26
	s_and_saveexec_b32 s25, s10
	s_cbranch_execnz .LBB4_4562
	s_branch .LBB4_4563
.LBB4_4841:                             ;   in Loop: Header=BB4_4278 Depth=2
	s_mov_b32 s10, -1
	s_mov_b32 s27, exec_lo
                                        ; implicit-def: $sgpr25
	v_cmpx_eq_u16_e32 0x80, v118
; %bb.4842:                             ;   in Loop: Header=BB4_4278 Depth=2
	s_mov_b32 s25, 0x7f800001
	s_xor_b32 s10, exec_lo, -1
; %bb.4843:                             ;   in Loop: Header=BB4_4278 Depth=2
	s_or_b32 exec_lo, exec_lo, s27
	s_delay_alu instid0(SALU_CYCLE_1)
	s_and_b32 s10, s10, exec_lo
	s_or_saveexec_b32 s26, s26
	v_mov_b32_e32 v119, s25
	s_xor_b32 exec_lo, exec_lo, s26
	s_cbranch_execz .LBB4_4565
.LBB4_4844:                             ;   in Loop: Header=BB4_4278 Depth=2
	v_cmp_ne_u16_e32 vcc_lo, 0, v118
	v_mov_b32_e32 v119, 0
	s_and_not1_b32 s10, s10, exec_lo
	s_and_b32 s25, vcc_lo, exec_lo
	s_delay_alu instid0(SALU_CYCLE_1)
	s_or_b32 s10, s10, s25
	s_or_b32 exec_lo, exec_lo, s26
	s_and_saveexec_b32 s25, s10
	s_cbranch_execnz .LBB4_4566
	s_branch .LBB4_4567
.LBB4_4845:                             ;   in Loop: Header=BB4_4278 Depth=2
	s_mov_b32 s10, -1
	s_mov_b32 s27, exec_lo
                                        ; implicit-def: $sgpr25
	v_cmpx_eq_u16_e32 0x80, v118
; %bb.4846:                             ;   in Loop: Header=BB4_4278 Depth=2
	s_mov_b32 s25, 0x7f800001
	s_xor_b32 s10, exec_lo, -1
; %bb.4847:                             ;   in Loop: Header=BB4_4278 Depth=2
	s_or_b32 exec_lo, exec_lo, s27
	s_delay_alu instid0(SALU_CYCLE_1)
	s_and_b32 s10, s10, exec_lo
                                        ; implicit-def: $vgpr118
	s_or_saveexec_b32 s26, s26
	v_mov_b32_e32 v113, s25
	s_xor_b32 exec_lo, exec_lo, s26
	s_cbranch_execz .LBB4_4577
.LBB4_4848:                             ;   in Loop: Header=BB4_4278 Depth=2
	v_cmp_ne_u16_e32 vcc_lo, 0, v118
	v_mov_b32_e32 v113, 0
	s_and_not1_b32 s10, s10, exec_lo
	s_and_b32 s25, vcc_lo, exec_lo
	s_delay_alu instid0(SALU_CYCLE_1)
	s_or_b32 s10, s10, s25
	s_or_b32 exec_lo, exec_lo, s26
	v_lshl_or_b32 v116, v116, 16, v117
	s_and_saveexec_b32 s25, s10
	s_cbranch_execnz .LBB4_4578
	s_branch .LBB4_4579
.LBB4_4849:                             ;   in Loop: Header=BB4_4278 Depth=2
	s_mov_b32 s10, -1
	s_mov_b32 s27, exec_lo
                                        ; implicit-def: $sgpr25
	v_cmpx_eq_u16_e32 0x80, v119
; %bb.4850:                             ;   in Loop: Header=BB4_4278 Depth=2
	s_mov_b32 s25, 0x7f800001
	s_xor_b32 s10, exec_lo, -1
; %bb.4851:                             ;   in Loop: Header=BB4_4278 Depth=2
	s_or_b32 exec_lo, exec_lo, s27
	s_delay_alu instid0(SALU_CYCLE_1)
	s_and_b32 s10, s10, exec_lo
                                        ; implicit-def: $vgpr119
	s_or_saveexec_b32 s26, s26
	v_mov_b32_e32 v118, s25
	s_xor_b32 exec_lo, exec_lo, s26
	s_cbranch_execz .LBB4_4581
.LBB4_4852:                             ;   in Loop: Header=BB4_4278 Depth=2
	v_cmp_ne_u16_e32 vcc_lo, 0, v119
	v_mov_b32_e32 v118, 0
	s_and_not1_b32 s10, s10, exec_lo
	s_and_b32 s25, vcc_lo, exec_lo
	s_delay_alu instid0(SALU_CYCLE_1)
	s_or_b32 s10, s10, s25
	s_or_b32 exec_lo, exec_lo, s26
	s_and_saveexec_b32 s25, s10
	s_cbranch_execnz .LBB4_4582
	s_branch .LBB4_4583
.LBB4_4853:                             ;   in Loop: Header=BB4_4278 Depth=2
	s_mov_b32 s10, -1
	s_mov_b32 s27, exec_lo
                                        ; implicit-def: $sgpr25
	v_cmpx_eq_u16_e32 0x80, v118
; %bb.4854:                             ;   in Loop: Header=BB4_4278 Depth=2
	s_mov_b32 s25, 0x7f800001
	s_xor_b32 s10, exec_lo, -1
; %bb.4855:                             ;   in Loop: Header=BB4_4278 Depth=2
	s_or_b32 exec_lo, exec_lo, s27
	s_delay_alu instid0(SALU_CYCLE_1)
	s_and_b32 s10, s10, exec_lo
	s_or_saveexec_b32 s26, s26
	v_mov_b32_e32 v117, s25
	s_xor_b32 exec_lo, exec_lo, s26
	s_cbranch_execz .LBB4_4593
.LBB4_4856:                             ;   in Loop: Header=BB4_4278 Depth=2
	v_cmp_ne_u16_e32 vcc_lo, 0, v118
	v_mov_b32_e32 v117, 0
	s_and_not1_b32 s10, s10, exec_lo
	s_and_b32 s25, vcc_lo, exec_lo
	s_delay_alu instid0(SALU_CYCLE_1)
	s_or_b32 s10, s10, s25
	s_or_b32 exec_lo, exec_lo, s26
	s_and_saveexec_b32 s25, s10
	s_cbranch_execnz .LBB4_4594
	s_branch .LBB4_4595
.LBB4_4857:                             ;   in Loop: Header=BB4_4278 Depth=2
	s_mov_b32 s10, -1
	s_mov_b32 s27, exec_lo
                                        ; implicit-def: $sgpr25
	v_cmpx_eq_u16_e32 0x80, v116
; %bb.4858:                             ;   in Loop: Header=BB4_4278 Depth=2
	s_mov_b32 s25, 0x7f800001
	s_xor_b32 s10, exec_lo, -1
; %bb.4859:                             ;   in Loop: Header=BB4_4278 Depth=2
	s_or_b32 exec_lo, exec_lo, s27
	s_delay_alu instid0(SALU_CYCLE_1)
	s_and_b32 s10, s10, exec_lo
	s_or_saveexec_b32 s26, s26
	v_mov_b32_e32 v118, s25
	s_xor_b32 exec_lo, exec_lo, s26
	s_cbranch_execz .LBB4_4597
.LBB4_4860:                             ;   in Loop: Header=BB4_4278 Depth=2
	v_cmp_ne_u16_e32 vcc_lo, 0, v116
	v_mov_b32_e32 v118, 0
	s_and_not1_b32 s10, s10, exec_lo
	s_and_b32 s25, vcc_lo, exec_lo
	s_delay_alu instid0(SALU_CYCLE_1)
	s_or_b32 s10, s10, s25
	s_or_b32 exec_lo, exec_lo, s26
	s_and_saveexec_b32 s25, s10
	s_cbranch_execnz .LBB4_4598
	s_branch .LBB4_4599
.LBB4_4861:                             ;   in Loop: Header=BB4_4278 Depth=2
	s_mov_b32 s10, -1
	s_mov_b32 s27, exec_lo
                                        ; implicit-def: $sgpr25
	v_cmpx_eq_u16_e32 0x80, v117
; %bb.4862:                             ;   in Loop: Header=BB4_4278 Depth=2
	s_mov_b32 s25, 0x7f800001
	s_xor_b32 s10, exec_lo, -1
; %bb.4863:                             ;   in Loop: Header=BB4_4278 Depth=2
	s_or_b32 exec_lo, exec_lo, s27
	s_delay_alu instid0(SALU_CYCLE_1)
	s_and_b32 s10, s10, exec_lo
                                        ; implicit-def: $vgpr117
	s_or_saveexec_b32 s26, s26
	v_mov_b32_e32 v116, s25
	s_xor_b32 exec_lo, exec_lo, s26
	s_cbranch_execz .LBB4_4609
.LBB4_4864:                             ;   in Loop: Header=BB4_4278 Depth=2
	v_cmp_ne_u16_e32 vcc_lo, 0, v117
	v_mov_b32_e32 v116, 0
	s_and_not1_b32 s10, s10, exec_lo
	s_and_b32 s25, vcc_lo, exec_lo
	s_delay_alu instid0(SALU_CYCLE_1)
	s_or_b32 s10, s10, s25
	s_or_b32 exec_lo, exec_lo, s26
	s_and_saveexec_b32 s25, s10
	s_cbranch_execnz .LBB4_4610
	s_branch .LBB4_4611
.LBB4_4865:                             ;   in Loop: Header=BB4_4278 Depth=2
	s_mov_b32 s10, -1
	s_mov_b32 s27, exec_lo
                                        ; implicit-def: $sgpr25
	v_cmpx_eq_u16_e32 0x80, v117
; %bb.4866:                             ;   in Loop: Header=BB4_4278 Depth=2
	s_mov_b32 s25, 0x7f800001
	s_xor_b32 s10, exec_lo, -1
; %bb.4867:                             ;   in Loop: Header=BB4_4278 Depth=2
	s_or_b32 exec_lo, exec_lo, s27
	s_delay_alu instid0(SALU_CYCLE_1)
	s_and_b32 s10, s10, exec_lo
                                        ; implicit-def: $vgpr117
	s_or_saveexec_b32 s26, s26
	v_mov_b32_e32 v103, s25
	s_xor_b32 exec_lo, exec_lo, s26
	s_cbranch_execz .LBB4_4613
.LBB4_4868:                             ;   in Loop: Header=BB4_4278 Depth=2
	v_cmp_ne_u16_e32 vcc_lo, 0, v117
	v_mov_b32_e32 v103, 0
	s_and_not1_b32 s10, s10, exec_lo
	s_and_b32 s25, vcc_lo, exec_lo
	s_delay_alu instid0(SALU_CYCLE_1)
	s_or_b32 s10, s10, s25
	s_or_b32 exec_lo, exec_lo, s26
	s_and_saveexec_b32 s25, s10
	s_cbranch_execnz .LBB4_4614
	s_branch .LBB4_4615
.LBB4_4869:                             ;   in Loop: Header=BB4_4278 Depth=2
	s_mov_b32 s10, -1
	s_mov_b32 s27, exec_lo
                                        ; implicit-def: $sgpr25
	v_cmpx_eq_u16_e32 0x80, v117
; %bb.4870:                             ;   in Loop: Header=BB4_4278 Depth=2
	s_mov_b32 s25, 0x7f800001
	s_xor_b32 s10, exec_lo, -1
; %bb.4871:                             ;   in Loop: Header=BB4_4278 Depth=2
	s_or_b32 exec_lo, exec_lo, s27
	s_delay_alu instid0(SALU_CYCLE_1)
	s_and_b32 s10, s10, exec_lo
                                        ; implicit-def: $vgpr117
	s_or_saveexec_b32 s26, s26
	v_mov_b32_e32 v116, s25
	s_xor_b32 exec_lo, exec_lo, s26
	s_cbranch_execz .LBB4_4625
.LBB4_4872:                             ;   in Loop: Header=BB4_4278 Depth=2
	v_cmp_ne_u16_e32 vcc_lo, 0, v117
	v_mov_b32_e32 v116, 0
	s_and_not1_b32 s10, s10, exec_lo
	s_and_b32 s25, vcc_lo, exec_lo
	s_delay_alu instid0(SALU_CYCLE_1)
	s_or_b32 s10, s10, s25
	s_or_b32 exec_lo, exec_lo, s26
	s_and_saveexec_b32 s25, s10
	s_cbranch_execnz .LBB4_4626
	s_branch .LBB4_4627
.LBB4_4873:                             ;   in Loop: Header=BB4_4278 Depth=2
	s_mov_b32 s10, -1
	s_mov_b32 s27, exec_lo
                                        ; implicit-def: $sgpr25
	v_cmpx_eq_u16_e32 0x80, v101
; %bb.4874:                             ;   in Loop: Header=BB4_4278 Depth=2
	s_mov_b32 s25, 0x7f800001
	s_xor_b32 s10, exec_lo, -1
; %bb.4875:                             ;   in Loop: Header=BB4_4278 Depth=2
	s_or_b32 exec_lo, exec_lo, s27
	s_delay_alu instid0(SALU_CYCLE_1)
	s_and_b32 s10, s10, exec_lo
	s_or_saveexec_b32 s26, s26
	v_mov_b32_e32 v117, s25
	s_xor_b32 exec_lo, exec_lo, s26
	s_cbranch_execz .LBB4_4629
.LBB4_4876:                             ;   in Loop: Header=BB4_4278 Depth=2
	v_cmp_ne_u16_e32 vcc_lo, 0, v101
	v_mov_b32_e32 v117, 0
	s_and_not1_b32 s10, s10, exec_lo
	s_and_b32 s25, vcc_lo, exec_lo
	s_delay_alu instid0(SALU_CYCLE_1)
	s_or_b32 s10, s10, s25
	s_or_b32 exec_lo, exec_lo, s26
	s_and_saveexec_b32 s25, s10
	s_cbranch_execnz .LBB4_4630
	s_branch .LBB4_4631
.LBB4_4877:                             ;   in Loop: Header=BB4_4278 Depth=2
	s_mov_b32 s10, -1
	s_mov_b32 s27, exec_lo
                                        ; implicit-def: $sgpr25
	v_cmpx_eq_u16_e32 0x80, v117
; %bb.4878:                             ;   in Loop: Header=BB4_4278 Depth=2
	s_mov_b32 s25, 0x7f800001
	s_xor_b32 s10, exec_lo, -1
; %bb.4879:                             ;   in Loop: Header=BB4_4278 Depth=2
	s_or_b32 exec_lo, exec_lo, s27
	s_delay_alu instid0(SALU_CYCLE_1)
	s_and_b32 s10, s10, exec_lo
                                        ; implicit-def: $vgpr117
	s_or_saveexec_b32 s26, s26
	v_mov_b32_e32 v116, s25
	s_xor_b32 exec_lo, exec_lo, s26
	s_cbranch_execz .LBB4_4641
.LBB4_4880:                             ;   in Loop: Header=BB4_4278 Depth=2
	v_cmp_ne_u16_e32 vcc_lo, 0, v117
	v_mov_b32_e32 v116, 0
	s_and_not1_b32 s10, s10, exec_lo
	s_and_b32 s25, vcc_lo, exec_lo
	s_delay_alu instid0(SALU_CYCLE_1)
	s_or_b32 s10, s10, s25
	s_or_b32 exec_lo, exec_lo, s26
	s_and_saveexec_b32 s25, s10
	s_cbranch_execnz .LBB4_4642
	s_branch .LBB4_4643
.LBB4_4881:                             ;   in Loop: Header=BB4_4278 Depth=2
	s_mov_b32 s10, -1
	s_mov_b32 s27, exec_lo
                                        ; implicit-def: $sgpr25
	v_cmpx_eq_u16_e32 0x80, v118
; %bb.4882:                             ;   in Loop: Header=BB4_4278 Depth=2
	s_mov_b32 s25, 0x7f800001
	s_xor_b32 s10, exec_lo, -1
; %bb.4883:                             ;   in Loop: Header=BB4_4278 Depth=2
	s_or_b32 exec_lo, exec_lo, s27
	s_delay_alu instid0(SALU_CYCLE_1)
	s_and_b32 s10, s10, exec_lo
                                        ; implicit-def: $vgpr118
	s_or_saveexec_b32 s26, s26
	v_mov_b32_e32 v117, s25
	s_xor_b32 exec_lo, exec_lo, s26
	s_cbranch_execz .LBB4_4645
.LBB4_4884:                             ;   in Loop: Header=BB4_4278 Depth=2
	v_cmp_ne_u16_e32 vcc_lo, 0, v118
	v_mov_b32_e32 v117, 0
	s_and_not1_b32 s10, s10, exec_lo
	s_and_b32 s25, vcc_lo, exec_lo
	s_delay_alu instid0(SALU_CYCLE_1)
	s_or_b32 s10, s10, s25
	s_or_b32 exec_lo, exec_lo, s26
	s_and_saveexec_b32 s25, s10
	s_cbranch_execnz .LBB4_4646
	s_branch .LBB4_4647
.LBB4_4885:                             ;   in Loop: Header=BB4_4278 Depth=2
	s_mov_b32 s10, -1
	s_mov_b32 s27, exec_lo
                                        ; implicit-def: $sgpr25
	v_cmpx_eq_u16_e32 0x80, v117
; %bb.4886:                             ;   in Loop: Header=BB4_4278 Depth=2
	s_mov_b32 s25, 0x7f800001
	s_xor_b32 s10, exec_lo, -1
; %bb.4887:                             ;   in Loop: Header=BB4_4278 Depth=2
	s_or_b32 exec_lo, exec_lo, s27
	s_delay_alu instid0(SALU_CYCLE_1)
	s_and_b32 s10, s10, exec_lo
	s_or_saveexec_b32 s26, s26
	v_mov_b32_e32 v116, s25
	s_xor_b32 exec_lo, exec_lo, s26
	s_cbranch_execz .LBB4_4657
.LBB4_4888:                             ;   in Loop: Header=BB4_4278 Depth=2
	v_cmp_ne_u16_e32 vcc_lo, 0, v117
	v_mov_b32_e32 v116, 0
	s_and_not1_b32 s10, s10, exec_lo
	s_and_b32 s25, vcc_lo, exec_lo
	s_delay_alu instid0(SALU_CYCLE_1)
	s_or_b32 s10, s10, s25
	s_or_b32 exec_lo, exec_lo, s26
	s_and_saveexec_b32 s25, s10
	s_cbranch_execnz .LBB4_4658
	s_branch .LBB4_4659
.LBB4_4889:                             ;   in Loop: Header=BB4_4278 Depth=2
	s_mov_b32 s10, -1
	s_mov_b32 s27, exec_lo
                                        ; implicit-def: $sgpr25
	v_cmpx_eq_u16_e32 0x80, v97
; %bb.4890:                             ;   in Loop: Header=BB4_4278 Depth=2
	s_mov_b32 s25, 0x7f800001
	s_xor_b32 s10, exec_lo, -1
; %bb.4891:                             ;   in Loop: Header=BB4_4278 Depth=2
	s_or_b32 exec_lo, exec_lo, s27
	s_delay_alu instid0(SALU_CYCLE_1)
	s_and_b32 s10, s10, exec_lo
	s_or_saveexec_b32 s26, s26
	v_mov_b32_e32 v117, s25
	s_xor_b32 exec_lo, exec_lo, s26
	s_cbranch_execz .LBB4_4661
.LBB4_4892:                             ;   in Loop: Header=BB4_4278 Depth=2
	v_cmp_ne_u16_e32 vcc_lo, 0, v97
	v_mov_b32_e32 v117, 0
	s_and_not1_b32 s10, s10, exec_lo
	s_and_b32 s25, vcc_lo, exec_lo
	s_delay_alu instid0(SALU_CYCLE_1)
	s_or_b32 s10, s10, s25
	s_or_b32 exec_lo, exec_lo, s26
	s_and_saveexec_b32 s25, s10
	s_cbranch_execnz .LBB4_4662
	s_branch .LBB4_4663
.LBB4_4893:                             ;   in Loop: Header=BB4_4278 Depth=2
	s_mov_b32 s10, -1
	s_mov_b32 s27, exec_lo
                                        ; implicit-def: $sgpr25
	v_cmpx_eq_u16_e32 0x80, v102
; %bb.4894:                             ;   in Loop: Header=BB4_4278 Depth=2
	s_mov_b32 s25, 0x7f800001
	s_xor_b32 s10, exec_lo, -1
; %bb.4895:                             ;   in Loop: Header=BB4_4278 Depth=2
	s_or_b32 exec_lo, exec_lo, s27
	s_delay_alu instid0(SALU_CYCLE_1)
	s_and_b32 s10, s10, exec_lo
                                        ; implicit-def: $vgpr102
	s_or_saveexec_b32 s26, s26
	v_mov_b32_e32 v96, s25
	s_xor_b32 exec_lo, exec_lo, s26
	s_cbranch_execz .LBB4_4673
.LBB4_4896:                             ;   in Loop: Header=BB4_4278 Depth=2
	v_cmp_ne_u16_e32 vcc_lo, 0, v102
	v_mov_b32_e32 v96, 0
	s_and_not1_b32 s10, s10, exec_lo
	s_and_b32 s25, vcc_lo, exec_lo
	s_delay_alu instid0(SALU_CYCLE_1)
	s_or_b32 s10, s10, s25
	s_or_b32 exec_lo, exec_lo, s26
	s_and_saveexec_b32 s25, s10
	s_cbranch_execnz .LBB4_4674
	s_branch .LBB4_4675
.LBB4_4897:                             ;   in Loop: Header=BB4_4278 Depth=2
	s_mov_b32 s10, -1
	s_mov_b32 s27, exec_lo
                                        ; implicit-def: $sgpr25
	v_cmpx_eq_u16_e32 0x80, v116
; %bb.4898:                             ;   in Loop: Header=BB4_4278 Depth=2
	s_mov_b32 s25, 0x7f800001
	s_xor_b32 s10, exec_lo, -1
; %bb.4899:                             ;   in Loop: Header=BB4_4278 Depth=2
	s_or_b32 exec_lo, exec_lo, s27
	s_delay_alu instid0(SALU_CYCLE_1)
	s_and_b32 s10, s10, exec_lo
                                        ; implicit-def: $vgpr116
	s_or_saveexec_b32 s26, s26
	v_mov_b32_e32 v102, s25
	s_xor_b32 exec_lo, exec_lo, s26
	s_cbranch_execz .LBB4_4677
.LBB4_4900:                             ;   in Loop: Header=BB4_4278 Depth=2
	v_cmp_ne_u16_e32 vcc_lo, 0, v116
	v_mov_b32_e32 v102, 0
	s_and_not1_b32 s10, s10, exec_lo
	s_and_b32 s25, vcc_lo, exec_lo
	s_delay_alu instid0(SALU_CYCLE_1)
	s_or_b32 s10, s10, s25
	s_or_b32 exec_lo, exec_lo, s26
	s_and_saveexec_b32 s25, s10
	s_cbranch_execnz .LBB4_4678
	s_branch .LBB4_4679
.LBB4_4901:                             ;   in Loop: Header=BB4_4278 Depth=2
	s_mov_b32 s10, -1
	s_mov_b32 s27, exec_lo
                                        ; implicit-def: $sgpr25
	v_cmpx_eq_u16_e32 0x80, v116
; %bb.4902:                             ;   in Loop: Header=BB4_4278 Depth=2
	s_mov_b32 s25, 0x7f800001
	s_xor_b32 s10, exec_lo, -1
; %bb.4903:                             ;   in Loop: Header=BB4_4278 Depth=2
	s_or_b32 exec_lo, exec_lo, s27
	s_delay_alu instid0(SALU_CYCLE_1)
	s_and_b32 s10, s10, exec_lo
	s_or_saveexec_b32 s26, s26
	v_mov_b32_e32 v102, s25
	s_xor_b32 exec_lo, exec_lo, s26
	s_cbranch_execz .LBB4_4689
.LBB4_4904:                             ;   in Loop: Header=BB4_4278 Depth=2
	v_cmp_ne_u16_e32 vcc_lo, 0, v116
	v_mov_b32_e32 v102, 0
	s_and_not1_b32 s10, s10, exec_lo
	s_and_b32 s25, vcc_lo, exec_lo
	s_delay_alu instid0(SALU_CYCLE_1)
	s_or_b32 s10, s10, s25
	s_or_b32 exec_lo, exec_lo, s26
	s_and_saveexec_b32 s25, s10
	s_cbranch_execnz .LBB4_4690
	s_branch .LBB4_4691
.LBB4_4905:                             ;   in Loop: Header=BB4_4278 Depth=2
	s_mov_b32 s10, -1
	s_mov_b32 s27, exec_lo
                                        ; implicit-def: $sgpr25
	v_cmpx_eq_u16_e32 0x80, v116
; %bb.4906:                             ;   in Loop: Header=BB4_4278 Depth=2
	s_mov_b32 s25, 0x7f800001
	s_xor_b32 s10, exec_lo, -1
; %bb.4907:                             ;   in Loop: Header=BB4_4278 Depth=2
	s_or_b32 exec_lo, exec_lo, s27
	s_delay_alu instid0(SALU_CYCLE_1)
	s_and_b32 s10, s10, exec_lo
	s_or_saveexec_b32 s26, s26
	v_mov_b32_e32 v117, s25
	s_xor_b32 exec_lo, exec_lo, s26
	s_cbranch_execz .LBB4_4693
.LBB4_4908:                             ;   in Loop: Header=BB4_4278 Depth=2
	v_cmp_ne_u16_e32 vcc_lo, 0, v116
	v_mov_b32_e32 v117, 0
	s_and_not1_b32 s10, s10, exec_lo
	s_and_b32 s25, vcc_lo, exec_lo
	s_delay_alu instid0(SALU_CYCLE_1)
	s_or_b32 s10, s10, s25
	s_or_b32 exec_lo, exec_lo, s26
	s_and_saveexec_b32 s25, s10
	s_cbranch_execnz .LBB4_4694
	s_branch .LBB4_4695
.LBB4_4909:                             ;   in Loop: Header=BB4_4278 Depth=2
	s_mov_b32 s10, -1
	s_mov_b32 s27, exec_lo
                                        ; implicit-def: $sgpr25
	v_cmpx_eq_u16_e32 0x80, v116
; %bb.4910:                             ;   in Loop: Header=BB4_4278 Depth=2
	s_mov_b32 s25, 0x7f800001
	s_xor_b32 s10, exec_lo, -1
; %bb.4911:                             ;   in Loop: Header=BB4_4278 Depth=2
	s_or_b32 exec_lo, exec_lo, s27
	s_delay_alu instid0(SALU_CYCLE_1)
	s_and_b32 s10, s10, exec_lo
                                        ; implicit-def: $vgpr116
	s_or_saveexec_b32 s26, s26
	v_mov_b32_e32 v87, s25
	s_xor_b32 exec_lo, exec_lo, s26
	s_cbranch_execz .LBB4_4705
.LBB4_4912:                             ;   in Loop: Header=BB4_4278 Depth=2
	v_cmp_ne_u16_e32 vcc_lo, 0, v116
	v_mov_b32_e32 v87, 0
	s_and_not1_b32 s10, s10, exec_lo
	s_and_b32 s25, vcc_lo, exec_lo
	s_delay_alu instid0(SALU_CYCLE_1)
	s_or_b32 s10, s10, s25
	s_or_b32 exec_lo, exec_lo, s26
	v_lshl_or_b32 v97, v99, 16, v97
	s_and_saveexec_b32 s25, s10
	s_cbranch_execnz .LBB4_4706
	s_branch .LBB4_4707
.LBB4_4913:                             ;   in Loop: Header=BB4_4278 Depth=2
	s_mov_b32 s10, -1
	s_mov_b32 s27, exec_lo
                                        ; implicit-def: $sgpr25
	v_cmpx_eq_u16_e32 0x80, v117
; %bb.4914:                             ;   in Loop: Header=BB4_4278 Depth=2
	s_mov_b32 s25, 0x7f800001
	s_xor_b32 s10, exec_lo, -1
; %bb.4915:                             ;   in Loop: Header=BB4_4278 Depth=2
	s_or_b32 exec_lo, exec_lo, s27
	s_delay_alu instid0(SALU_CYCLE_1)
	s_and_b32 s10, s10, exec_lo
                                        ; implicit-def: $vgpr117
	s_or_saveexec_b32 s26, s26
	v_mov_b32_e32 v116, s25
	s_xor_b32 exec_lo, exec_lo, s26
	s_cbranch_execz .LBB4_4709
.LBB4_4916:                             ;   in Loop: Header=BB4_4278 Depth=2
	v_cmp_ne_u16_e32 vcc_lo, 0, v117
	v_mov_b32_e32 v116, 0
	s_and_not1_b32 s10, s10, exec_lo
	s_and_b32 s25, vcc_lo, exec_lo
	s_delay_alu instid0(SALU_CYCLE_1)
	s_or_b32 s10, s10, s25
	s_or_b32 exec_lo, exec_lo, s26
	s_and_saveexec_b32 s25, s10
	s_cbranch_execnz .LBB4_4710
	s_branch .LBB4_4711
.LBB4_4917:                             ;   in Loop: Header=BB4_4278 Depth=2
	s_mov_b32 s10, -1
	s_mov_b32 s27, exec_lo
                                        ; implicit-def: $sgpr25
	v_cmpx_eq_u16_e32 0x80, v116
; %bb.4918:                             ;   in Loop: Header=BB4_4278 Depth=2
	s_mov_b32 s25, 0x7f800001
	s_xor_b32 s10, exec_lo, -1
; %bb.4919:                             ;   in Loop: Header=BB4_4278 Depth=2
	s_or_b32 exec_lo, exec_lo, s27
	s_delay_alu instid0(SALU_CYCLE_1)
	s_and_b32 s10, s10, exec_lo
	s_or_saveexec_b32 s26, s26
	v_mov_b32_e32 v99, s25
	s_xor_b32 exec_lo, exec_lo, s26
	s_cbranch_execz .LBB4_4721
.LBB4_4920:                             ;   in Loop: Header=BB4_4278 Depth=2
	v_cmp_ne_u16_e32 vcc_lo, 0, v116
	v_mov_b32_e32 v99, 0
	s_and_not1_b32 s10, s10, exec_lo
	s_and_b32 s25, vcc_lo, exec_lo
	s_delay_alu instid0(SALU_CYCLE_1)
	s_or_b32 s10, s10, s25
	s_or_b32 exec_lo, exec_lo, s26
	s_and_saveexec_b32 s25, s10
	s_cbranch_execnz .LBB4_4722
	s_branch .LBB4_4723
.LBB4_4921:                             ;   in Loop: Header=BB4_4278 Depth=2
	s_mov_b32 s10, -1
	s_mov_b32 s27, exec_lo
                                        ; implicit-def: $sgpr25
	v_cmpx_eq_u16_e32 0x80, v97
; %bb.4922:                             ;   in Loop: Header=BB4_4278 Depth=2
	s_mov_b32 s25, 0x7f800001
	s_xor_b32 s10, exec_lo, -1
; %bb.4923:                             ;   in Loop: Header=BB4_4278 Depth=2
	s_or_b32 exec_lo, exec_lo, s27
	s_delay_alu instid0(SALU_CYCLE_1)
	s_and_b32 s10, s10, exec_lo
	s_or_saveexec_b32 s26, s26
	v_mov_b32_e32 v116, s25
	s_xor_b32 exec_lo, exec_lo, s26
	s_cbranch_execz .LBB4_4725
.LBB4_4924:                             ;   in Loop: Header=BB4_4278 Depth=2
	v_cmp_ne_u16_e32 vcc_lo, 0, v97
	v_mov_b32_e32 v116, 0
	s_and_not1_b32 s10, s10, exec_lo
	s_and_b32 s25, vcc_lo, exec_lo
	s_delay_alu instid0(SALU_CYCLE_1)
	s_or_b32 s10, s10, s25
	s_or_b32 exec_lo, exec_lo, s26
	s_and_saveexec_b32 s25, s10
	s_cbranch_execnz .LBB4_4726
	s_branch .LBB4_4727
.LBB4_4925:                             ;   in Loop: Header=BB4_2897 Depth=1
	s_or_b32 exec_lo, exec_lo, s23
.LBB4_4926:                             ;   in Loop: Header=BB4_2897 Depth=1
	s_delay_alu instid0(SALU_CYCLE_1) | instskip(SKIP_3) | instid1(VALU_DEP_1)
	s_or_b32 exec_lo, exec_lo, s22
	v_dual_mov_b32 v48, 0 :: v_dual_and_b32 v11, 15, v34
	s_mov_b32 s10, 0
	s_mov_b32 s22, exec_lo
                                        ; implicit-def: $vgpr50
                                        ; implicit-def: $vgpr10
	v_cndmask_b32_e64 v49, v52, v11, s7
	s_delay_alu instid0(VALU_DEP_1)
	v_cmpx_ne_u32_e32 0, v49
	s_cbranch_execz .LBB4_4928
; %bb.4927:                             ;   in Loop: Header=BB4_2897 Depth=1
	v_cmp_lt_i32_e32 vcc_lo, 0, v53
	v_sub_nc_u32_e32 v11, v52, v11
	v_and_b32_e32 v12, 0x3ffffe00, v34
	s_mov_b32 s10, exec_lo
	v_cndmask_b32_e32 v10, 0, v54, vcc_lo
	s_delay_alu instid0(VALU_DEP_3) | instskip(NEXT) | instid1(VALU_DEP_2)
	v_cndmask_b32_e64 v11, 0, v11, s7
	v_sub_nc_u32_e32 v10, v10, v53
	s_delay_alu instid0(VALU_DEP_2) | instskip(NEXT) | instid1(VALU_DEP_2)
	v_add_nc_u32_e32 v48, v11, v12
	v_lshl_add_u32 v50, v10, 5, v51
	s_delay_alu instid0(VALU_DEP_1) | instskip(NEXT) | instid1(VALU_DEP_1)
	v_ashrrev_i32_e32 v10, 31, v50
	v_lshrrev_b32_e32 v10, 27, v10
	s_delay_alu instid0(VALU_DEP_1) | instskip(NEXT) | instid1(VALU_DEP_1)
	v_add_nc_u32_e32 v10, v50, v10
	v_ashrrev_i32_e32 v10, 5, v10
.LBB4_4928:                             ;   in Loop: Header=BB4_2897 Depth=1
	s_or_b32 exec_lo, exec_lo, s22
	s_delay_alu instid0(SALU_CYCLE_1)
	s_and_b32 s7, s10, exec_lo
.LBB4_4929:                             ;   in Loop: Header=BB4_2897 Depth=1
	s_or_b32 exec_lo, exec_lo, s21
.LBB4_4930:                             ;   in Loop: Header=BB4_2897 Depth=1
	s_and_saveexec_b32 s10, s7
	s_cbranch_execz .LBB4_5641
; %bb.4931:                             ;   in Loop: Header=BB4_2897 Depth=1
	s_delay_alu instid0(VALU_DEP_1) | instskip(SKIP_1) | instid1(VALU_DEP_1)
	v_ashrrev_i32_e32 v11, 31, v49
	s_mov_b32 s21, exec_lo
	v_lshrrev_b32_e32 v11, 23, v11
	s_delay_alu instid0(VALU_DEP_1) | instskip(NEXT) | instid1(VALU_DEP_1)
	v_add_nc_u32_e32 v11, v49, v11
	v_ashrrev_i32_e32 v52, 9, v11
	s_delay_alu instid0(VALU_DEP_1) | instskip(NEXT) | instid1(VALU_DEP_1)
	v_sub_nc_u32_e32 v51, v52, v10
	v_cmpx_lt_i32_e32 0, v51
	s_cbranch_execz .LBB4_5586
; %bb.4932:                             ;   in Loop: Header=BB4_2897 Depth=1
	s_cbranch_execnz .LBB4_7707
; %bb.4933:                             ;   in Loop: Header=BB4_2897 Depth=1
	v_ashrrev_i32_e32 v11, 31, v50
	ds_load_b64 v[15:16], v0
	v_lshlrev_b32_e32 v10, 9, v10
	s_mov_b32 s22, 0
	v_lshrrev_b32_e32 v11, 27, v11
	s_delay_alu instid0(VALU_DEP_1) | instskip(NEXT) | instid1(VALU_DEP_1)
	v_add_nc_u32_e32 v11, v50, v11
	v_and_b32_e32 v17, 0xffffffe0, v11
	ds_load_b128 v[11:14], v0
	v_sub_nc_u32_e32 v17, v50, v17
	s_waitcnt lgkmcnt(1)
	v_add_co_u32 v15, vcc_lo, 0x1e0, v15
	v_add_co_ci_u32_e32 v16, vcc_lo, 0, v16, vcc_lo
	s_delay_alu instid0(VALU_DEP_3) | instskip(NEXT) | instid1(VALU_DEP_1)
	v_add3_u32 v17, v48, v17, v10
	v_ashrrev_i32_e32 v53, 31, v17
	s_waitcnt lgkmcnt(0)
	v_add_co_u32 v10, vcc_lo, v11, v17
	s_delay_alu instid0(VALU_DEP_2)
	v_add_co_ci_u32_e32 v11, vcc_lo, v12, v53, vcc_lo
	v_add_co_u32 v12, vcc_lo, v13, v17
	v_add_co_ci_u32_e32 v13, vcc_lo, v14, v53, vcc_lo
	v_add_co_u32 v14, vcc_lo, v15, v17
	v_add_co_ci_u32_e32 v15, vcc_lo, v16, v53, vcc_lo
.LBB4_4934:                             ;   Parent Loop BB4_2897 Depth=1
                                        ; =>  This Inner Loop Header: Depth=2
	s_cbranch_execnz .LBB4_7709
; %bb.4935:                             ;   in Loop: Header=BB4_4934 Depth=2
	ds_load_b64 v[16:17], v0
	s_waitcnt lgkmcnt(0)
	v_and_b32_e32 v17, 0xff, v16
	v_readfirstlane_b32 s7, v16
	s_delay_alu instid0(VALU_DEP_2)
	v_cmp_gt_i16_e32 vcc_lo, 0x80, v17
	s_cbranch_vccnz .LBB4_4939
; %bb.4936:                             ;   in Loop: Header=BB4_4934 Depth=2
	v_cmp_eq_u16_e32 vcc_lo, 0x80, v17
	s_mov_b32 s23, -1
                                        ; implicit-def: $sgpr24
	s_cbranch_vccz .LBB4_4938
; %bb.4937:                             ;   in Loop: Header=BB4_4934 Depth=2
	s_mov_b32 s23, 0
	s_mov_b32 s24, 0x7f800001
.LBB4_4938:                             ;   in Loop: Header=BB4_4934 Depth=2
	s_mov_b32 s25, 0
	s_branch .LBB4_4940
.LBB4_4939:                             ;   in Loop: Header=BB4_4934 Depth=2
	s_mov_b32 s25, -1
	s_mov_b32 s23, 0
                                        ; implicit-def: $sgpr24
.LBB4_4940:                             ;   in Loop: Header=BB4_4934 Depth=2
	s_and_b32 vcc_lo, exec_lo, s25
	s_cbranch_vccz .LBB4_4942
; %bb.4941:                             ;   in Loop: Header=BB4_4934 Depth=2
	v_cmp_ne_u16_e64 s23, 0, v17
	s_mov_b32 s24, 0
.LBB4_4942:                             ;   in Loop: Header=BB4_4934 Depth=2
	s_delay_alu instid0(SALU_CYCLE_1) | instskip(NEXT) | instid1(VALU_DEP_2)
	v_mov_b32_e32 v17, s24
	s_and_not1_b32 vcc_lo, exec_lo, s23
	s_cbranch_vccnz .LBB4_4944
; %bb.4943:                             ;   in Loop: Header=BB4_4934 Depth=2
	s_and_b32 s23, s7, 7
	s_bfe_u32 s25, s7, 0x40003
	s_clz_i32_u32 s24, s23
	v_lshlrev_b32_e32 v16, 24, v16
	s_min_u32 s24, s24, 32
	s_delay_alu instid0(SALU_CYCLE_1)
	s_sub_i32 s26, s24, 28
	s_sub_i32 s24, 29, s24
	s_lshl_b32 s7, s7, s26
	v_and_b32_e32 v16, 0x80000000, v16
	s_and_b32 s7, s7, 7
	s_cmp_eq_u32 s25, 0
	s_cselect_b32 s24, s24, s25
	s_cselect_b32 s7, s7, s23
	s_lshl_b32 s23, s24, 23
	s_lshl_b32 s7, s7, 20
	s_add_i32 s23, s23, 0x3b800000
	s_delay_alu instid0(SALU_CYCLE_1) | instskip(NEXT) | instid1(VALU_DEP_1)
	v_or_b32_e32 v16, s23, v16
	v_or_b32_e32 v17, s7, v16
.LBB4_4944:                             ;   in Loop: Header=BB4_4934 Depth=2
	flat_load_u8 v16, v[10:11] slc dlc
	s_mov_b32 s7, 0
	s_mov_b32 s24, exec_lo
                                        ; implicit-def: $sgpr23
	s_waitcnt vmcnt(0) lgkmcnt(0)
	v_cmpx_lt_i16_e32 0x7f, v16
	s_xor_b32 s24, exec_lo, s24
	s_cbranch_execnz .LBB4_5393
; %bb.4945:                             ;   in Loop: Header=BB4_4934 Depth=2
	s_or_saveexec_b32 s24, s24
	v_mov_b32_e32 v53, s23
	s_xor_b32 exec_lo, exec_lo, s24
	s_cbranch_execnz .LBB4_5396
.LBB4_4946:                             ;   in Loop: Header=BB4_4934 Depth=2
	s_or_b32 exec_lo, exec_lo, s24
	s_and_saveexec_b32 s23, s7
	s_cbranch_execz .LBB4_4948
.LBB4_4947:                             ;   in Loop: Header=BB4_4934 Depth=2
	v_and_b32_e32 v53, 0xffff, v16
	s_delay_alu instid0(VALU_DEP_1) | instskip(NEXT) | instid1(VALU_DEP_1)
	v_and_b32_e32 v85, 7, v53
	v_clz_i32_u32_e32 v86, v85
	s_delay_alu instid0(VALU_DEP_1) | instskip(NEXT) | instid1(VALU_DEP_1)
	v_min_u32_e32 v86, 32, v86
	v_subrev_nc_u32_e32 v87, 28, v86
	v_sub_nc_u32_e32 v86, 29, v86
	s_delay_alu instid0(VALU_DEP_2) | instskip(SKIP_1) | instid1(VALU_DEP_2)
	v_lshlrev_b32_e32 v87, v87, v53
	v_bfe_u32 v53, v53, 3, 4
	v_and_b32_e32 v87, 7, v87
	s_delay_alu instid0(VALU_DEP_2) | instskip(SKIP_1) | instid1(VALU_DEP_1)
	v_cmp_eq_u32_e32 vcc_lo, 0, v53
	v_dual_cndmask_b32 v53, v53, v86 :: v_dual_lshlrev_b32 v16, 24, v16
	v_dual_cndmask_b32 v85, v85, v87 :: v_dual_and_b32 v16, 0x80000000, v16
	s_delay_alu instid0(VALU_DEP_2) | instskip(NEXT) | instid1(VALU_DEP_2)
	v_lshl_add_u32 v53, v53, 23, 0x3b800000
	v_lshlrev_b32_e32 v85, 20, v85
	s_delay_alu instid0(VALU_DEP_1)
	v_or3_b32 v53, v16, v53, v85
.LBB4_4948:                             ;   in Loop: Header=BB4_4934 Depth=2
	s_or_b32 exec_lo, exec_lo, s23
	s_delay_alu instid0(VALU_DEP_1) | instskip(NEXT) | instid1(VALU_DEP_1)
	v_mul_f32_e32 v16, v17, v53
	v_and_b32_e32 v53, 0x7f800000, v16
	s_delay_alu instid0(VALU_DEP_1)
	v_cmp_ne_u32_e32 vcc_lo, 0x7f800000, v53
	v_mov_b32_e32 v53, 0x80
	s_and_saveexec_b32 s23, vcc_lo
	s_cbranch_execz .LBB4_4956
; %bb.4949:                             ;   in Loop: Header=BB4_4934 Depth=2
	v_mov_b32_e32 v53, 0
	s_mov_b32 s24, exec_lo
	v_cmpx_ne_u32_e32 0, v16
	s_cbranch_execz .LBB4_4955
; %bb.4950:                             ;   in Loop: Header=BB4_4934 Depth=2
	v_bfe_u32 v53, v16, 23, 8
	s_delay_alu instid0(VALU_DEP_1) | instskip(SKIP_1) | instid1(VALU_DEP_2)
	v_sub_nc_u32_e32 v86, 0x78, v53
	v_cmp_gt_u32_e32 vcc_lo, 0x79, v53
	v_dual_cndmask_b32 v86, 0, v86 :: v_dual_and_b32 v85, 0x7fffff, v16
	s_delay_alu instid0(VALU_DEP_1) | instskip(SKIP_2) | instid1(VALU_DEP_4)
	v_or_b32_e32 v87, 0x800000, v85
	v_cmp_eq_u32_e32 vcc_lo, 0, v53
	v_add_nc_u32_e32 v53, 0xffffff89, v53
	v_cndmask_b32_e64 v86, v86, 0x77, vcc_lo
	s_delay_alu instid0(VALU_DEP_4) | instskip(NEXT) | instid1(VALU_DEP_3)
	v_cndmask_b32_e32 v85, v87, v85, vcc_lo
	v_cndmask_b32_e64 v53, v53, 0xffffff8a, vcc_lo
	s_delay_alu instid0(VALU_DEP_3) | instskip(NEXT) | instid1(VALU_DEP_3)
	v_lshl_add_u32 v87, 0x100000, v86, -1
	v_lshrrev_b32_e32 v96, v86, v85
	v_lshlrev_b32_e64 v98, v86, 0x80000
	s_delay_alu instid0(VALU_DEP_4) | instskip(NEXT) | instid1(VALU_DEP_4)
	v_add_nc_u32_e32 v86, v86, v53
	v_and_b32_e32 v85, v87, v85
	s_delay_alu instid0(VALU_DEP_4) | instskip(NEXT) | instid1(VALU_DEP_2)
	v_bfe_u32 v97, v96, 20, 1
	v_cmp_eq_u32_e64 s7, v85, v98
	s_delay_alu instid0(VALU_DEP_2) | instskip(NEXT) | instid1(VALU_DEP_1)
	v_add_nc_u32_e32 v87, -1, v97
	v_cndmask_b32_e64 v85, 0, v87, s7
	v_lshrrev_b32_e32 v87, 23, v96
	s_mov_b32 s7, exec_lo
	s_delay_alu instid0(VALU_DEP_2) | instskip(NEXT) | instid1(VALU_DEP_2)
	v_add_nc_u32_e32 v85, v85, v96
	v_xor_b32_e32 v87, 1, v87
	s_delay_alu instid0(VALU_DEP_2) | instskip(NEXT) | instid1(VALU_DEP_1)
	v_and_b32_e32 v53, 0xfffff, v85
	v_add_nc_u32_e32 v85, v53, v96
                                        ; implicit-def: $vgpr53
	s_delay_alu instid0(VALU_DEP_3)
	v_cmpx_ne_u32_e64 v86, v87
	s_xor_b32 s7, exec_lo, s7
; %bb.4951:                             ;   in Loop: Header=BB4_4934 Depth=2
	s_delay_alu instid0(VALU_DEP_2) | instskip(SKIP_2) | instid1(VALU_DEP_2)
	v_cmp_lt_u32_e32 vcc_lo, 0xffffff, v85
	v_sub_nc_u32_e32 v53, v86, v87
	v_cndmask_b32_e64 v86, 0, 1, vcc_lo
	v_add_co_ci_u32_e32 v53, vcc_lo, 0, v53, vcc_lo
	s_delay_alu instid0(VALU_DEP_2)
	v_lshrrev_b32_e32 v85, v86, v85
; %bb.4952:                             ;   in Loop: Header=BB4_4934 Depth=2
	s_and_not1_saveexec_b32 s7, s7
; %bb.4953:                             ;   in Loop: Header=BB4_4934 Depth=2
	s_delay_alu instid0(VALU_DEP_1)
	v_bfe_u32 v53, v85, 23, 1
; %bb.4954:                             ;   in Loop: Header=BB4_4934 Depth=2
	s_or_b32 exec_lo, exec_lo, s7
	v_lshrrev_b32_e32 v85, 20, v85
	s_delay_alu instid0(VALU_DEP_2) | instskip(SKIP_2) | instid1(VALU_DEP_2)
	v_cmp_gt_i32_e32 vcc_lo, 16, v53
	v_lshrrev_b32_e32 v16, 24, v16
	v_min_i32_e32 v86, 15, v53
	v_dual_cndmask_b32 v85, 7, v85 :: v_dual_and_b32 v16, 0x80, v16
	s_delay_alu instid0(VALU_DEP_1) | instskip(SKIP_1) | instid1(VALU_DEP_2)
	v_or_b32_e32 v53, v53, v85
	v_and_b32_e32 v87, 7, v85
	v_cmp_ne_u32_e32 vcc_lo, 0, v53
	v_lshlrev_b32_e32 v86, 3, v86
	s_delay_alu instid0(VALU_DEP_1) | instskip(NEXT) | instid1(VALU_DEP_1)
	v_or3_b32 v16, v86, v16, v87
	v_cndmask_b32_e32 v53, 0, v16, vcc_lo
.LBB4_4955:                             ;   in Loop: Header=BB4_4934 Depth=2
	s_or_b32 exec_lo, exec_lo, s24
.LBB4_4956:                             ;   in Loop: Header=BB4_4934 Depth=2
	s_delay_alu instid0(SALU_CYCLE_1)
	s_or_b32 exec_lo, exec_lo, s23
	flat_load_u8 v16, v[10:11] offset:32 slc dlc
	s_mov_b32 s7, 0
	s_mov_b32 s24, exec_lo
                                        ; implicit-def: $sgpr23
	s_waitcnt vmcnt(0) lgkmcnt(0)
	v_cmpx_lt_i16_e32 0x7f, v16
	s_xor_b32 s24, exec_lo, s24
	s_cbranch_execnz .LBB4_5397
; %bb.4957:                             ;   in Loop: Header=BB4_4934 Depth=2
	s_or_saveexec_b32 s24, s24
	v_mov_b32_e32 v85, s23
	s_xor_b32 exec_lo, exec_lo, s24
	s_cbranch_execnz .LBB4_5400
.LBB4_4958:                             ;   in Loop: Header=BB4_4934 Depth=2
	s_or_b32 exec_lo, exec_lo, s24
	s_and_saveexec_b32 s23, s7
	s_cbranch_execz .LBB4_4960
.LBB4_4959:                             ;   in Loop: Header=BB4_4934 Depth=2
	v_and_b32_e32 v85, 0xffff, v16
	v_lshlrev_b32_e32 v16, 24, v16
	s_delay_alu instid0(VALU_DEP_2) | instskip(NEXT) | instid1(VALU_DEP_2)
	v_and_b32_e32 v86, 7, v85
	v_and_b32_e32 v16, 0x80000000, v16
	s_delay_alu instid0(VALU_DEP_2) | instskip(NEXT) | instid1(VALU_DEP_1)
	v_clz_i32_u32_e32 v87, v86
	v_min_u32_e32 v87, 32, v87
	s_delay_alu instid0(VALU_DEP_1) | instskip(SKIP_1) | instid1(VALU_DEP_2)
	v_subrev_nc_u32_e32 v96, 28, v87
	v_sub_nc_u32_e32 v87, 29, v87
	v_lshlrev_b32_e32 v96, v96, v85
	v_bfe_u32 v85, v85, 3, 4
	s_delay_alu instid0(VALU_DEP_2) | instskip(NEXT) | instid1(VALU_DEP_2)
	v_and_b32_e32 v96, 7, v96
	v_cmp_eq_u32_e32 vcc_lo, 0, v85
	s_delay_alu instid0(VALU_DEP_2) | instskip(NEXT) | instid1(VALU_DEP_1)
	v_dual_cndmask_b32 v85, v85, v87 :: v_dual_cndmask_b32 v86, v86, v96
	v_lshl_add_u32 v85, v85, 23, 0x3b800000
	s_delay_alu instid0(VALU_DEP_2) | instskip(NEXT) | instid1(VALU_DEP_1)
	v_lshlrev_b32_e32 v86, 20, v86
	v_or3_b32 v85, v16, v85, v86
.LBB4_4960:                             ;   in Loop: Header=BB4_4934 Depth=2
	s_or_b32 exec_lo, exec_lo, s23
	s_delay_alu instid0(VALU_DEP_1) | instskip(SKIP_1) | instid1(VALU_DEP_1)
	v_dual_mul_f32 v16, v17, v85 :: v_dual_mov_b32 v97, 0x80
	s_mov_b32 s23, exec_lo
	v_and_b32_e32 v85, 0x7f800000, v16
	s_delay_alu instid0(VALU_DEP_1)
	v_cmpx_ne_u32_e32 0x7f800000, v85
	s_cbranch_execz .LBB4_4968
; %bb.4961:                             ;   in Loop: Header=BB4_4934 Depth=2
	v_mov_b32_e32 v97, 0
	s_mov_b32 s24, exec_lo
	v_cmpx_ne_u32_e32 0, v16
	s_cbranch_execz .LBB4_4967
; %bb.4962:                             ;   in Loop: Header=BB4_4934 Depth=2
	v_bfe_u32 v85, v16, 23, 8
	s_delay_alu instid0(VALU_DEP_1) | instskip(SKIP_1) | instid1(VALU_DEP_2)
	v_sub_nc_u32_e32 v87, 0x78, v85
	v_cmp_gt_u32_e32 vcc_lo, 0x79, v85
	v_dual_cndmask_b32 v87, 0, v87 :: v_dual_and_b32 v86, 0x7fffff, v16
	s_delay_alu instid0(VALU_DEP_1) | instskip(SKIP_2) | instid1(VALU_DEP_4)
	v_or_b32_e32 v96, 0x800000, v86
	v_cmp_eq_u32_e32 vcc_lo, 0, v85
	v_add_nc_u32_e32 v85, 0xffffff89, v85
	v_cndmask_b32_e64 v87, v87, 0x77, vcc_lo
	s_delay_alu instid0(VALU_DEP_4) | instskip(NEXT) | instid1(VALU_DEP_3)
	v_cndmask_b32_e32 v86, v96, v86, vcc_lo
	v_cndmask_b32_e64 v85, v85, 0xffffff8a, vcc_lo
	s_delay_alu instid0(VALU_DEP_3) | instskip(NEXT) | instid1(VALU_DEP_3)
	v_lshl_add_u32 v96, 0x100000, v87, -1
	v_lshrrev_b32_e32 v97, v87, v86
	v_lshlrev_b32_e64 v99, v87, 0x80000
	s_delay_alu instid0(VALU_DEP_4) | instskip(NEXT) | instid1(VALU_DEP_4)
	v_add_nc_u32_e32 v87, v87, v85
	v_and_b32_e32 v86, v96, v86
	s_delay_alu instid0(VALU_DEP_4) | instskip(NEXT) | instid1(VALU_DEP_2)
	v_bfe_u32 v98, v97, 20, 1
	v_cmp_eq_u32_e64 s7, v86, v99
	s_delay_alu instid0(VALU_DEP_2) | instskip(NEXT) | instid1(VALU_DEP_1)
	v_add_nc_u32_e32 v96, -1, v98
	v_cndmask_b32_e64 v86, 0, v96, s7
	v_lshrrev_b32_e32 v96, 23, v97
	s_mov_b32 s7, exec_lo
	s_delay_alu instid0(VALU_DEP_2) | instskip(NEXT) | instid1(VALU_DEP_2)
	v_add_nc_u32_e32 v86, v86, v97
	v_xor_b32_e32 v96, 1, v96
	s_delay_alu instid0(VALU_DEP_2) | instskip(NEXT) | instid1(VALU_DEP_1)
	v_and_b32_e32 v85, 0xfffff, v86
	v_add_nc_u32_e32 v86, v85, v97
                                        ; implicit-def: $vgpr85
	s_delay_alu instid0(VALU_DEP_3)
	v_cmpx_ne_u32_e64 v87, v96
	s_xor_b32 s7, exec_lo, s7
; %bb.4963:                             ;   in Loop: Header=BB4_4934 Depth=2
	s_delay_alu instid0(VALU_DEP_2) | instskip(SKIP_2) | instid1(VALU_DEP_2)
	v_cmp_lt_u32_e32 vcc_lo, 0xffffff, v86
	v_sub_nc_u32_e32 v85, v87, v96
	v_cndmask_b32_e64 v87, 0, 1, vcc_lo
	v_add_co_ci_u32_e32 v85, vcc_lo, 0, v85, vcc_lo
	s_delay_alu instid0(VALU_DEP_2)
	v_lshrrev_b32_e32 v86, v87, v86
; %bb.4964:                             ;   in Loop: Header=BB4_4934 Depth=2
	s_and_not1_saveexec_b32 s7, s7
; %bb.4965:                             ;   in Loop: Header=BB4_4934 Depth=2
	s_delay_alu instid0(VALU_DEP_1)
	v_bfe_u32 v85, v86, 23, 1
; %bb.4966:                             ;   in Loop: Header=BB4_4934 Depth=2
	s_or_b32 exec_lo, exec_lo, s7
	v_lshrrev_b32_e32 v86, 20, v86
	s_delay_alu instid0(VALU_DEP_2) | instskip(SKIP_2) | instid1(VALU_DEP_2)
	v_cmp_gt_i32_e32 vcc_lo, 16, v85
	v_min_i32_e32 v87, 15, v85
	v_lshrrev_b32_e32 v16, 24, v16
	v_dual_cndmask_b32 v86, 7, v86 :: v_dual_lshlrev_b32 v87, 3, v87
	s_delay_alu instid0(VALU_DEP_2) | instskip(NEXT) | instid1(VALU_DEP_2)
	v_and_b32_e32 v16, 0x80, v16
	v_or_b32_e32 v85, v85, v86
	s_delay_alu instid0(VALU_DEP_1) | instskip(SKIP_1) | instid1(VALU_DEP_1)
	v_cmp_ne_u32_e32 vcc_lo, 0, v85
	v_and_b32_e32 v96, 7, v86
	v_or3_b32 v16, v87, v16, v96
	s_delay_alu instid0(VALU_DEP_1)
	v_cndmask_b32_e32 v97, 0, v16, vcc_lo
.LBB4_4967:                             ;   in Loop: Header=BB4_4934 Depth=2
	s_or_b32 exec_lo, exec_lo, s24
.LBB4_4968:                             ;   in Loop: Header=BB4_4934 Depth=2
	s_delay_alu instid0(SALU_CYCLE_1)
	s_or_b32 exec_lo, exec_lo, s23
	flat_load_u8 v16, v[10:11] offset:64 slc dlc
	s_mov_b32 s7, 0
	s_mov_b32 s24, exec_lo
                                        ; implicit-def: $sgpr23
	s_waitcnt vmcnt(0) lgkmcnt(0)
	v_cmpx_lt_i16_e32 0x7f, v16
	s_xor_b32 s24, exec_lo, s24
	s_cbranch_execnz .LBB4_5401
; %bb.4969:                             ;   in Loop: Header=BB4_4934 Depth=2
	s_or_saveexec_b32 s24, s24
	v_mov_b32_e32 v85, s23
	s_xor_b32 exec_lo, exec_lo, s24
	s_cbranch_execnz .LBB4_5404
.LBB4_4970:                             ;   in Loop: Header=BB4_4934 Depth=2
	s_or_b32 exec_lo, exec_lo, s24
	s_and_saveexec_b32 s23, s7
	s_cbranch_execz .LBB4_4972
.LBB4_4971:                             ;   in Loop: Header=BB4_4934 Depth=2
	v_and_b32_e32 v85, 0xffff, v16
	v_lshlrev_b32_e32 v16, 24, v16
	s_delay_alu instid0(VALU_DEP_2) | instskip(NEXT) | instid1(VALU_DEP_2)
	v_and_b32_e32 v86, 7, v85
	v_and_b32_e32 v16, 0x80000000, v16
	s_delay_alu instid0(VALU_DEP_2) | instskip(NEXT) | instid1(VALU_DEP_1)
	v_clz_i32_u32_e32 v87, v86
	v_min_u32_e32 v87, 32, v87
	s_delay_alu instid0(VALU_DEP_1) | instskip(SKIP_1) | instid1(VALU_DEP_2)
	v_subrev_nc_u32_e32 v96, 28, v87
	v_sub_nc_u32_e32 v87, 29, v87
	v_lshlrev_b32_e32 v96, v96, v85
	v_bfe_u32 v85, v85, 3, 4
	s_delay_alu instid0(VALU_DEP_2) | instskip(NEXT) | instid1(VALU_DEP_2)
	v_and_b32_e32 v96, 7, v96
	v_cmp_eq_u32_e32 vcc_lo, 0, v85
	s_delay_alu instid0(VALU_DEP_2) | instskip(NEXT) | instid1(VALU_DEP_1)
	v_dual_cndmask_b32 v85, v85, v87 :: v_dual_cndmask_b32 v86, v86, v96
	v_lshl_add_u32 v85, v85, 23, 0x3b800000
	s_delay_alu instid0(VALU_DEP_2) | instskip(NEXT) | instid1(VALU_DEP_1)
	v_lshlrev_b32_e32 v86, 20, v86
	v_or3_b32 v85, v16, v85, v86
.LBB4_4972:                             ;   in Loop: Header=BB4_4934 Depth=2
	s_or_b32 exec_lo, exec_lo, s23
	s_delay_alu instid0(VALU_DEP_1) | instskip(SKIP_1) | instid1(VALU_DEP_1)
	v_dual_mul_f32 v16, v17, v85 :: v_dual_mov_b32 v103, 0x80
	s_mov_b32 s23, exec_lo
	v_and_b32_e32 v85, 0x7f800000, v16
	s_delay_alu instid0(VALU_DEP_1)
	v_cmpx_ne_u32_e32 0x7f800000, v85
	s_cbranch_execz .LBB4_4980
; %bb.4973:                             ;   in Loop: Header=BB4_4934 Depth=2
	v_mov_b32_e32 v103, 0
	s_mov_b32 s24, exec_lo
	v_cmpx_ne_u32_e32 0, v16
	s_cbranch_execz .LBB4_4979
; %bb.4974:                             ;   in Loop: Header=BB4_4934 Depth=2
	v_bfe_u32 v85, v16, 23, 8
	s_delay_alu instid0(VALU_DEP_1) | instskip(SKIP_1) | instid1(VALU_DEP_2)
	v_sub_nc_u32_e32 v87, 0x78, v85
	v_cmp_gt_u32_e32 vcc_lo, 0x79, v85
	v_dual_cndmask_b32 v87, 0, v87 :: v_dual_and_b32 v86, 0x7fffff, v16
	s_delay_alu instid0(VALU_DEP_1) | instskip(SKIP_2) | instid1(VALU_DEP_4)
	v_or_b32_e32 v96, 0x800000, v86
	v_cmp_eq_u32_e32 vcc_lo, 0, v85
	v_add_nc_u32_e32 v85, 0xffffff89, v85
	v_cndmask_b32_e64 v87, v87, 0x77, vcc_lo
	s_delay_alu instid0(VALU_DEP_4) | instskip(NEXT) | instid1(VALU_DEP_3)
	v_cndmask_b32_e32 v86, v96, v86, vcc_lo
	v_cndmask_b32_e64 v85, v85, 0xffffff8a, vcc_lo
	s_delay_alu instid0(VALU_DEP_3) | instskip(NEXT) | instid1(VALU_DEP_3)
	v_lshl_add_u32 v96, 0x100000, v87, -1
	v_lshrrev_b32_e32 v98, v87, v86
	v_lshlrev_b32_e64 v100, v87, 0x80000
	s_delay_alu instid0(VALU_DEP_4) | instskip(NEXT) | instid1(VALU_DEP_4)
	v_add_nc_u32_e32 v87, v87, v85
	v_and_b32_e32 v86, v96, v86
	s_delay_alu instid0(VALU_DEP_4) | instskip(NEXT) | instid1(VALU_DEP_2)
	v_bfe_u32 v99, v98, 20, 1
	v_cmp_eq_u32_e64 s7, v86, v100
	s_delay_alu instid0(VALU_DEP_2) | instskip(NEXT) | instid1(VALU_DEP_1)
	v_add_nc_u32_e32 v96, -1, v99
	v_cndmask_b32_e64 v86, 0, v96, s7
	v_lshrrev_b32_e32 v96, 23, v98
	s_mov_b32 s7, exec_lo
	s_delay_alu instid0(VALU_DEP_2) | instskip(NEXT) | instid1(VALU_DEP_2)
	v_add_nc_u32_e32 v86, v86, v98
	v_xor_b32_e32 v96, 1, v96
	s_delay_alu instid0(VALU_DEP_2) | instskip(NEXT) | instid1(VALU_DEP_1)
	v_and_b32_e32 v85, 0xfffff, v86
	v_add_nc_u32_e32 v86, v85, v98
                                        ; implicit-def: $vgpr85
	s_delay_alu instid0(VALU_DEP_3)
	v_cmpx_ne_u32_e64 v87, v96
	s_xor_b32 s7, exec_lo, s7
; %bb.4975:                             ;   in Loop: Header=BB4_4934 Depth=2
	s_delay_alu instid0(VALU_DEP_2) | instskip(SKIP_2) | instid1(VALU_DEP_2)
	v_cmp_lt_u32_e32 vcc_lo, 0xffffff, v86
	v_sub_nc_u32_e32 v85, v87, v96
	v_cndmask_b32_e64 v87, 0, 1, vcc_lo
	v_add_co_ci_u32_e32 v85, vcc_lo, 0, v85, vcc_lo
	s_delay_alu instid0(VALU_DEP_2)
	v_lshrrev_b32_e32 v86, v87, v86
; %bb.4976:                             ;   in Loop: Header=BB4_4934 Depth=2
	s_and_not1_saveexec_b32 s7, s7
; %bb.4977:                             ;   in Loop: Header=BB4_4934 Depth=2
	s_delay_alu instid0(VALU_DEP_1)
	v_bfe_u32 v85, v86, 23, 1
; %bb.4978:                             ;   in Loop: Header=BB4_4934 Depth=2
	s_or_b32 exec_lo, exec_lo, s7
	v_lshrrev_b32_e32 v86, 20, v86
	s_delay_alu instid0(VALU_DEP_2) | instskip(SKIP_2) | instid1(VALU_DEP_2)
	v_cmp_gt_i32_e32 vcc_lo, 16, v85
	v_min_i32_e32 v87, 15, v85
	v_lshrrev_b32_e32 v16, 24, v16
	v_dual_cndmask_b32 v86, 7, v86 :: v_dual_lshlrev_b32 v87, 3, v87
	s_delay_alu instid0(VALU_DEP_2) | instskip(NEXT) | instid1(VALU_DEP_2)
	v_and_b32_e32 v16, 0x80, v16
	v_or_b32_e32 v85, v85, v86
	s_delay_alu instid0(VALU_DEP_1) | instskip(SKIP_1) | instid1(VALU_DEP_1)
	v_cmp_ne_u32_e32 vcc_lo, 0, v85
	v_and_b32_e32 v96, 7, v86
	v_or3_b32 v16, v87, v16, v96
	s_delay_alu instid0(VALU_DEP_1)
	v_cndmask_b32_e32 v103, 0, v16, vcc_lo
.LBB4_4979:                             ;   in Loop: Header=BB4_4934 Depth=2
	s_or_b32 exec_lo, exec_lo, s24
.LBB4_4980:                             ;   in Loop: Header=BB4_4934 Depth=2
	s_delay_alu instid0(SALU_CYCLE_1)
	s_or_b32 exec_lo, exec_lo, s23
	flat_load_u8 v16, v[10:11] offset:96 slc dlc
	s_mov_b32 s7, 0
	s_mov_b32 s24, exec_lo
                                        ; implicit-def: $sgpr23
	s_waitcnt vmcnt(0) lgkmcnt(0)
	v_cmpx_lt_i16_e32 0x7f, v16
	s_xor_b32 s24, exec_lo, s24
	s_cbranch_execnz .LBB4_5405
; %bb.4981:                             ;   in Loop: Header=BB4_4934 Depth=2
	s_or_saveexec_b32 s24, s24
	v_mov_b32_e32 v85, s23
	s_xor_b32 exec_lo, exec_lo, s24
	s_cbranch_execnz .LBB4_5408
.LBB4_4982:                             ;   in Loop: Header=BB4_4934 Depth=2
	s_or_b32 exec_lo, exec_lo, s24
	s_and_saveexec_b32 s23, s7
	s_cbranch_execz .LBB4_4984
.LBB4_4983:                             ;   in Loop: Header=BB4_4934 Depth=2
	v_and_b32_e32 v85, 0xffff, v16
	v_lshlrev_b32_e32 v16, 24, v16
	s_delay_alu instid0(VALU_DEP_2) | instskip(NEXT) | instid1(VALU_DEP_2)
	v_and_b32_e32 v86, 7, v85
	v_and_b32_e32 v16, 0x80000000, v16
	s_delay_alu instid0(VALU_DEP_2) | instskip(NEXT) | instid1(VALU_DEP_1)
	v_clz_i32_u32_e32 v87, v86
	v_min_u32_e32 v87, 32, v87
	s_delay_alu instid0(VALU_DEP_1) | instskip(SKIP_1) | instid1(VALU_DEP_2)
	v_subrev_nc_u32_e32 v96, 28, v87
	v_sub_nc_u32_e32 v87, 29, v87
	v_lshlrev_b32_e32 v96, v96, v85
	v_bfe_u32 v85, v85, 3, 4
	s_delay_alu instid0(VALU_DEP_2) | instskip(NEXT) | instid1(VALU_DEP_2)
	v_and_b32_e32 v96, 7, v96
	v_cmp_eq_u32_e32 vcc_lo, 0, v85
	s_delay_alu instid0(VALU_DEP_2) | instskip(NEXT) | instid1(VALU_DEP_1)
	v_dual_cndmask_b32 v85, v85, v87 :: v_dual_cndmask_b32 v86, v86, v96
	v_lshl_add_u32 v85, v85, 23, 0x3b800000
	s_delay_alu instid0(VALU_DEP_2) | instskip(NEXT) | instid1(VALU_DEP_1)
	v_lshlrev_b32_e32 v86, 20, v86
	v_or3_b32 v85, v16, v85, v86
.LBB4_4984:                             ;   in Loop: Header=BB4_4934 Depth=2
	s_or_b32 exec_lo, exec_lo, s23
	s_delay_alu instid0(VALU_DEP_1) | instskip(SKIP_2) | instid1(VALU_DEP_2)
	v_mul_f32_e32 v16, v17, v85
	v_mov_b32_e32 v116, 0x80
	s_mov_b32 s23, exec_lo
	v_and_b32_e32 v85, 0x7f800000, v16
	s_delay_alu instid0(VALU_DEP_1)
	v_cmpx_ne_u32_e32 0x7f800000, v85
	s_cbranch_execz .LBB4_4992
; %bb.4985:                             ;   in Loop: Header=BB4_4934 Depth=2
	v_mov_b32_e32 v116, 0
	s_mov_b32 s24, exec_lo
	v_cmpx_ne_u32_e32 0, v16
	s_cbranch_execz .LBB4_4991
; %bb.4986:                             ;   in Loop: Header=BB4_4934 Depth=2
	v_bfe_u32 v85, v16, 23, 8
	s_delay_alu instid0(VALU_DEP_1) | instskip(SKIP_1) | instid1(VALU_DEP_2)
	v_sub_nc_u32_e32 v87, 0x78, v85
	v_cmp_gt_u32_e32 vcc_lo, 0x79, v85
	v_dual_cndmask_b32 v87, 0, v87 :: v_dual_and_b32 v86, 0x7fffff, v16
	s_delay_alu instid0(VALU_DEP_1) | instskip(SKIP_2) | instid1(VALU_DEP_4)
	v_or_b32_e32 v96, 0x800000, v86
	v_cmp_eq_u32_e32 vcc_lo, 0, v85
	v_add_nc_u32_e32 v85, 0xffffff89, v85
	v_cndmask_b32_e64 v87, v87, 0x77, vcc_lo
	s_delay_alu instid0(VALU_DEP_4) | instskip(NEXT) | instid1(VALU_DEP_3)
	v_cndmask_b32_e32 v86, v96, v86, vcc_lo
	v_cndmask_b32_e64 v85, v85, 0xffffff8a, vcc_lo
	s_delay_alu instid0(VALU_DEP_3) | instskip(NEXT) | instid1(VALU_DEP_3)
	v_lshl_add_u32 v96, 0x100000, v87, -1
	v_lshrrev_b32_e32 v98, v87, v86
	v_lshlrev_b32_e64 v100, v87, 0x80000
	s_delay_alu instid0(VALU_DEP_4) | instskip(NEXT) | instid1(VALU_DEP_4)
	v_add_nc_u32_e32 v87, v87, v85
	v_and_b32_e32 v86, v96, v86
	s_delay_alu instid0(VALU_DEP_4) | instskip(NEXT) | instid1(VALU_DEP_2)
	v_bfe_u32 v99, v98, 20, 1
	v_cmp_eq_u32_e64 s7, v86, v100
	s_delay_alu instid0(VALU_DEP_2) | instskip(NEXT) | instid1(VALU_DEP_1)
	v_add_nc_u32_e32 v96, -1, v99
	v_cndmask_b32_e64 v86, 0, v96, s7
	v_lshrrev_b32_e32 v96, 23, v98
	s_mov_b32 s7, exec_lo
	s_delay_alu instid0(VALU_DEP_2) | instskip(NEXT) | instid1(VALU_DEP_2)
	v_add_nc_u32_e32 v86, v86, v98
	v_xor_b32_e32 v96, 1, v96
	s_delay_alu instid0(VALU_DEP_2) | instskip(NEXT) | instid1(VALU_DEP_1)
	v_and_b32_e32 v85, 0xfffff, v86
	v_add_nc_u32_e32 v86, v85, v98
                                        ; implicit-def: $vgpr85
	s_delay_alu instid0(VALU_DEP_3)
	v_cmpx_ne_u32_e64 v87, v96
	s_xor_b32 s7, exec_lo, s7
; %bb.4987:                             ;   in Loop: Header=BB4_4934 Depth=2
	s_delay_alu instid0(VALU_DEP_2) | instskip(SKIP_2) | instid1(VALU_DEP_2)
	v_cmp_lt_u32_e32 vcc_lo, 0xffffff, v86
	v_sub_nc_u32_e32 v85, v87, v96
	v_cndmask_b32_e64 v87, 0, 1, vcc_lo
	v_add_co_ci_u32_e32 v85, vcc_lo, 0, v85, vcc_lo
	s_delay_alu instid0(VALU_DEP_2)
	v_lshrrev_b32_e32 v86, v87, v86
; %bb.4988:                             ;   in Loop: Header=BB4_4934 Depth=2
	s_and_not1_saveexec_b32 s7, s7
; %bb.4989:                             ;   in Loop: Header=BB4_4934 Depth=2
	s_delay_alu instid0(VALU_DEP_1)
	v_bfe_u32 v85, v86, 23, 1
; %bb.4990:                             ;   in Loop: Header=BB4_4934 Depth=2
	s_or_b32 exec_lo, exec_lo, s7
	v_lshrrev_b32_e32 v86, 20, v86
	s_delay_alu instid0(VALU_DEP_2) | instskip(SKIP_2) | instid1(VALU_DEP_4)
	v_cmp_gt_i32_e32 vcc_lo, 16, v85
	v_lshrrev_b32_e32 v16, 24, v16
	v_min_i32_e32 v87, 15, v85
	v_cndmask_b32_e32 v86, 7, v86, vcc_lo
	s_delay_alu instid0(VALU_DEP_3) | instskip(NEXT) | instid1(VALU_DEP_3)
	v_and_b32_e32 v16, 0x80, v16
	v_lshlrev_b32_e32 v87, 3, v87
	s_delay_alu instid0(VALU_DEP_3) | instskip(SKIP_1) | instid1(VALU_DEP_2)
	v_and_b32_e32 v96, 7, v86
	v_or_b32_e32 v85, v85, v86
	v_or3_b32 v16, v87, v16, v96
	s_delay_alu instid0(VALU_DEP_2) | instskip(NEXT) | instid1(VALU_DEP_2)
	v_cmp_ne_u32_e32 vcc_lo, 0, v85
	v_cndmask_b32_e32 v116, 0, v16, vcc_lo
.LBB4_4991:                             ;   in Loop: Header=BB4_4934 Depth=2
	s_or_b32 exec_lo, exec_lo, s24
.LBB4_4992:                             ;   in Loop: Header=BB4_4934 Depth=2
	s_delay_alu instid0(SALU_CYCLE_1)
	s_or_b32 exec_lo, exec_lo, s23
	flat_load_u8 v16, v[10:11] offset:128 slc dlc
	s_mov_b32 s7, 0
	s_mov_b32 s24, exec_lo
                                        ; implicit-def: $sgpr23
	s_waitcnt vmcnt(0) lgkmcnt(0)
	v_cmpx_lt_i16_e32 0x7f, v16
	s_xor_b32 s24, exec_lo, s24
	s_cbranch_execnz .LBB4_5409
; %bb.4993:                             ;   in Loop: Header=BB4_4934 Depth=2
	s_or_saveexec_b32 s24, s24
	v_mov_b32_e32 v85, s23
	s_xor_b32 exec_lo, exec_lo, s24
	s_cbranch_execnz .LBB4_5412
.LBB4_4994:                             ;   in Loop: Header=BB4_4934 Depth=2
	s_or_b32 exec_lo, exec_lo, s24
	s_and_saveexec_b32 s23, s7
	s_cbranch_execz .LBB4_4996
.LBB4_4995:                             ;   in Loop: Header=BB4_4934 Depth=2
	v_and_b32_e32 v85, 0xffff, v16
	v_lshlrev_b32_e32 v16, 24, v16
	s_delay_alu instid0(VALU_DEP_2) | instskip(NEXT) | instid1(VALU_DEP_2)
	v_and_b32_e32 v86, 7, v85
	v_and_b32_e32 v16, 0x80000000, v16
	s_delay_alu instid0(VALU_DEP_2) | instskip(NEXT) | instid1(VALU_DEP_1)
	v_clz_i32_u32_e32 v87, v86
	v_min_u32_e32 v87, 32, v87
	s_delay_alu instid0(VALU_DEP_1) | instskip(SKIP_1) | instid1(VALU_DEP_2)
	v_subrev_nc_u32_e32 v96, 28, v87
	v_sub_nc_u32_e32 v87, 29, v87
	v_lshlrev_b32_e32 v96, v96, v85
	v_bfe_u32 v85, v85, 3, 4
	s_delay_alu instid0(VALU_DEP_2) | instskip(NEXT) | instid1(VALU_DEP_2)
	v_and_b32_e32 v96, 7, v96
	v_cmp_eq_u32_e32 vcc_lo, 0, v85
	s_delay_alu instid0(VALU_DEP_2) | instskip(NEXT) | instid1(VALU_DEP_1)
	v_dual_cndmask_b32 v85, v85, v87 :: v_dual_cndmask_b32 v86, v86, v96
	v_lshl_add_u32 v85, v85, 23, 0x3b800000
	s_delay_alu instid0(VALU_DEP_2) | instskip(NEXT) | instid1(VALU_DEP_1)
	v_lshlrev_b32_e32 v86, 20, v86
	v_or3_b32 v85, v16, v85, v86
.LBB4_4996:                             ;   in Loop: Header=BB4_4934 Depth=2
	s_or_b32 exec_lo, exec_lo, s23
	s_delay_alu instid0(VALU_DEP_1) | instskip(SKIP_1) | instid1(VALU_DEP_1)
	v_dual_mul_f32 v16, v17, v85 :: v_dual_mov_b32 v117, 0x80
	s_mov_b32 s23, exec_lo
	v_and_b32_e32 v85, 0x7f800000, v16
	s_delay_alu instid0(VALU_DEP_1)
	v_cmpx_ne_u32_e32 0x7f800000, v85
	s_cbranch_execz .LBB4_5004
; %bb.4997:                             ;   in Loop: Header=BB4_4934 Depth=2
	v_mov_b32_e32 v117, 0
	s_mov_b32 s24, exec_lo
	v_cmpx_ne_u32_e32 0, v16
	s_cbranch_execz .LBB4_5003
; %bb.4998:                             ;   in Loop: Header=BB4_4934 Depth=2
	v_bfe_u32 v85, v16, 23, 8
	s_delay_alu instid0(VALU_DEP_1) | instskip(SKIP_1) | instid1(VALU_DEP_2)
	v_sub_nc_u32_e32 v87, 0x78, v85
	v_cmp_gt_u32_e32 vcc_lo, 0x79, v85
	v_dual_cndmask_b32 v87, 0, v87 :: v_dual_and_b32 v86, 0x7fffff, v16
	s_delay_alu instid0(VALU_DEP_1) | instskip(SKIP_2) | instid1(VALU_DEP_4)
	v_or_b32_e32 v96, 0x800000, v86
	v_cmp_eq_u32_e32 vcc_lo, 0, v85
	v_add_nc_u32_e32 v85, 0xffffff89, v85
	v_cndmask_b32_e64 v87, v87, 0x77, vcc_lo
	s_delay_alu instid0(VALU_DEP_4) | instskip(NEXT) | instid1(VALU_DEP_3)
	v_cndmask_b32_e32 v86, v96, v86, vcc_lo
	v_cndmask_b32_e64 v85, v85, 0xffffff8a, vcc_lo
	s_delay_alu instid0(VALU_DEP_3) | instskip(NEXT) | instid1(VALU_DEP_3)
	v_lshl_add_u32 v96, 0x100000, v87, -1
	v_lshrrev_b32_e32 v98, v87, v86
	v_lshlrev_b32_e64 v100, v87, 0x80000
	s_delay_alu instid0(VALU_DEP_4) | instskip(NEXT) | instid1(VALU_DEP_4)
	v_add_nc_u32_e32 v87, v87, v85
	v_and_b32_e32 v86, v96, v86
	s_delay_alu instid0(VALU_DEP_4) | instskip(NEXT) | instid1(VALU_DEP_2)
	v_bfe_u32 v99, v98, 20, 1
	v_cmp_eq_u32_e64 s7, v86, v100
	s_delay_alu instid0(VALU_DEP_2) | instskip(NEXT) | instid1(VALU_DEP_1)
	v_add_nc_u32_e32 v96, -1, v99
	v_cndmask_b32_e64 v86, 0, v96, s7
	v_lshrrev_b32_e32 v96, 23, v98
	s_mov_b32 s7, exec_lo
	s_delay_alu instid0(VALU_DEP_2) | instskip(NEXT) | instid1(VALU_DEP_2)
	v_add_nc_u32_e32 v86, v86, v98
	v_xor_b32_e32 v96, 1, v96
	s_delay_alu instid0(VALU_DEP_2) | instskip(NEXT) | instid1(VALU_DEP_1)
	v_and_b32_e32 v85, 0xfffff, v86
	v_add_nc_u32_e32 v86, v85, v98
                                        ; implicit-def: $vgpr85
	s_delay_alu instid0(VALU_DEP_3)
	v_cmpx_ne_u32_e64 v87, v96
	s_xor_b32 s7, exec_lo, s7
; %bb.4999:                             ;   in Loop: Header=BB4_4934 Depth=2
	s_delay_alu instid0(VALU_DEP_2) | instskip(SKIP_2) | instid1(VALU_DEP_2)
	v_cmp_lt_u32_e32 vcc_lo, 0xffffff, v86
	v_sub_nc_u32_e32 v85, v87, v96
	v_cndmask_b32_e64 v87, 0, 1, vcc_lo
	v_add_co_ci_u32_e32 v85, vcc_lo, 0, v85, vcc_lo
	s_delay_alu instid0(VALU_DEP_2)
	v_lshrrev_b32_e32 v86, v87, v86
; %bb.5000:                             ;   in Loop: Header=BB4_4934 Depth=2
	s_and_not1_saveexec_b32 s7, s7
; %bb.5001:                             ;   in Loop: Header=BB4_4934 Depth=2
	s_delay_alu instid0(VALU_DEP_1)
	v_bfe_u32 v85, v86, 23, 1
; %bb.5002:                             ;   in Loop: Header=BB4_4934 Depth=2
	s_or_b32 exec_lo, exec_lo, s7
	v_lshrrev_b32_e32 v86, 20, v86
	s_delay_alu instid0(VALU_DEP_2) | instskip(SKIP_2) | instid1(VALU_DEP_2)
	v_cmp_gt_i32_e32 vcc_lo, 16, v85
	v_min_i32_e32 v87, 15, v85
	v_lshrrev_b32_e32 v16, 24, v16
	v_dual_cndmask_b32 v86, 7, v86 :: v_dual_lshlrev_b32 v87, 3, v87
	s_delay_alu instid0(VALU_DEP_2) | instskip(NEXT) | instid1(VALU_DEP_2)
	v_and_b32_e32 v16, 0x80, v16
	v_or_b32_e32 v85, v85, v86
	s_delay_alu instid0(VALU_DEP_1) | instskip(SKIP_1) | instid1(VALU_DEP_1)
	v_cmp_ne_u32_e32 vcc_lo, 0, v85
	v_and_b32_e32 v96, 7, v86
	v_or3_b32 v16, v87, v16, v96
	s_delay_alu instid0(VALU_DEP_1)
	v_cndmask_b32_e32 v117, 0, v16, vcc_lo
.LBB4_5003:                             ;   in Loop: Header=BB4_4934 Depth=2
	s_or_b32 exec_lo, exec_lo, s24
.LBB4_5004:                             ;   in Loop: Header=BB4_4934 Depth=2
	s_delay_alu instid0(SALU_CYCLE_1)
	s_or_b32 exec_lo, exec_lo, s23
	flat_load_u8 v16, v[10:11] offset:160 slc dlc
	s_mov_b32 s7, 0
	s_mov_b32 s24, exec_lo
                                        ; implicit-def: $sgpr23
	s_waitcnt vmcnt(0) lgkmcnt(0)
	v_cmpx_lt_i16_e32 0x7f, v16
	s_xor_b32 s24, exec_lo, s24
	s_cbranch_execnz .LBB4_5413
; %bb.5005:                             ;   in Loop: Header=BB4_4934 Depth=2
	s_or_saveexec_b32 s24, s24
	v_mov_b32_e32 v85, s23
	s_xor_b32 exec_lo, exec_lo, s24
	s_cbranch_execnz .LBB4_5416
.LBB4_5006:                             ;   in Loop: Header=BB4_4934 Depth=2
	s_or_b32 exec_lo, exec_lo, s24
	s_and_saveexec_b32 s23, s7
	s_cbranch_execz .LBB4_5008
.LBB4_5007:                             ;   in Loop: Header=BB4_4934 Depth=2
	v_and_b32_e32 v85, 0xffff, v16
	v_lshlrev_b32_e32 v16, 24, v16
	s_delay_alu instid0(VALU_DEP_2) | instskip(NEXT) | instid1(VALU_DEP_2)
	v_and_b32_e32 v86, 7, v85
	v_and_b32_e32 v16, 0x80000000, v16
	s_delay_alu instid0(VALU_DEP_2) | instskip(NEXT) | instid1(VALU_DEP_1)
	v_clz_i32_u32_e32 v87, v86
	v_min_u32_e32 v87, 32, v87
	s_delay_alu instid0(VALU_DEP_1) | instskip(SKIP_1) | instid1(VALU_DEP_2)
	v_subrev_nc_u32_e32 v96, 28, v87
	v_sub_nc_u32_e32 v87, 29, v87
	v_lshlrev_b32_e32 v96, v96, v85
	v_bfe_u32 v85, v85, 3, 4
	s_delay_alu instid0(VALU_DEP_2) | instskip(NEXT) | instid1(VALU_DEP_2)
	v_and_b32_e32 v96, 7, v96
	v_cmp_eq_u32_e32 vcc_lo, 0, v85
	s_delay_alu instid0(VALU_DEP_2) | instskip(NEXT) | instid1(VALU_DEP_1)
	v_dual_cndmask_b32 v85, v85, v87 :: v_dual_cndmask_b32 v86, v86, v96
	v_lshl_add_u32 v85, v85, 23, 0x3b800000
	s_delay_alu instid0(VALU_DEP_2) | instskip(NEXT) | instid1(VALU_DEP_1)
	v_lshlrev_b32_e32 v86, 20, v86
	v_or3_b32 v85, v16, v85, v86
.LBB4_5008:                             ;   in Loop: Header=BB4_4934 Depth=2
	s_or_b32 exec_lo, exec_lo, s23
	s_delay_alu instid0(VALU_DEP_1) | instskip(SKIP_1) | instid1(VALU_DEP_1)
	v_dual_mul_f32 v16, v17, v85 :: v_dual_mov_b32 v115, 0x80
	s_mov_b32 s23, exec_lo
	v_and_b32_e32 v85, 0x7f800000, v16
	s_delay_alu instid0(VALU_DEP_1)
	v_cmpx_ne_u32_e32 0x7f800000, v85
	s_cbranch_execz .LBB4_5016
; %bb.5009:                             ;   in Loop: Header=BB4_4934 Depth=2
	v_mov_b32_e32 v115, 0
	s_mov_b32 s24, exec_lo
	v_cmpx_ne_u32_e32 0, v16
	s_cbranch_execz .LBB4_5015
; %bb.5010:                             ;   in Loop: Header=BB4_4934 Depth=2
	v_bfe_u32 v85, v16, 23, 8
	s_delay_alu instid0(VALU_DEP_1) | instskip(SKIP_1) | instid1(VALU_DEP_2)
	v_sub_nc_u32_e32 v87, 0x78, v85
	v_cmp_gt_u32_e32 vcc_lo, 0x79, v85
	v_dual_cndmask_b32 v87, 0, v87 :: v_dual_and_b32 v86, 0x7fffff, v16
	s_delay_alu instid0(VALU_DEP_1) | instskip(SKIP_2) | instid1(VALU_DEP_4)
	v_or_b32_e32 v96, 0x800000, v86
	v_cmp_eq_u32_e32 vcc_lo, 0, v85
	v_add_nc_u32_e32 v85, 0xffffff89, v85
	v_cndmask_b32_e64 v87, v87, 0x77, vcc_lo
	s_delay_alu instid0(VALU_DEP_4) | instskip(NEXT) | instid1(VALU_DEP_3)
	v_cndmask_b32_e32 v86, v96, v86, vcc_lo
	v_cndmask_b32_e64 v85, v85, 0xffffff8a, vcc_lo
	s_delay_alu instid0(VALU_DEP_3) | instskip(NEXT) | instid1(VALU_DEP_3)
	v_lshl_add_u32 v96, 0x100000, v87, -1
	v_lshrrev_b32_e32 v98, v87, v86
	v_lshlrev_b32_e64 v100, v87, 0x80000
	s_delay_alu instid0(VALU_DEP_4) | instskip(NEXT) | instid1(VALU_DEP_4)
	v_add_nc_u32_e32 v87, v87, v85
	v_and_b32_e32 v86, v96, v86
	s_delay_alu instid0(VALU_DEP_4) | instskip(NEXT) | instid1(VALU_DEP_2)
	v_bfe_u32 v99, v98, 20, 1
	v_cmp_eq_u32_e64 s7, v86, v100
	s_delay_alu instid0(VALU_DEP_2) | instskip(NEXT) | instid1(VALU_DEP_1)
	v_add_nc_u32_e32 v96, -1, v99
	v_cndmask_b32_e64 v86, 0, v96, s7
	v_lshrrev_b32_e32 v96, 23, v98
	s_mov_b32 s7, exec_lo
	s_delay_alu instid0(VALU_DEP_2) | instskip(NEXT) | instid1(VALU_DEP_2)
	v_add_nc_u32_e32 v86, v86, v98
	v_xor_b32_e32 v96, 1, v96
	s_delay_alu instid0(VALU_DEP_2) | instskip(NEXT) | instid1(VALU_DEP_1)
	v_and_b32_e32 v85, 0xfffff, v86
	v_add_nc_u32_e32 v86, v85, v98
                                        ; implicit-def: $vgpr85
	s_delay_alu instid0(VALU_DEP_3)
	v_cmpx_ne_u32_e64 v87, v96
	s_xor_b32 s7, exec_lo, s7
; %bb.5011:                             ;   in Loop: Header=BB4_4934 Depth=2
	s_delay_alu instid0(VALU_DEP_2) | instskip(SKIP_2) | instid1(VALU_DEP_2)
	v_cmp_lt_u32_e32 vcc_lo, 0xffffff, v86
	v_sub_nc_u32_e32 v85, v87, v96
	v_cndmask_b32_e64 v87, 0, 1, vcc_lo
	v_add_co_ci_u32_e32 v85, vcc_lo, 0, v85, vcc_lo
	s_delay_alu instid0(VALU_DEP_2)
	v_lshrrev_b32_e32 v86, v87, v86
; %bb.5012:                             ;   in Loop: Header=BB4_4934 Depth=2
	s_and_not1_saveexec_b32 s7, s7
; %bb.5013:                             ;   in Loop: Header=BB4_4934 Depth=2
	s_delay_alu instid0(VALU_DEP_1)
	v_bfe_u32 v85, v86, 23, 1
; %bb.5014:                             ;   in Loop: Header=BB4_4934 Depth=2
	s_or_b32 exec_lo, exec_lo, s7
	v_lshrrev_b32_e32 v86, 20, v86
	s_delay_alu instid0(VALU_DEP_2) | instskip(SKIP_2) | instid1(VALU_DEP_2)
	v_cmp_gt_i32_e32 vcc_lo, 16, v85
	v_min_i32_e32 v87, 15, v85
	v_lshrrev_b32_e32 v16, 24, v16
	v_dual_cndmask_b32 v86, 7, v86 :: v_dual_lshlrev_b32 v87, 3, v87
	s_delay_alu instid0(VALU_DEP_2) | instskip(NEXT) | instid1(VALU_DEP_2)
	v_and_b32_e32 v16, 0x80, v16
	v_or_b32_e32 v85, v85, v86
	s_delay_alu instid0(VALU_DEP_1) | instskip(SKIP_1) | instid1(VALU_DEP_1)
	v_cmp_ne_u32_e32 vcc_lo, 0, v85
	v_and_b32_e32 v96, 7, v86
	v_or3_b32 v16, v87, v16, v96
	s_delay_alu instid0(VALU_DEP_1)
	v_cndmask_b32_e32 v115, 0, v16, vcc_lo
.LBB4_5015:                             ;   in Loop: Header=BB4_4934 Depth=2
	s_or_b32 exec_lo, exec_lo, s24
.LBB4_5016:                             ;   in Loop: Header=BB4_4934 Depth=2
	s_delay_alu instid0(SALU_CYCLE_1)
	s_or_b32 exec_lo, exec_lo, s23
	flat_load_u8 v16, v[10:11] offset:192 slc dlc
	s_mov_b32 s7, 0
	s_mov_b32 s24, exec_lo
                                        ; implicit-def: $sgpr23
	s_waitcnt vmcnt(0) lgkmcnt(0)
	v_cmpx_lt_i16_e32 0x7f, v16
	s_xor_b32 s24, exec_lo, s24
	s_cbranch_execnz .LBB4_5417
; %bb.5017:                             ;   in Loop: Header=BB4_4934 Depth=2
	s_or_saveexec_b32 s24, s24
	v_mov_b32_e32 v85, s23
	s_xor_b32 exec_lo, exec_lo, s24
	s_cbranch_execnz .LBB4_5420
.LBB4_5018:                             ;   in Loop: Header=BB4_4934 Depth=2
	s_or_b32 exec_lo, exec_lo, s24
	s_and_saveexec_b32 s23, s7
	s_cbranch_execz .LBB4_5020
.LBB4_5019:                             ;   in Loop: Header=BB4_4934 Depth=2
	v_and_b32_e32 v85, 0xffff, v16
	v_lshlrev_b32_e32 v16, 24, v16
	s_delay_alu instid0(VALU_DEP_2) | instskip(NEXT) | instid1(VALU_DEP_2)
	v_and_b32_e32 v86, 7, v85
	v_and_b32_e32 v16, 0x80000000, v16
	s_delay_alu instid0(VALU_DEP_2) | instskip(NEXT) | instid1(VALU_DEP_1)
	v_clz_i32_u32_e32 v87, v86
	v_min_u32_e32 v87, 32, v87
	s_delay_alu instid0(VALU_DEP_1) | instskip(SKIP_1) | instid1(VALU_DEP_2)
	v_subrev_nc_u32_e32 v96, 28, v87
	v_sub_nc_u32_e32 v87, 29, v87
	v_lshlrev_b32_e32 v96, v96, v85
	v_bfe_u32 v85, v85, 3, 4
	s_delay_alu instid0(VALU_DEP_2) | instskip(NEXT) | instid1(VALU_DEP_2)
	v_and_b32_e32 v96, 7, v96
	v_cmp_eq_u32_e32 vcc_lo, 0, v85
	s_delay_alu instid0(VALU_DEP_2) | instskip(NEXT) | instid1(VALU_DEP_1)
	v_dual_cndmask_b32 v85, v85, v87 :: v_dual_cndmask_b32 v86, v86, v96
	v_lshl_add_u32 v85, v85, 23, 0x3b800000
	s_delay_alu instid0(VALU_DEP_2) | instskip(NEXT) | instid1(VALU_DEP_1)
	v_lshlrev_b32_e32 v86, 20, v86
	v_or3_b32 v85, v16, v85, v86
.LBB4_5020:                             ;   in Loop: Header=BB4_4934 Depth=2
	s_or_b32 exec_lo, exec_lo, s23
	s_delay_alu instid0(VALU_DEP_1) | instskip(SKIP_2) | instid1(VALU_DEP_2)
	v_mul_f32_e32 v16, v17, v85
	v_mov_b32_e32 v114, 0x80
	s_mov_b32 s23, exec_lo
	v_and_b32_e32 v85, 0x7f800000, v16
	s_delay_alu instid0(VALU_DEP_1)
	v_cmpx_ne_u32_e32 0x7f800000, v85
	s_cbranch_execz .LBB4_5028
; %bb.5021:                             ;   in Loop: Header=BB4_4934 Depth=2
	v_mov_b32_e32 v114, 0
	s_mov_b32 s24, exec_lo
	v_cmpx_ne_u32_e32 0, v16
	s_cbranch_execz .LBB4_5027
; %bb.5022:                             ;   in Loop: Header=BB4_4934 Depth=2
	v_bfe_u32 v85, v16, 23, 8
	s_delay_alu instid0(VALU_DEP_1) | instskip(SKIP_1) | instid1(VALU_DEP_2)
	v_sub_nc_u32_e32 v87, 0x78, v85
	v_cmp_gt_u32_e32 vcc_lo, 0x79, v85
	v_dual_cndmask_b32 v87, 0, v87 :: v_dual_and_b32 v86, 0x7fffff, v16
	s_delay_alu instid0(VALU_DEP_1) | instskip(SKIP_2) | instid1(VALU_DEP_4)
	v_or_b32_e32 v96, 0x800000, v86
	v_cmp_eq_u32_e32 vcc_lo, 0, v85
	v_add_nc_u32_e32 v85, 0xffffff89, v85
	v_cndmask_b32_e64 v87, v87, 0x77, vcc_lo
	s_delay_alu instid0(VALU_DEP_4) | instskip(NEXT) | instid1(VALU_DEP_3)
	v_cndmask_b32_e32 v86, v96, v86, vcc_lo
	v_cndmask_b32_e64 v85, v85, 0xffffff8a, vcc_lo
	s_delay_alu instid0(VALU_DEP_3) | instskip(NEXT) | instid1(VALU_DEP_3)
	v_lshl_add_u32 v96, 0x100000, v87, -1
	v_lshrrev_b32_e32 v98, v87, v86
	v_lshlrev_b32_e64 v100, v87, 0x80000
	s_delay_alu instid0(VALU_DEP_4) | instskip(NEXT) | instid1(VALU_DEP_4)
	v_add_nc_u32_e32 v87, v87, v85
	v_and_b32_e32 v86, v96, v86
	s_delay_alu instid0(VALU_DEP_4) | instskip(NEXT) | instid1(VALU_DEP_2)
	v_bfe_u32 v99, v98, 20, 1
	v_cmp_eq_u32_e64 s7, v86, v100
	s_delay_alu instid0(VALU_DEP_2) | instskip(NEXT) | instid1(VALU_DEP_1)
	v_add_nc_u32_e32 v96, -1, v99
	v_cndmask_b32_e64 v86, 0, v96, s7
	v_lshrrev_b32_e32 v96, 23, v98
	s_mov_b32 s7, exec_lo
	s_delay_alu instid0(VALU_DEP_2) | instskip(NEXT) | instid1(VALU_DEP_2)
	v_add_nc_u32_e32 v86, v86, v98
	v_xor_b32_e32 v96, 1, v96
	s_delay_alu instid0(VALU_DEP_2) | instskip(NEXT) | instid1(VALU_DEP_1)
	v_and_b32_e32 v85, 0xfffff, v86
	v_add_nc_u32_e32 v86, v85, v98
                                        ; implicit-def: $vgpr85
	s_delay_alu instid0(VALU_DEP_3)
	v_cmpx_ne_u32_e64 v87, v96
	s_xor_b32 s7, exec_lo, s7
; %bb.5023:                             ;   in Loop: Header=BB4_4934 Depth=2
	s_delay_alu instid0(VALU_DEP_2) | instskip(SKIP_2) | instid1(VALU_DEP_2)
	v_cmp_lt_u32_e32 vcc_lo, 0xffffff, v86
	v_sub_nc_u32_e32 v85, v87, v96
	v_cndmask_b32_e64 v87, 0, 1, vcc_lo
	v_add_co_ci_u32_e32 v85, vcc_lo, 0, v85, vcc_lo
	s_delay_alu instid0(VALU_DEP_2)
	v_lshrrev_b32_e32 v86, v87, v86
; %bb.5024:                             ;   in Loop: Header=BB4_4934 Depth=2
	s_and_not1_saveexec_b32 s7, s7
; %bb.5025:                             ;   in Loop: Header=BB4_4934 Depth=2
	s_delay_alu instid0(VALU_DEP_1)
	v_bfe_u32 v85, v86, 23, 1
; %bb.5026:                             ;   in Loop: Header=BB4_4934 Depth=2
	s_or_b32 exec_lo, exec_lo, s7
	v_lshrrev_b32_e32 v86, 20, v86
	s_delay_alu instid0(VALU_DEP_2) | instskip(SKIP_2) | instid1(VALU_DEP_4)
	v_cmp_gt_i32_e32 vcc_lo, 16, v85
	v_lshrrev_b32_e32 v16, 24, v16
	v_min_i32_e32 v87, 15, v85
	v_cndmask_b32_e32 v86, 7, v86, vcc_lo
	s_delay_alu instid0(VALU_DEP_3) | instskip(NEXT) | instid1(VALU_DEP_3)
	v_and_b32_e32 v16, 0x80, v16
	v_lshlrev_b32_e32 v87, 3, v87
	s_delay_alu instid0(VALU_DEP_3) | instskip(SKIP_1) | instid1(VALU_DEP_2)
	v_and_b32_e32 v96, 7, v86
	v_or_b32_e32 v85, v85, v86
	v_or3_b32 v16, v87, v16, v96
	s_delay_alu instid0(VALU_DEP_2) | instskip(NEXT) | instid1(VALU_DEP_2)
	v_cmp_ne_u32_e32 vcc_lo, 0, v85
	v_cndmask_b32_e32 v114, 0, v16, vcc_lo
.LBB4_5027:                             ;   in Loop: Header=BB4_4934 Depth=2
	s_or_b32 exec_lo, exec_lo, s24
.LBB4_5028:                             ;   in Loop: Header=BB4_4934 Depth=2
	s_delay_alu instid0(SALU_CYCLE_1)
	s_or_b32 exec_lo, exec_lo, s23
	flat_load_u8 v16, v[10:11] offset:224 slc dlc
	s_mov_b32 s7, 0
	s_mov_b32 s24, exec_lo
                                        ; implicit-def: $sgpr23
	s_waitcnt vmcnt(0) lgkmcnt(0)
	v_cmpx_lt_i16_e32 0x7f, v16
	s_xor_b32 s24, exec_lo, s24
	s_cbranch_execnz .LBB4_5421
; %bb.5029:                             ;   in Loop: Header=BB4_4934 Depth=2
	s_or_saveexec_b32 s24, s24
	v_mov_b32_e32 v85, s23
	s_xor_b32 exec_lo, exec_lo, s24
	s_cbranch_execnz .LBB4_5424
.LBB4_5030:                             ;   in Loop: Header=BB4_4934 Depth=2
	s_or_b32 exec_lo, exec_lo, s24
	s_and_saveexec_b32 s23, s7
	s_cbranch_execz .LBB4_5032
.LBB4_5031:                             ;   in Loop: Header=BB4_4934 Depth=2
	v_and_b32_e32 v85, 0xffff, v16
	v_lshlrev_b32_e32 v16, 24, v16
	s_delay_alu instid0(VALU_DEP_2) | instskip(NEXT) | instid1(VALU_DEP_2)
	v_and_b32_e32 v86, 7, v85
	v_and_b32_e32 v16, 0x80000000, v16
	s_delay_alu instid0(VALU_DEP_2) | instskip(NEXT) | instid1(VALU_DEP_1)
	v_clz_i32_u32_e32 v87, v86
	v_min_u32_e32 v87, 32, v87
	s_delay_alu instid0(VALU_DEP_1) | instskip(SKIP_1) | instid1(VALU_DEP_2)
	v_subrev_nc_u32_e32 v96, 28, v87
	v_sub_nc_u32_e32 v87, 29, v87
	v_lshlrev_b32_e32 v96, v96, v85
	v_bfe_u32 v85, v85, 3, 4
	s_delay_alu instid0(VALU_DEP_2) | instskip(NEXT) | instid1(VALU_DEP_2)
	v_and_b32_e32 v96, 7, v96
	v_cmp_eq_u32_e32 vcc_lo, 0, v85
	s_delay_alu instid0(VALU_DEP_2) | instskip(NEXT) | instid1(VALU_DEP_1)
	v_dual_cndmask_b32 v85, v85, v87 :: v_dual_cndmask_b32 v86, v86, v96
	v_lshl_add_u32 v85, v85, 23, 0x3b800000
	s_delay_alu instid0(VALU_DEP_2) | instskip(NEXT) | instid1(VALU_DEP_1)
	v_lshlrev_b32_e32 v86, 20, v86
	v_or3_b32 v85, v16, v85, v86
.LBB4_5032:                             ;   in Loop: Header=BB4_4934 Depth=2
	s_or_b32 exec_lo, exec_lo, s23
	s_delay_alu instid0(VALU_DEP_1) | instskip(SKIP_2) | instid1(VALU_DEP_2)
	v_mul_f32_e32 v16, v17, v85
	v_mov_b32_e32 v112, 0x80
	s_mov_b32 s23, exec_lo
	v_and_b32_e32 v85, 0x7f800000, v16
	s_delay_alu instid0(VALU_DEP_1)
	v_cmpx_ne_u32_e32 0x7f800000, v85
	s_cbranch_execz .LBB4_5040
; %bb.5033:                             ;   in Loop: Header=BB4_4934 Depth=2
	v_mov_b32_e32 v112, 0
	s_mov_b32 s24, exec_lo
	v_cmpx_ne_u32_e32 0, v16
	s_cbranch_execz .LBB4_5039
; %bb.5034:                             ;   in Loop: Header=BB4_4934 Depth=2
	v_bfe_u32 v85, v16, 23, 8
	s_delay_alu instid0(VALU_DEP_1) | instskip(SKIP_1) | instid1(VALU_DEP_2)
	v_sub_nc_u32_e32 v87, 0x78, v85
	v_cmp_gt_u32_e32 vcc_lo, 0x79, v85
	v_dual_cndmask_b32 v87, 0, v87 :: v_dual_and_b32 v86, 0x7fffff, v16
	s_delay_alu instid0(VALU_DEP_1) | instskip(SKIP_2) | instid1(VALU_DEP_4)
	v_or_b32_e32 v96, 0x800000, v86
	v_cmp_eq_u32_e32 vcc_lo, 0, v85
	v_add_nc_u32_e32 v85, 0xffffff89, v85
	v_cndmask_b32_e64 v87, v87, 0x77, vcc_lo
	s_delay_alu instid0(VALU_DEP_4) | instskip(NEXT) | instid1(VALU_DEP_3)
	v_cndmask_b32_e32 v86, v96, v86, vcc_lo
	v_cndmask_b32_e64 v85, v85, 0xffffff8a, vcc_lo
	s_delay_alu instid0(VALU_DEP_3) | instskip(NEXT) | instid1(VALU_DEP_3)
	v_lshl_add_u32 v96, 0x100000, v87, -1
	v_lshrrev_b32_e32 v98, v87, v86
	v_lshlrev_b32_e64 v100, v87, 0x80000
	s_delay_alu instid0(VALU_DEP_4) | instskip(NEXT) | instid1(VALU_DEP_4)
	v_add_nc_u32_e32 v87, v87, v85
	v_and_b32_e32 v86, v96, v86
	s_delay_alu instid0(VALU_DEP_4) | instskip(NEXT) | instid1(VALU_DEP_2)
	v_bfe_u32 v99, v98, 20, 1
	v_cmp_eq_u32_e64 s7, v86, v100
	s_delay_alu instid0(VALU_DEP_2) | instskip(NEXT) | instid1(VALU_DEP_1)
	v_add_nc_u32_e32 v96, -1, v99
	v_cndmask_b32_e64 v86, 0, v96, s7
	v_lshrrev_b32_e32 v96, 23, v98
	s_mov_b32 s7, exec_lo
	s_delay_alu instid0(VALU_DEP_2) | instskip(NEXT) | instid1(VALU_DEP_2)
	v_add_nc_u32_e32 v86, v86, v98
	v_xor_b32_e32 v96, 1, v96
	s_delay_alu instid0(VALU_DEP_2) | instskip(NEXT) | instid1(VALU_DEP_1)
	v_and_b32_e32 v85, 0xfffff, v86
	v_add_nc_u32_e32 v86, v85, v98
                                        ; implicit-def: $vgpr85
	s_delay_alu instid0(VALU_DEP_3)
	v_cmpx_ne_u32_e64 v87, v96
	s_xor_b32 s7, exec_lo, s7
; %bb.5035:                             ;   in Loop: Header=BB4_4934 Depth=2
	s_delay_alu instid0(VALU_DEP_2) | instskip(SKIP_2) | instid1(VALU_DEP_2)
	v_cmp_lt_u32_e32 vcc_lo, 0xffffff, v86
	v_sub_nc_u32_e32 v85, v87, v96
	v_cndmask_b32_e64 v87, 0, 1, vcc_lo
	v_add_co_ci_u32_e32 v85, vcc_lo, 0, v85, vcc_lo
	s_delay_alu instid0(VALU_DEP_2)
	v_lshrrev_b32_e32 v86, v87, v86
; %bb.5036:                             ;   in Loop: Header=BB4_4934 Depth=2
	s_and_not1_saveexec_b32 s7, s7
; %bb.5037:                             ;   in Loop: Header=BB4_4934 Depth=2
	s_delay_alu instid0(VALU_DEP_1)
	v_bfe_u32 v85, v86, 23, 1
; %bb.5038:                             ;   in Loop: Header=BB4_4934 Depth=2
	s_or_b32 exec_lo, exec_lo, s7
	v_lshrrev_b32_e32 v86, 20, v86
	s_delay_alu instid0(VALU_DEP_2) | instskip(SKIP_2) | instid1(VALU_DEP_4)
	v_cmp_gt_i32_e32 vcc_lo, 16, v85
	v_lshrrev_b32_e32 v16, 24, v16
	v_min_i32_e32 v87, 15, v85
	v_cndmask_b32_e32 v86, 7, v86, vcc_lo
	s_delay_alu instid0(VALU_DEP_3) | instskip(NEXT) | instid1(VALU_DEP_3)
	v_and_b32_e32 v16, 0x80, v16
	v_lshlrev_b32_e32 v87, 3, v87
	s_delay_alu instid0(VALU_DEP_3) | instskip(SKIP_1) | instid1(VALU_DEP_2)
	v_and_b32_e32 v96, 7, v86
	v_or_b32_e32 v85, v85, v86
	v_or3_b32 v16, v87, v16, v96
	s_delay_alu instid0(VALU_DEP_2) | instskip(NEXT) | instid1(VALU_DEP_2)
	v_cmp_ne_u32_e32 vcc_lo, 0, v85
	v_cndmask_b32_e32 v112, 0, v16, vcc_lo
.LBB4_5039:                             ;   in Loop: Header=BB4_4934 Depth=2
	s_or_b32 exec_lo, exec_lo, s24
.LBB4_5040:                             ;   in Loop: Header=BB4_4934 Depth=2
	s_delay_alu instid0(SALU_CYCLE_1)
	s_or_b32 exec_lo, exec_lo, s23
	flat_load_u8 v16, v[10:11] offset:256 slc dlc
	s_mov_b32 s7, 0
	s_mov_b32 s24, exec_lo
                                        ; implicit-def: $sgpr23
	s_waitcnt vmcnt(0) lgkmcnt(0)
	v_cmpx_lt_i16_e32 0x7f, v16
	s_xor_b32 s24, exec_lo, s24
	s_cbranch_execnz .LBB4_5425
; %bb.5041:                             ;   in Loop: Header=BB4_4934 Depth=2
	s_or_saveexec_b32 s24, s24
	v_mov_b32_e32 v85, s23
	s_xor_b32 exec_lo, exec_lo, s24
	s_cbranch_execnz .LBB4_5428
.LBB4_5042:                             ;   in Loop: Header=BB4_4934 Depth=2
	s_or_b32 exec_lo, exec_lo, s24
	s_and_saveexec_b32 s23, s7
	s_cbranch_execz .LBB4_5044
.LBB4_5043:                             ;   in Loop: Header=BB4_4934 Depth=2
	v_and_b32_e32 v85, 0xffff, v16
	v_lshlrev_b32_e32 v16, 24, v16
	s_delay_alu instid0(VALU_DEP_2) | instskip(NEXT) | instid1(VALU_DEP_2)
	v_and_b32_e32 v86, 7, v85
	v_and_b32_e32 v16, 0x80000000, v16
	s_delay_alu instid0(VALU_DEP_2) | instskip(NEXT) | instid1(VALU_DEP_1)
	v_clz_i32_u32_e32 v87, v86
	v_min_u32_e32 v87, 32, v87
	s_delay_alu instid0(VALU_DEP_1) | instskip(SKIP_1) | instid1(VALU_DEP_2)
	v_subrev_nc_u32_e32 v96, 28, v87
	v_sub_nc_u32_e32 v87, 29, v87
	v_lshlrev_b32_e32 v96, v96, v85
	v_bfe_u32 v85, v85, 3, 4
	s_delay_alu instid0(VALU_DEP_2) | instskip(NEXT) | instid1(VALU_DEP_2)
	v_and_b32_e32 v96, 7, v96
	v_cmp_eq_u32_e32 vcc_lo, 0, v85
	s_delay_alu instid0(VALU_DEP_2) | instskip(NEXT) | instid1(VALU_DEP_1)
	v_dual_cndmask_b32 v85, v85, v87 :: v_dual_cndmask_b32 v86, v86, v96
	v_lshl_add_u32 v85, v85, 23, 0x3b800000
	s_delay_alu instid0(VALU_DEP_2) | instskip(NEXT) | instid1(VALU_DEP_1)
	v_lshlrev_b32_e32 v86, 20, v86
	v_or3_b32 v85, v16, v85, v86
.LBB4_5044:                             ;   in Loop: Header=BB4_4934 Depth=2
	s_or_b32 exec_lo, exec_lo, s23
	s_delay_alu instid0(VALU_DEP_1) | instskip(SKIP_2) | instid1(VALU_DEP_2)
	v_mul_f32_e32 v16, v17, v85
	v_mov_b32_e32 v102, 0x80
	s_mov_b32 s23, exec_lo
	v_and_b32_e32 v85, 0x7f800000, v16
	s_delay_alu instid0(VALU_DEP_1)
	v_cmpx_ne_u32_e32 0x7f800000, v85
	s_cbranch_execz .LBB4_5052
; %bb.5045:                             ;   in Loop: Header=BB4_4934 Depth=2
	v_mov_b32_e32 v102, 0
	s_mov_b32 s24, exec_lo
	v_cmpx_ne_u32_e32 0, v16
	s_cbranch_execz .LBB4_5051
; %bb.5046:                             ;   in Loop: Header=BB4_4934 Depth=2
	v_bfe_u32 v85, v16, 23, 8
	s_delay_alu instid0(VALU_DEP_1) | instskip(SKIP_1) | instid1(VALU_DEP_2)
	v_sub_nc_u32_e32 v87, 0x78, v85
	v_cmp_gt_u32_e32 vcc_lo, 0x79, v85
	v_dual_cndmask_b32 v87, 0, v87 :: v_dual_and_b32 v86, 0x7fffff, v16
	s_delay_alu instid0(VALU_DEP_1) | instskip(SKIP_2) | instid1(VALU_DEP_4)
	v_or_b32_e32 v96, 0x800000, v86
	v_cmp_eq_u32_e32 vcc_lo, 0, v85
	v_add_nc_u32_e32 v85, 0xffffff89, v85
	v_cndmask_b32_e64 v87, v87, 0x77, vcc_lo
	s_delay_alu instid0(VALU_DEP_4) | instskip(NEXT) | instid1(VALU_DEP_3)
	v_cndmask_b32_e32 v86, v96, v86, vcc_lo
	v_cndmask_b32_e64 v85, v85, 0xffffff8a, vcc_lo
	s_delay_alu instid0(VALU_DEP_3) | instskip(NEXT) | instid1(VALU_DEP_3)
	v_lshl_add_u32 v96, 0x100000, v87, -1
	v_lshrrev_b32_e32 v98, v87, v86
	v_lshlrev_b32_e64 v100, v87, 0x80000
	s_delay_alu instid0(VALU_DEP_4) | instskip(NEXT) | instid1(VALU_DEP_4)
	v_add_nc_u32_e32 v87, v87, v85
	v_and_b32_e32 v86, v96, v86
	s_delay_alu instid0(VALU_DEP_4) | instskip(NEXT) | instid1(VALU_DEP_2)
	v_bfe_u32 v99, v98, 20, 1
	v_cmp_eq_u32_e64 s7, v86, v100
	s_delay_alu instid0(VALU_DEP_2) | instskip(NEXT) | instid1(VALU_DEP_1)
	v_add_nc_u32_e32 v96, -1, v99
	v_cndmask_b32_e64 v86, 0, v96, s7
	v_lshrrev_b32_e32 v96, 23, v98
	s_mov_b32 s7, exec_lo
	s_delay_alu instid0(VALU_DEP_2) | instskip(NEXT) | instid1(VALU_DEP_2)
	v_add_nc_u32_e32 v86, v86, v98
	v_xor_b32_e32 v96, 1, v96
	s_delay_alu instid0(VALU_DEP_2) | instskip(NEXT) | instid1(VALU_DEP_1)
	v_and_b32_e32 v85, 0xfffff, v86
	v_add_nc_u32_e32 v86, v85, v98
                                        ; implicit-def: $vgpr85
	s_delay_alu instid0(VALU_DEP_3)
	v_cmpx_ne_u32_e64 v87, v96
	s_xor_b32 s7, exec_lo, s7
; %bb.5047:                             ;   in Loop: Header=BB4_4934 Depth=2
	s_delay_alu instid0(VALU_DEP_2) | instskip(SKIP_2) | instid1(VALU_DEP_2)
	v_cmp_lt_u32_e32 vcc_lo, 0xffffff, v86
	v_sub_nc_u32_e32 v85, v87, v96
	v_cndmask_b32_e64 v87, 0, 1, vcc_lo
	v_add_co_ci_u32_e32 v85, vcc_lo, 0, v85, vcc_lo
	s_delay_alu instid0(VALU_DEP_2)
	v_lshrrev_b32_e32 v86, v87, v86
; %bb.5048:                             ;   in Loop: Header=BB4_4934 Depth=2
	s_and_not1_saveexec_b32 s7, s7
; %bb.5049:                             ;   in Loop: Header=BB4_4934 Depth=2
	s_delay_alu instid0(VALU_DEP_1)
	v_bfe_u32 v85, v86, 23, 1
; %bb.5050:                             ;   in Loop: Header=BB4_4934 Depth=2
	s_or_b32 exec_lo, exec_lo, s7
	v_lshrrev_b32_e32 v86, 20, v86
	s_delay_alu instid0(VALU_DEP_2) | instskip(SKIP_2) | instid1(VALU_DEP_4)
	v_cmp_gt_i32_e32 vcc_lo, 16, v85
	v_lshrrev_b32_e32 v16, 24, v16
	v_min_i32_e32 v87, 15, v85
	v_cndmask_b32_e32 v86, 7, v86, vcc_lo
	s_delay_alu instid0(VALU_DEP_3) | instskip(NEXT) | instid1(VALU_DEP_3)
	v_and_b32_e32 v16, 0x80, v16
	v_lshlrev_b32_e32 v87, 3, v87
	s_delay_alu instid0(VALU_DEP_3) | instskip(SKIP_1) | instid1(VALU_DEP_2)
	v_and_b32_e32 v96, 7, v86
	v_or_b32_e32 v85, v85, v86
	v_or3_b32 v16, v87, v16, v96
	s_delay_alu instid0(VALU_DEP_2) | instskip(NEXT) | instid1(VALU_DEP_2)
	v_cmp_ne_u32_e32 vcc_lo, 0, v85
	v_cndmask_b32_e32 v102, 0, v16, vcc_lo
.LBB4_5051:                             ;   in Loop: Header=BB4_4934 Depth=2
	s_or_b32 exec_lo, exec_lo, s24
.LBB4_5052:                             ;   in Loop: Header=BB4_4934 Depth=2
	s_delay_alu instid0(SALU_CYCLE_1)
	s_or_b32 exec_lo, exec_lo, s23
	flat_load_u8 v16, v[10:11] offset:288 slc dlc
	s_mov_b32 s7, 0
	s_mov_b32 s24, exec_lo
                                        ; implicit-def: $sgpr23
	s_waitcnt vmcnt(0) lgkmcnt(0)
	v_cmpx_lt_i16_e32 0x7f, v16
	s_xor_b32 s24, exec_lo, s24
	s_cbranch_execnz .LBB4_5429
; %bb.5053:                             ;   in Loop: Header=BB4_4934 Depth=2
	s_or_saveexec_b32 s24, s24
	v_mov_b32_e32 v85, s23
	s_xor_b32 exec_lo, exec_lo, s24
	s_cbranch_execnz .LBB4_5432
.LBB4_5054:                             ;   in Loop: Header=BB4_4934 Depth=2
	s_or_b32 exec_lo, exec_lo, s24
	s_and_saveexec_b32 s23, s7
	s_cbranch_execz .LBB4_5056
.LBB4_5055:                             ;   in Loop: Header=BB4_4934 Depth=2
	v_and_b32_e32 v85, 0xffff, v16
	v_lshlrev_b32_e32 v16, 24, v16
	s_delay_alu instid0(VALU_DEP_2) | instskip(NEXT) | instid1(VALU_DEP_2)
	v_and_b32_e32 v86, 7, v85
	v_and_b32_e32 v16, 0x80000000, v16
	s_delay_alu instid0(VALU_DEP_2) | instskip(NEXT) | instid1(VALU_DEP_1)
	v_clz_i32_u32_e32 v87, v86
	v_min_u32_e32 v87, 32, v87
	s_delay_alu instid0(VALU_DEP_1) | instskip(SKIP_1) | instid1(VALU_DEP_2)
	v_subrev_nc_u32_e32 v96, 28, v87
	v_sub_nc_u32_e32 v87, 29, v87
	v_lshlrev_b32_e32 v96, v96, v85
	v_bfe_u32 v85, v85, 3, 4
	s_delay_alu instid0(VALU_DEP_2) | instskip(NEXT) | instid1(VALU_DEP_2)
	v_and_b32_e32 v96, 7, v96
	v_cmp_eq_u32_e32 vcc_lo, 0, v85
	s_delay_alu instid0(VALU_DEP_2) | instskip(NEXT) | instid1(VALU_DEP_1)
	v_dual_cndmask_b32 v85, v85, v87 :: v_dual_cndmask_b32 v86, v86, v96
	v_lshl_add_u32 v85, v85, 23, 0x3b800000
	s_delay_alu instid0(VALU_DEP_2) | instskip(NEXT) | instid1(VALU_DEP_1)
	v_lshlrev_b32_e32 v86, 20, v86
	v_or3_b32 v85, v16, v85, v86
.LBB4_5056:                             ;   in Loop: Header=BB4_4934 Depth=2
	s_or_b32 exec_lo, exec_lo, s23
	s_delay_alu instid0(VALU_DEP_1) | instskip(SKIP_1) | instid1(VALU_DEP_1)
	v_dual_mul_f32 v16, v17, v85 :: v_dual_mov_b32 v101, 0x80
	s_mov_b32 s23, exec_lo
	v_and_b32_e32 v85, 0x7f800000, v16
	s_delay_alu instid0(VALU_DEP_1)
	v_cmpx_ne_u32_e32 0x7f800000, v85
	s_cbranch_execz .LBB4_5064
; %bb.5057:                             ;   in Loop: Header=BB4_4934 Depth=2
	v_mov_b32_e32 v101, 0
	s_mov_b32 s24, exec_lo
	v_cmpx_ne_u32_e32 0, v16
	s_cbranch_execz .LBB4_5063
; %bb.5058:                             ;   in Loop: Header=BB4_4934 Depth=2
	v_bfe_u32 v85, v16, 23, 8
	s_delay_alu instid0(VALU_DEP_1) | instskip(SKIP_1) | instid1(VALU_DEP_2)
	v_sub_nc_u32_e32 v87, 0x78, v85
	v_cmp_gt_u32_e32 vcc_lo, 0x79, v85
	v_dual_cndmask_b32 v87, 0, v87 :: v_dual_and_b32 v86, 0x7fffff, v16
	s_delay_alu instid0(VALU_DEP_1) | instskip(SKIP_2) | instid1(VALU_DEP_4)
	v_or_b32_e32 v96, 0x800000, v86
	v_cmp_eq_u32_e32 vcc_lo, 0, v85
	v_add_nc_u32_e32 v85, 0xffffff89, v85
	v_cndmask_b32_e64 v87, v87, 0x77, vcc_lo
	s_delay_alu instid0(VALU_DEP_4) | instskip(NEXT) | instid1(VALU_DEP_3)
	v_cndmask_b32_e32 v86, v96, v86, vcc_lo
	v_cndmask_b32_e64 v85, v85, 0xffffff8a, vcc_lo
	s_delay_alu instid0(VALU_DEP_3) | instskip(NEXT) | instid1(VALU_DEP_3)
	v_lshl_add_u32 v96, 0x100000, v87, -1
	v_lshrrev_b32_e32 v98, v87, v86
	v_lshlrev_b32_e64 v100, v87, 0x80000
	s_delay_alu instid0(VALU_DEP_4) | instskip(NEXT) | instid1(VALU_DEP_4)
	v_add_nc_u32_e32 v87, v87, v85
	v_and_b32_e32 v86, v96, v86
	s_delay_alu instid0(VALU_DEP_4) | instskip(NEXT) | instid1(VALU_DEP_2)
	v_bfe_u32 v99, v98, 20, 1
	v_cmp_eq_u32_e64 s7, v86, v100
	s_delay_alu instid0(VALU_DEP_2) | instskip(NEXT) | instid1(VALU_DEP_1)
	v_add_nc_u32_e32 v96, -1, v99
	v_cndmask_b32_e64 v86, 0, v96, s7
	v_lshrrev_b32_e32 v96, 23, v98
	s_mov_b32 s7, exec_lo
	s_delay_alu instid0(VALU_DEP_2) | instskip(NEXT) | instid1(VALU_DEP_2)
	v_add_nc_u32_e32 v86, v86, v98
	v_xor_b32_e32 v96, 1, v96
	s_delay_alu instid0(VALU_DEP_2) | instskip(NEXT) | instid1(VALU_DEP_1)
	v_and_b32_e32 v85, 0xfffff, v86
	v_add_nc_u32_e32 v86, v85, v98
                                        ; implicit-def: $vgpr85
	s_delay_alu instid0(VALU_DEP_3)
	v_cmpx_ne_u32_e64 v87, v96
	s_xor_b32 s7, exec_lo, s7
; %bb.5059:                             ;   in Loop: Header=BB4_4934 Depth=2
	s_delay_alu instid0(VALU_DEP_2) | instskip(SKIP_2) | instid1(VALU_DEP_2)
	v_cmp_lt_u32_e32 vcc_lo, 0xffffff, v86
	v_sub_nc_u32_e32 v85, v87, v96
	v_cndmask_b32_e64 v87, 0, 1, vcc_lo
	v_add_co_ci_u32_e32 v85, vcc_lo, 0, v85, vcc_lo
	s_delay_alu instid0(VALU_DEP_2)
	v_lshrrev_b32_e32 v86, v87, v86
; %bb.5060:                             ;   in Loop: Header=BB4_4934 Depth=2
	s_and_not1_saveexec_b32 s7, s7
; %bb.5061:                             ;   in Loop: Header=BB4_4934 Depth=2
	s_delay_alu instid0(VALU_DEP_1)
	v_bfe_u32 v85, v86, 23, 1
; %bb.5062:                             ;   in Loop: Header=BB4_4934 Depth=2
	s_or_b32 exec_lo, exec_lo, s7
	v_lshrrev_b32_e32 v86, 20, v86
	s_delay_alu instid0(VALU_DEP_2) | instskip(SKIP_2) | instid1(VALU_DEP_2)
	v_cmp_gt_i32_e32 vcc_lo, 16, v85
	v_min_i32_e32 v87, 15, v85
	v_lshrrev_b32_e32 v16, 24, v16
	v_dual_cndmask_b32 v86, 7, v86 :: v_dual_lshlrev_b32 v87, 3, v87
	s_delay_alu instid0(VALU_DEP_2) | instskip(NEXT) | instid1(VALU_DEP_2)
	v_and_b32_e32 v16, 0x80, v16
	v_or_b32_e32 v85, v85, v86
	s_delay_alu instid0(VALU_DEP_1) | instskip(SKIP_1) | instid1(VALU_DEP_1)
	v_cmp_ne_u32_e32 vcc_lo, 0, v85
	v_and_b32_e32 v96, 7, v86
	v_or3_b32 v16, v87, v16, v96
	s_delay_alu instid0(VALU_DEP_1)
	v_cndmask_b32_e32 v101, 0, v16, vcc_lo
.LBB4_5063:                             ;   in Loop: Header=BB4_4934 Depth=2
	s_or_b32 exec_lo, exec_lo, s24
.LBB4_5064:                             ;   in Loop: Header=BB4_4934 Depth=2
	s_delay_alu instid0(SALU_CYCLE_1)
	s_or_b32 exec_lo, exec_lo, s23
	flat_load_u8 v16, v[10:11] offset:320 slc dlc
	s_mov_b32 s7, 0
	s_mov_b32 s24, exec_lo
                                        ; implicit-def: $sgpr23
	s_waitcnt vmcnt(0) lgkmcnt(0)
	v_cmpx_lt_i16_e32 0x7f, v16
	s_xor_b32 s24, exec_lo, s24
	s_cbranch_execnz .LBB4_5433
; %bb.5065:                             ;   in Loop: Header=BB4_4934 Depth=2
	s_or_saveexec_b32 s24, s24
	v_mov_b32_e32 v85, s23
	s_xor_b32 exec_lo, exec_lo, s24
	s_cbranch_execnz .LBB4_5436
.LBB4_5066:                             ;   in Loop: Header=BB4_4934 Depth=2
	s_or_b32 exec_lo, exec_lo, s24
	s_and_saveexec_b32 s23, s7
	s_cbranch_execz .LBB4_5068
.LBB4_5067:                             ;   in Loop: Header=BB4_4934 Depth=2
	v_and_b32_e32 v85, 0xffff, v16
	v_lshlrev_b32_e32 v16, 24, v16
	s_delay_alu instid0(VALU_DEP_2) | instskip(NEXT) | instid1(VALU_DEP_2)
	v_and_b32_e32 v86, 7, v85
	v_and_b32_e32 v16, 0x80000000, v16
	s_delay_alu instid0(VALU_DEP_2) | instskip(NEXT) | instid1(VALU_DEP_1)
	v_clz_i32_u32_e32 v87, v86
	v_min_u32_e32 v87, 32, v87
	s_delay_alu instid0(VALU_DEP_1) | instskip(SKIP_1) | instid1(VALU_DEP_2)
	v_subrev_nc_u32_e32 v96, 28, v87
	v_sub_nc_u32_e32 v87, 29, v87
	v_lshlrev_b32_e32 v96, v96, v85
	v_bfe_u32 v85, v85, 3, 4
	s_delay_alu instid0(VALU_DEP_2) | instskip(NEXT) | instid1(VALU_DEP_2)
	v_and_b32_e32 v96, 7, v96
	v_cmp_eq_u32_e32 vcc_lo, 0, v85
	s_delay_alu instid0(VALU_DEP_2) | instskip(NEXT) | instid1(VALU_DEP_1)
	v_dual_cndmask_b32 v85, v85, v87 :: v_dual_cndmask_b32 v86, v86, v96
	v_lshl_add_u32 v85, v85, 23, 0x3b800000
	s_delay_alu instid0(VALU_DEP_2) | instskip(NEXT) | instid1(VALU_DEP_1)
	v_lshlrev_b32_e32 v86, 20, v86
	v_or3_b32 v85, v16, v85, v86
.LBB4_5068:                             ;   in Loop: Header=BB4_4934 Depth=2
	s_or_b32 exec_lo, exec_lo, s23
	s_delay_alu instid0(VALU_DEP_1) | instskip(SKIP_1) | instid1(VALU_DEP_1)
	v_dual_mul_f32 v16, v17, v85 :: v_dual_mov_b32 v99, 0x80
	s_mov_b32 s23, exec_lo
	v_and_b32_e32 v85, 0x7f800000, v16
	s_delay_alu instid0(VALU_DEP_1)
	v_cmpx_ne_u32_e32 0x7f800000, v85
	s_cbranch_execz .LBB4_5076
; %bb.5069:                             ;   in Loop: Header=BB4_4934 Depth=2
	v_mov_b32_e32 v99, 0
	s_mov_b32 s24, exec_lo
	v_cmpx_ne_u32_e32 0, v16
	s_cbranch_execz .LBB4_5075
; %bb.5070:                             ;   in Loop: Header=BB4_4934 Depth=2
	v_bfe_u32 v85, v16, 23, 8
	s_delay_alu instid0(VALU_DEP_1) | instskip(SKIP_1) | instid1(VALU_DEP_2)
	v_sub_nc_u32_e32 v87, 0x78, v85
	v_cmp_gt_u32_e32 vcc_lo, 0x79, v85
	v_dual_cndmask_b32 v87, 0, v87 :: v_dual_and_b32 v86, 0x7fffff, v16
	s_delay_alu instid0(VALU_DEP_1) | instskip(SKIP_2) | instid1(VALU_DEP_4)
	v_or_b32_e32 v96, 0x800000, v86
	v_cmp_eq_u32_e32 vcc_lo, 0, v85
	v_add_nc_u32_e32 v85, 0xffffff89, v85
	v_cndmask_b32_e64 v87, v87, 0x77, vcc_lo
	s_delay_alu instid0(VALU_DEP_4) | instskip(NEXT) | instid1(VALU_DEP_3)
	v_cndmask_b32_e32 v86, v96, v86, vcc_lo
	v_cndmask_b32_e64 v85, v85, 0xffffff8a, vcc_lo
	s_delay_alu instid0(VALU_DEP_3) | instskip(NEXT) | instid1(VALU_DEP_3)
	v_lshl_add_u32 v96, 0x100000, v87, -1
	v_lshrrev_b32_e32 v98, v87, v86
	v_lshlrev_b32_e64 v100, v87, 0x80000
	s_delay_alu instid0(VALU_DEP_4) | instskip(NEXT) | instid1(VALU_DEP_4)
	v_add_nc_u32_e32 v87, v87, v85
	v_and_b32_e32 v86, v96, v86
	s_delay_alu instid0(VALU_DEP_4) | instskip(NEXT) | instid1(VALU_DEP_2)
	v_bfe_u32 v99, v98, 20, 1
	v_cmp_eq_u32_e64 s7, v86, v100
	s_delay_alu instid0(VALU_DEP_2) | instskip(NEXT) | instid1(VALU_DEP_1)
	v_add_nc_u32_e32 v96, -1, v99
	v_cndmask_b32_e64 v86, 0, v96, s7
	v_lshrrev_b32_e32 v96, 23, v98
	s_mov_b32 s7, exec_lo
	s_delay_alu instid0(VALU_DEP_2) | instskip(NEXT) | instid1(VALU_DEP_2)
	v_add_nc_u32_e32 v86, v86, v98
	v_xor_b32_e32 v96, 1, v96
	s_delay_alu instid0(VALU_DEP_2) | instskip(NEXT) | instid1(VALU_DEP_1)
	v_and_b32_e32 v85, 0xfffff, v86
	v_add_nc_u32_e32 v86, v85, v98
                                        ; implicit-def: $vgpr85
	s_delay_alu instid0(VALU_DEP_3)
	v_cmpx_ne_u32_e64 v87, v96
	s_xor_b32 s7, exec_lo, s7
; %bb.5071:                             ;   in Loop: Header=BB4_4934 Depth=2
	s_delay_alu instid0(VALU_DEP_2) | instskip(SKIP_2) | instid1(VALU_DEP_2)
	v_cmp_lt_u32_e32 vcc_lo, 0xffffff, v86
	v_sub_nc_u32_e32 v85, v87, v96
	v_cndmask_b32_e64 v87, 0, 1, vcc_lo
	v_add_co_ci_u32_e32 v85, vcc_lo, 0, v85, vcc_lo
	s_delay_alu instid0(VALU_DEP_2)
	v_lshrrev_b32_e32 v86, v87, v86
; %bb.5072:                             ;   in Loop: Header=BB4_4934 Depth=2
	s_and_not1_saveexec_b32 s7, s7
; %bb.5073:                             ;   in Loop: Header=BB4_4934 Depth=2
	s_delay_alu instid0(VALU_DEP_1)
	v_bfe_u32 v85, v86, 23, 1
; %bb.5074:                             ;   in Loop: Header=BB4_4934 Depth=2
	s_or_b32 exec_lo, exec_lo, s7
	v_lshrrev_b32_e32 v86, 20, v86
	s_delay_alu instid0(VALU_DEP_2) | instskip(SKIP_2) | instid1(VALU_DEP_2)
	v_cmp_gt_i32_e32 vcc_lo, 16, v85
	v_min_i32_e32 v87, 15, v85
	v_lshrrev_b32_e32 v16, 24, v16
	v_dual_cndmask_b32 v86, 7, v86 :: v_dual_lshlrev_b32 v87, 3, v87
	s_delay_alu instid0(VALU_DEP_2) | instskip(NEXT) | instid1(VALU_DEP_2)
	v_and_b32_e32 v16, 0x80, v16
	v_or_b32_e32 v85, v85, v86
	s_delay_alu instid0(VALU_DEP_1) | instskip(SKIP_1) | instid1(VALU_DEP_1)
	v_cmp_ne_u32_e32 vcc_lo, 0, v85
	v_and_b32_e32 v96, 7, v86
	v_or3_b32 v16, v87, v16, v96
	s_delay_alu instid0(VALU_DEP_1)
	v_cndmask_b32_e32 v99, 0, v16, vcc_lo
.LBB4_5075:                             ;   in Loop: Header=BB4_4934 Depth=2
	s_or_b32 exec_lo, exec_lo, s24
.LBB4_5076:                             ;   in Loop: Header=BB4_4934 Depth=2
	s_delay_alu instid0(SALU_CYCLE_1)
	s_or_b32 exec_lo, exec_lo, s23
	flat_load_u8 v16, v[10:11] offset:352 slc dlc
	s_mov_b32 s7, 0
	s_mov_b32 s24, exec_lo
                                        ; implicit-def: $sgpr23
	s_waitcnt vmcnt(0) lgkmcnt(0)
	v_cmpx_lt_i16_e32 0x7f, v16
	s_xor_b32 s24, exec_lo, s24
	s_cbranch_execnz .LBB4_5437
; %bb.5077:                             ;   in Loop: Header=BB4_4934 Depth=2
	s_or_saveexec_b32 s24, s24
	v_mov_b32_e32 v85, s23
	s_xor_b32 exec_lo, exec_lo, s24
	s_cbranch_execnz .LBB4_5440
.LBB4_5078:                             ;   in Loop: Header=BB4_4934 Depth=2
	s_or_b32 exec_lo, exec_lo, s24
	s_and_saveexec_b32 s23, s7
	s_cbranch_execz .LBB4_5080
.LBB4_5079:                             ;   in Loop: Header=BB4_4934 Depth=2
	v_and_b32_e32 v85, 0xffff, v16
	v_lshlrev_b32_e32 v16, 24, v16
	s_delay_alu instid0(VALU_DEP_2) | instskip(NEXT) | instid1(VALU_DEP_2)
	v_and_b32_e32 v86, 7, v85
	v_and_b32_e32 v16, 0x80000000, v16
	s_delay_alu instid0(VALU_DEP_2) | instskip(NEXT) | instid1(VALU_DEP_1)
	v_clz_i32_u32_e32 v87, v86
	v_min_u32_e32 v87, 32, v87
	s_delay_alu instid0(VALU_DEP_1) | instskip(SKIP_1) | instid1(VALU_DEP_2)
	v_subrev_nc_u32_e32 v96, 28, v87
	v_sub_nc_u32_e32 v87, 29, v87
	v_lshlrev_b32_e32 v96, v96, v85
	v_bfe_u32 v85, v85, 3, 4
	s_delay_alu instid0(VALU_DEP_2) | instskip(NEXT) | instid1(VALU_DEP_2)
	v_and_b32_e32 v96, 7, v96
	v_cmp_eq_u32_e32 vcc_lo, 0, v85
	s_delay_alu instid0(VALU_DEP_2) | instskip(NEXT) | instid1(VALU_DEP_1)
	v_dual_cndmask_b32 v85, v85, v87 :: v_dual_cndmask_b32 v86, v86, v96
	v_lshl_add_u32 v85, v85, 23, 0x3b800000
	s_delay_alu instid0(VALU_DEP_2) | instskip(NEXT) | instid1(VALU_DEP_1)
	v_lshlrev_b32_e32 v86, 20, v86
	v_or3_b32 v85, v16, v85, v86
.LBB4_5080:                             ;   in Loop: Header=BB4_4934 Depth=2
	s_or_b32 exec_lo, exec_lo, s23
	s_delay_alu instid0(VALU_DEP_1) | instskip(SKIP_2) | instid1(VALU_DEP_2)
	v_mul_f32_e32 v16, v17, v85
	v_mov_b32_e32 v98, 0x80
	s_mov_b32 s23, exec_lo
	v_and_b32_e32 v85, 0x7f800000, v16
	s_delay_alu instid0(VALU_DEP_1)
	v_cmpx_ne_u32_e32 0x7f800000, v85
	s_cbranch_execz .LBB4_5088
; %bb.5081:                             ;   in Loop: Header=BB4_4934 Depth=2
	v_mov_b32_e32 v98, 0
	s_mov_b32 s24, exec_lo
	v_cmpx_ne_u32_e32 0, v16
	s_cbranch_execz .LBB4_5087
; %bb.5082:                             ;   in Loop: Header=BB4_4934 Depth=2
	v_bfe_u32 v85, v16, 23, 8
	s_delay_alu instid0(VALU_DEP_1) | instskip(SKIP_1) | instid1(VALU_DEP_2)
	v_sub_nc_u32_e32 v87, 0x78, v85
	v_cmp_gt_u32_e32 vcc_lo, 0x79, v85
	v_dual_cndmask_b32 v87, 0, v87 :: v_dual_and_b32 v86, 0x7fffff, v16
	s_delay_alu instid0(VALU_DEP_1) | instskip(SKIP_2) | instid1(VALU_DEP_4)
	v_or_b32_e32 v96, 0x800000, v86
	v_cmp_eq_u32_e32 vcc_lo, 0, v85
	v_add_nc_u32_e32 v85, 0xffffff89, v85
	v_cndmask_b32_e64 v87, v87, 0x77, vcc_lo
	s_delay_alu instid0(VALU_DEP_4) | instskip(NEXT) | instid1(VALU_DEP_3)
	v_cndmask_b32_e32 v86, v96, v86, vcc_lo
	v_cndmask_b32_e64 v85, v85, 0xffffff8a, vcc_lo
	s_delay_alu instid0(VALU_DEP_3) | instskip(NEXT) | instid1(VALU_DEP_3)
	v_lshl_add_u32 v96, 0x100000, v87, -1
	v_lshrrev_b32_e32 v98, v87, v86
	v_lshlrev_b32_e64 v113, v87, 0x80000
	s_delay_alu instid0(VALU_DEP_4) | instskip(NEXT) | instid1(VALU_DEP_4)
	v_add_nc_u32_e32 v87, v87, v85
	v_and_b32_e32 v86, v96, v86
	s_delay_alu instid0(VALU_DEP_4) | instskip(NEXT) | instid1(VALU_DEP_2)
	v_bfe_u32 v100, v98, 20, 1
	v_cmp_eq_u32_e64 s7, v86, v113
	s_delay_alu instid0(VALU_DEP_2) | instskip(NEXT) | instid1(VALU_DEP_1)
	v_add_nc_u32_e32 v96, -1, v100
	v_cndmask_b32_e64 v86, 0, v96, s7
	v_lshrrev_b32_e32 v96, 23, v98
	s_mov_b32 s7, exec_lo
	s_delay_alu instid0(VALU_DEP_2) | instskip(NEXT) | instid1(VALU_DEP_2)
	v_add_nc_u32_e32 v86, v86, v98
	v_xor_b32_e32 v96, 1, v96
	s_delay_alu instid0(VALU_DEP_2) | instskip(NEXT) | instid1(VALU_DEP_1)
	v_and_b32_e32 v85, 0xfffff, v86
	v_add_nc_u32_e32 v86, v85, v98
                                        ; implicit-def: $vgpr85
	s_delay_alu instid0(VALU_DEP_3)
	v_cmpx_ne_u32_e64 v87, v96
	s_xor_b32 s7, exec_lo, s7
; %bb.5083:                             ;   in Loop: Header=BB4_4934 Depth=2
	s_delay_alu instid0(VALU_DEP_2) | instskip(SKIP_2) | instid1(VALU_DEP_2)
	v_cmp_lt_u32_e32 vcc_lo, 0xffffff, v86
	v_sub_nc_u32_e32 v85, v87, v96
	v_cndmask_b32_e64 v87, 0, 1, vcc_lo
	v_add_co_ci_u32_e32 v85, vcc_lo, 0, v85, vcc_lo
	s_delay_alu instid0(VALU_DEP_2)
	v_lshrrev_b32_e32 v86, v87, v86
; %bb.5084:                             ;   in Loop: Header=BB4_4934 Depth=2
	s_and_not1_saveexec_b32 s7, s7
; %bb.5085:                             ;   in Loop: Header=BB4_4934 Depth=2
	s_delay_alu instid0(VALU_DEP_1)
	v_bfe_u32 v85, v86, 23, 1
; %bb.5086:                             ;   in Loop: Header=BB4_4934 Depth=2
	s_or_b32 exec_lo, exec_lo, s7
	v_lshrrev_b32_e32 v86, 20, v86
	s_delay_alu instid0(VALU_DEP_2) | instskip(SKIP_2) | instid1(VALU_DEP_4)
	v_cmp_gt_i32_e32 vcc_lo, 16, v85
	v_lshrrev_b32_e32 v16, 24, v16
	v_min_i32_e32 v87, 15, v85
	v_cndmask_b32_e32 v86, 7, v86, vcc_lo
	s_delay_alu instid0(VALU_DEP_3) | instskip(NEXT) | instid1(VALU_DEP_3)
	v_and_b32_e32 v16, 0x80, v16
	v_lshlrev_b32_e32 v87, 3, v87
	s_delay_alu instid0(VALU_DEP_3) | instskip(SKIP_1) | instid1(VALU_DEP_2)
	v_and_b32_e32 v96, 7, v86
	v_or_b32_e32 v85, v85, v86
	v_or3_b32 v16, v87, v16, v96
	s_delay_alu instid0(VALU_DEP_2) | instskip(NEXT) | instid1(VALU_DEP_2)
	v_cmp_ne_u32_e32 vcc_lo, 0, v85
	v_cndmask_b32_e32 v98, 0, v16, vcc_lo
.LBB4_5087:                             ;   in Loop: Header=BB4_4934 Depth=2
	s_or_b32 exec_lo, exec_lo, s24
.LBB4_5088:                             ;   in Loop: Header=BB4_4934 Depth=2
	s_delay_alu instid0(SALU_CYCLE_1)
	s_or_b32 exec_lo, exec_lo, s23
	flat_load_u8 v16, v[10:11] offset:384 slc dlc
	s_mov_b32 s7, 0
	s_mov_b32 s24, exec_lo
                                        ; implicit-def: $sgpr23
	s_waitcnt vmcnt(0) lgkmcnt(0)
	v_cmpx_lt_i16_e32 0x7f, v16
	s_xor_b32 s24, exec_lo, s24
	s_cbranch_execnz .LBB4_5441
; %bb.5089:                             ;   in Loop: Header=BB4_4934 Depth=2
	s_or_saveexec_b32 s24, s24
	v_mov_b32_e32 v85, s23
	s_xor_b32 exec_lo, exec_lo, s24
	s_cbranch_execnz .LBB4_5444
.LBB4_5090:                             ;   in Loop: Header=BB4_4934 Depth=2
	s_or_b32 exec_lo, exec_lo, s24
	s_and_saveexec_b32 s23, s7
	s_cbranch_execz .LBB4_5092
.LBB4_5091:                             ;   in Loop: Header=BB4_4934 Depth=2
	v_and_b32_e32 v85, 0xffff, v16
	v_lshlrev_b32_e32 v16, 24, v16
	s_delay_alu instid0(VALU_DEP_2) | instskip(NEXT) | instid1(VALU_DEP_2)
	v_and_b32_e32 v86, 7, v85
	v_and_b32_e32 v16, 0x80000000, v16
	s_delay_alu instid0(VALU_DEP_2) | instskip(NEXT) | instid1(VALU_DEP_1)
	v_clz_i32_u32_e32 v87, v86
	v_min_u32_e32 v87, 32, v87
	s_delay_alu instid0(VALU_DEP_1) | instskip(SKIP_1) | instid1(VALU_DEP_2)
	v_subrev_nc_u32_e32 v96, 28, v87
	v_sub_nc_u32_e32 v87, 29, v87
	v_lshlrev_b32_e32 v96, v96, v85
	v_bfe_u32 v85, v85, 3, 4
	s_delay_alu instid0(VALU_DEP_2) | instskip(NEXT) | instid1(VALU_DEP_2)
	v_and_b32_e32 v96, 7, v96
	v_cmp_eq_u32_e32 vcc_lo, 0, v85
	s_delay_alu instid0(VALU_DEP_2) | instskip(NEXT) | instid1(VALU_DEP_1)
	v_dual_cndmask_b32 v85, v85, v87 :: v_dual_cndmask_b32 v86, v86, v96
	v_lshl_add_u32 v85, v85, 23, 0x3b800000
	s_delay_alu instid0(VALU_DEP_2) | instskip(NEXT) | instid1(VALU_DEP_1)
	v_lshlrev_b32_e32 v86, 20, v86
	v_or3_b32 v85, v16, v85, v86
.LBB4_5092:                             ;   in Loop: Header=BB4_4934 Depth=2
	s_or_b32 exec_lo, exec_lo, s23
	s_delay_alu instid0(VALU_DEP_1) | instskip(SKIP_2) | instid1(VALU_DEP_2)
	v_mul_f32_e32 v16, v17, v85
	v_mov_b32_e32 v96, 0x80
	s_mov_b32 s23, exec_lo
	v_and_b32_e32 v85, 0x7f800000, v16
	s_delay_alu instid0(VALU_DEP_1)
	v_cmpx_ne_u32_e32 0x7f800000, v85
	s_cbranch_execz .LBB4_5100
; %bb.5093:                             ;   in Loop: Header=BB4_4934 Depth=2
	v_mov_b32_e32 v96, 0
	s_mov_b32 s24, exec_lo
	v_cmpx_ne_u32_e32 0, v16
	s_cbranch_execz .LBB4_5099
; %bb.5094:                             ;   in Loop: Header=BB4_4934 Depth=2
	v_bfe_u32 v85, v16, 23, 8
	s_delay_alu instid0(VALU_DEP_1) | instskip(SKIP_1) | instid1(VALU_DEP_2)
	v_sub_nc_u32_e32 v87, 0x78, v85
	v_cmp_gt_u32_e32 vcc_lo, 0x79, v85
	v_dual_cndmask_b32 v87, 0, v87 :: v_dual_and_b32 v86, 0x7fffff, v16
	s_delay_alu instid0(VALU_DEP_1) | instskip(SKIP_2) | instid1(VALU_DEP_4)
	v_or_b32_e32 v96, 0x800000, v86
	v_cmp_eq_u32_e32 vcc_lo, 0, v85
	v_add_nc_u32_e32 v85, 0xffffff89, v85
	v_cndmask_b32_e64 v87, v87, 0x77, vcc_lo
	s_delay_alu instid0(VALU_DEP_4) | instskip(NEXT) | instid1(VALU_DEP_3)
	v_cndmask_b32_e32 v86, v96, v86, vcc_lo
	v_cndmask_b32_e64 v85, v85, 0xffffff8a, vcc_lo
	s_delay_alu instid0(VALU_DEP_3) | instskip(NEXT) | instid1(VALU_DEP_3)
	v_lshl_add_u32 v96, 0x100000, v87, -1
	v_lshrrev_b32_e32 v100, v87, v86
	v_lshlrev_b32_e64 v118, v87, 0x80000
	s_delay_alu instid0(VALU_DEP_4) | instskip(NEXT) | instid1(VALU_DEP_4)
	v_add_nc_u32_e32 v87, v87, v85
	v_and_b32_e32 v86, v96, v86
	s_delay_alu instid0(VALU_DEP_4) | instskip(NEXT) | instid1(VALU_DEP_2)
	v_bfe_u32 v113, v100, 20, 1
	v_cmp_eq_u32_e64 s7, v86, v118
	s_delay_alu instid0(VALU_DEP_2) | instskip(NEXT) | instid1(VALU_DEP_1)
	v_add_nc_u32_e32 v96, -1, v113
	v_cndmask_b32_e64 v86, 0, v96, s7
	v_lshrrev_b32_e32 v96, 23, v100
	s_mov_b32 s7, exec_lo
	s_delay_alu instid0(VALU_DEP_2) | instskip(NEXT) | instid1(VALU_DEP_2)
	v_add_nc_u32_e32 v86, v86, v100
	v_xor_b32_e32 v96, 1, v96
	s_delay_alu instid0(VALU_DEP_2) | instskip(NEXT) | instid1(VALU_DEP_1)
	v_and_b32_e32 v85, 0xfffff, v86
	v_add_nc_u32_e32 v86, v85, v100
                                        ; implicit-def: $vgpr85
	s_delay_alu instid0(VALU_DEP_3)
	v_cmpx_ne_u32_e64 v87, v96
	s_xor_b32 s7, exec_lo, s7
; %bb.5095:                             ;   in Loop: Header=BB4_4934 Depth=2
	s_delay_alu instid0(VALU_DEP_2) | instskip(SKIP_2) | instid1(VALU_DEP_2)
	v_cmp_lt_u32_e32 vcc_lo, 0xffffff, v86
	v_sub_nc_u32_e32 v85, v87, v96
	v_cndmask_b32_e64 v87, 0, 1, vcc_lo
	v_add_co_ci_u32_e32 v85, vcc_lo, 0, v85, vcc_lo
	s_delay_alu instid0(VALU_DEP_2)
	v_lshrrev_b32_e32 v86, v87, v86
; %bb.5096:                             ;   in Loop: Header=BB4_4934 Depth=2
	s_and_not1_saveexec_b32 s7, s7
; %bb.5097:                             ;   in Loop: Header=BB4_4934 Depth=2
	s_delay_alu instid0(VALU_DEP_1)
	v_bfe_u32 v85, v86, 23, 1
; %bb.5098:                             ;   in Loop: Header=BB4_4934 Depth=2
	s_or_b32 exec_lo, exec_lo, s7
	v_lshrrev_b32_e32 v86, 20, v86
	s_delay_alu instid0(VALU_DEP_2) | instskip(SKIP_2) | instid1(VALU_DEP_4)
	v_cmp_gt_i32_e32 vcc_lo, 16, v85
	v_lshrrev_b32_e32 v16, 24, v16
	v_min_i32_e32 v87, 15, v85
	v_cndmask_b32_e32 v86, 7, v86, vcc_lo
	s_delay_alu instid0(VALU_DEP_3) | instskip(NEXT) | instid1(VALU_DEP_3)
	v_and_b32_e32 v16, 0x80, v16
	v_lshlrev_b32_e32 v87, 3, v87
	s_delay_alu instid0(VALU_DEP_3) | instskip(SKIP_1) | instid1(VALU_DEP_2)
	v_and_b32_e32 v96, 7, v86
	v_or_b32_e32 v85, v85, v86
	v_or3_b32 v16, v87, v16, v96
	s_delay_alu instid0(VALU_DEP_2) | instskip(NEXT) | instid1(VALU_DEP_2)
	v_cmp_ne_u32_e32 vcc_lo, 0, v85
	v_cndmask_b32_e32 v96, 0, v16, vcc_lo
.LBB4_5099:                             ;   in Loop: Header=BB4_4934 Depth=2
	s_or_b32 exec_lo, exec_lo, s24
.LBB4_5100:                             ;   in Loop: Header=BB4_4934 Depth=2
	s_delay_alu instid0(SALU_CYCLE_1)
	s_or_b32 exec_lo, exec_lo, s23
	flat_load_u8 v16, v[10:11] offset:416 slc dlc
	s_mov_b32 s7, 0
	s_mov_b32 s24, exec_lo
                                        ; implicit-def: $sgpr23
	s_waitcnt vmcnt(0) lgkmcnt(0)
	v_cmpx_lt_i16_e32 0x7f, v16
	s_xor_b32 s24, exec_lo, s24
	s_cbranch_execnz .LBB4_5445
; %bb.5101:                             ;   in Loop: Header=BB4_4934 Depth=2
	s_or_saveexec_b32 s24, s24
	v_mov_b32_e32 v85, s23
	s_xor_b32 exec_lo, exec_lo, s24
	s_cbranch_execnz .LBB4_5448
.LBB4_5102:                             ;   in Loop: Header=BB4_4934 Depth=2
	s_or_b32 exec_lo, exec_lo, s24
	s_and_saveexec_b32 s23, s7
	s_cbranch_execz .LBB4_5104
.LBB4_5103:                             ;   in Loop: Header=BB4_4934 Depth=2
	v_and_b32_e32 v85, 0xffff, v16
	v_lshlrev_b32_e32 v16, 24, v16
	s_delay_alu instid0(VALU_DEP_2) | instskip(NEXT) | instid1(VALU_DEP_2)
	v_and_b32_e32 v86, 7, v85
	v_and_b32_e32 v16, 0x80000000, v16
	s_delay_alu instid0(VALU_DEP_2) | instskip(NEXT) | instid1(VALU_DEP_1)
	v_clz_i32_u32_e32 v87, v86
	v_min_u32_e32 v87, 32, v87
	s_delay_alu instid0(VALU_DEP_1) | instskip(SKIP_1) | instid1(VALU_DEP_2)
	v_subrev_nc_u32_e32 v100, 28, v87
	v_sub_nc_u32_e32 v87, 29, v87
	v_lshlrev_b32_e32 v100, v100, v85
	v_bfe_u32 v85, v85, 3, 4
	s_delay_alu instid0(VALU_DEP_2) | instskip(NEXT) | instid1(VALU_DEP_2)
	v_and_b32_e32 v100, 7, v100
	v_cmp_eq_u32_e32 vcc_lo, 0, v85
	s_delay_alu instid0(VALU_DEP_2) | instskip(NEXT) | instid1(VALU_DEP_1)
	v_dual_cndmask_b32 v85, v85, v87 :: v_dual_cndmask_b32 v86, v86, v100
	v_lshl_add_u32 v85, v85, 23, 0x3b800000
	s_delay_alu instid0(VALU_DEP_2) | instskip(NEXT) | instid1(VALU_DEP_1)
	v_lshlrev_b32_e32 v86, 20, v86
	v_or3_b32 v85, v16, v85, v86
.LBB4_5104:                             ;   in Loop: Header=BB4_4934 Depth=2
	s_or_b32 exec_lo, exec_lo, s23
	s_delay_alu instid0(VALU_DEP_1) | instskip(SKIP_2) | instid1(VALU_DEP_2)
	v_mul_f32_e32 v16, v17, v85
	v_mov_b32_e32 v86, 0x80
	s_mov_b32 s23, exec_lo
	v_and_b32_e32 v85, 0x7f800000, v16
	s_delay_alu instid0(VALU_DEP_1)
	v_cmpx_ne_u32_e32 0x7f800000, v85
	s_cbranch_execz .LBB4_5112
; %bb.5105:                             ;   in Loop: Header=BB4_4934 Depth=2
	v_mov_b32_e32 v86, 0
	s_mov_b32 s24, exec_lo
	v_cmpx_ne_u32_e32 0, v16
	s_cbranch_execz .LBB4_5111
; %bb.5106:                             ;   in Loop: Header=BB4_4934 Depth=2
	v_bfe_u32 v85, v16, 23, 8
	s_delay_alu instid0(VALU_DEP_1) | instskip(SKIP_1) | instid1(VALU_DEP_2)
	v_sub_nc_u32_e32 v87, 0x78, v85
	v_cmp_gt_u32_e32 vcc_lo, 0x79, v85
	v_dual_cndmask_b32 v87, 0, v87 :: v_dual_and_b32 v86, 0x7fffff, v16
	s_delay_alu instid0(VALU_DEP_1) | instskip(SKIP_2) | instid1(VALU_DEP_4)
	v_or_b32_e32 v100, 0x800000, v86
	v_cmp_eq_u32_e32 vcc_lo, 0, v85
	v_add_nc_u32_e32 v85, 0xffffff89, v85
	v_cndmask_b32_e64 v87, v87, 0x77, vcc_lo
	s_delay_alu instid0(VALU_DEP_4) | instskip(NEXT) | instid1(VALU_DEP_3)
	v_cndmask_b32_e32 v86, v100, v86, vcc_lo
	v_cndmask_b32_e64 v85, v85, 0xffffff8a, vcc_lo
	s_delay_alu instid0(VALU_DEP_3) | instskip(NEXT) | instid1(VALU_DEP_3)
	v_lshl_add_u32 v100, 0x100000, v87, -1
	v_lshrrev_b32_e32 v113, v87, v86
	v_lshlrev_b32_e64 v119, v87, 0x80000
	s_delay_alu instid0(VALU_DEP_4) | instskip(NEXT) | instid1(VALU_DEP_4)
	v_add_nc_u32_e32 v87, v87, v85
	v_and_b32_e32 v86, v100, v86
	s_delay_alu instid0(VALU_DEP_4) | instskip(NEXT) | instid1(VALU_DEP_2)
	v_bfe_u32 v118, v113, 20, 1
	v_cmp_eq_u32_e64 s7, v86, v119
	s_delay_alu instid0(VALU_DEP_2) | instskip(NEXT) | instid1(VALU_DEP_1)
	v_add_nc_u32_e32 v100, -1, v118
	v_cndmask_b32_e64 v86, 0, v100, s7
	v_lshrrev_b32_e32 v100, 23, v113
	s_mov_b32 s7, exec_lo
	s_delay_alu instid0(VALU_DEP_2) | instskip(NEXT) | instid1(VALU_DEP_2)
	v_add_nc_u32_e32 v86, v86, v113
	v_xor_b32_e32 v100, 1, v100
	s_delay_alu instid0(VALU_DEP_2) | instskip(NEXT) | instid1(VALU_DEP_1)
	v_and_b32_e32 v85, 0xfffff, v86
	v_add_nc_u32_e32 v86, v85, v113
                                        ; implicit-def: $vgpr85
	s_delay_alu instid0(VALU_DEP_3)
	v_cmpx_ne_u32_e64 v87, v100
	s_xor_b32 s7, exec_lo, s7
; %bb.5107:                             ;   in Loop: Header=BB4_4934 Depth=2
	s_delay_alu instid0(VALU_DEP_2) | instskip(SKIP_2) | instid1(VALU_DEP_2)
	v_cmp_lt_u32_e32 vcc_lo, 0xffffff, v86
	v_sub_nc_u32_e32 v85, v87, v100
	v_cndmask_b32_e64 v87, 0, 1, vcc_lo
	v_add_co_ci_u32_e32 v85, vcc_lo, 0, v85, vcc_lo
	s_delay_alu instid0(VALU_DEP_2)
	v_lshrrev_b32_e32 v86, v87, v86
; %bb.5108:                             ;   in Loop: Header=BB4_4934 Depth=2
	s_and_not1_saveexec_b32 s7, s7
; %bb.5109:                             ;   in Loop: Header=BB4_4934 Depth=2
	s_delay_alu instid0(VALU_DEP_1)
	v_bfe_u32 v85, v86, 23, 1
; %bb.5110:                             ;   in Loop: Header=BB4_4934 Depth=2
	s_or_b32 exec_lo, exec_lo, s7
	v_lshrrev_b32_e32 v86, 20, v86
	s_delay_alu instid0(VALU_DEP_2) | instskip(SKIP_2) | instid1(VALU_DEP_4)
	v_cmp_gt_i32_e32 vcc_lo, 16, v85
	v_lshrrev_b32_e32 v16, 24, v16
	v_min_i32_e32 v87, 15, v85
	v_cndmask_b32_e32 v86, 7, v86, vcc_lo
	s_delay_alu instid0(VALU_DEP_3) | instskip(NEXT) | instid1(VALU_DEP_3)
	v_and_b32_e32 v16, 0x80, v16
	v_lshlrev_b32_e32 v87, 3, v87
	s_delay_alu instid0(VALU_DEP_3) | instskip(SKIP_1) | instid1(VALU_DEP_2)
	v_and_b32_e32 v100, 7, v86
	v_or_b32_e32 v85, v85, v86
	v_or3_b32 v16, v87, v16, v100
	s_delay_alu instid0(VALU_DEP_2) | instskip(NEXT) | instid1(VALU_DEP_2)
	v_cmp_ne_u32_e32 vcc_lo, 0, v85
	v_cndmask_b32_e32 v86, 0, v16, vcc_lo
.LBB4_5111:                             ;   in Loop: Header=BB4_4934 Depth=2
	s_or_b32 exec_lo, exec_lo, s24
.LBB4_5112:                             ;   in Loop: Header=BB4_4934 Depth=2
	s_delay_alu instid0(SALU_CYCLE_1)
	s_or_b32 exec_lo, exec_lo, s23
	flat_load_u8 v16, v[10:11] offset:448 slc dlc
	s_mov_b32 s7, 0
	s_mov_b32 s24, exec_lo
                                        ; implicit-def: $sgpr23
	s_waitcnt vmcnt(0) lgkmcnt(0)
	v_cmpx_lt_i16_e32 0x7f, v16
	s_xor_b32 s24, exec_lo, s24
	s_cbranch_execnz .LBB4_5449
; %bb.5113:                             ;   in Loop: Header=BB4_4934 Depth=2
	s_or_saveexec_b32 s24, s24
	v_mov_b32_e32 v85, s23
	s_xor_b32 exec_lo, exec_lo, s24
	s_cbranch_execnz .LBB4_5452
.LBB4_5114:                             ;   in Loop: Header=BB4_4934 Depth=2
	s_or_b32 exec_lo, exec_lo, s24
	s_and_saveexec_b32 s23, s7
	s_cbranch_execz .LBB4_5116
.LBB4_5115:                             ;   in Loop: Header=BB4_4934 Depth=2
	v_and_b32_e32 v85, 0xffff, v16
	s_delay_alu instid0(VALU_DEP_1) | instskip(NEXT) | instid1(VALU_DEP_1)
	v_and_b32_e32 v87, 7, v85
	v_clz_i32_u32_e32 v100, v87
	s_delay_alu instid0(VALU_DEP_1) | instskip(NEXT) | instid1(VALU_DEP_1)
	v_min_u32_e32 v100, 32, v100
	v_subrev_nc_u32_e32 v113, 28, v100
	v_sub_nc_u32_e32 v100, 29, v100
	s_delay_alu instid0(VALU_DEP_2) | instskip(SKIP_1) | instid1(VALU_DEP_2)
	v_lshlrev_b32_e32 v113, v113, v85
	v_bfe_u32 v85, v85, 3, 4
	v_and_b32_e32 v113, 7, v113
	s_delay_alu instid0(VALU_DEP_2) | instskip(NEXT) | instid1(VALU_DEP_2)
	v_cmp_eq_u32_e32 vcc_lo, 0, v85
	v_dual_cndmask_b32 v87, v87, v113 :: v_dual_lshlrev_b32 v16, 24, v16
	v_cndmask_b32_e32 v85, v85, v100, vcc_lo
	s_delay_alu instid0(VALU_DEP_2) | instskip(NEXT) | instid1(VALU_DEP_3)
	v_and_b32_e32 v16, 0x80000000, v16
	v_lshlrev_b32_e32 v87, 20, v87
	s_delay_alu instid0(VALU_DEP_3) | instskip(NEXT) | instid1(VALU_DEP_1)
	v_lshl_add_u32 v85, v85, 23, 0x3b800000
	v_or3_b32 v85, v16, v85, v87
.LBB4_5116:                             ;   in Loop: Header=BB4_4934 Depth=2
	s_or_b32 exec_lo, exec_lo, s23
	s_delay_alu instid0(VALU_DEP_1) | instskip(NEXT) | instid1(VALU_DEP_1)
	v_mul_f32_e32 v16, v17, v85
	v_and_b32_e32 v85, 0x7f800000, v16
	s_delay_alu instid0(VALU_DEP_1)
	v_cmp_ne_u32_e32 vcc_lo, 0x7f800000, v85
	v_mov_b32_e32 v85, 0x80
	s_and_saveexec_b32 s23, vcc_lo
	s_cbranch_execz .LBB4_5124
; %bb.5117:                             ;   in Loop: Header=BB4_4934 Depth=2
	v_mov_b32_e32 v85, 0
	s_mov_b32 s24, exec_lo
	v_cmpx_ne_u32_e32 0, v16
	s_cbranch_execz .LBB4_5123
; %bb.5118:                             ;   in Loop: Header=BB4_4934 Depth=2
	v_bfe_u32 v85, v16, 23, 8
	v_and_b32_e32 v87, 0x7fffff, v16
	s_delay_alu instid0(VALU_DEP_2) | instskip(SKIP_1) | instid1(VALU_DEP_3)
	v_sub_nc_u32_e32 v100, 0x78, v85
	v_cmp_gt_u32_e32 vcc_lo, 0x79, v85
	v_or_b32_e32 v113, 0x800000, v87
	s_delay_alu instid0(VALU_DEP_3) | instskip(SKIP_2) | instid1(VALU_DEP_4)
	v_cndmask_b32_e32 v100, 0, v100, vcc_lo
	v_cmp_eq_u32_e32 vcc_lo, 0, v85
	v_add_nc_u32_e32 v85, 0xffffff89, v85
	v_cndmask_b32_e32 v87, v113, v87, vcc_lo
	s_delay_alu instid0(VALU_DEP_4) | instskip(NEXT) | instid1(VALU_DEP_3)
	v_cndmask_b32_e64 v100, v100, 0x77, vcc_lo
	v_cndmask_b32_e64 v85, v85, 0xffffff8a, vcc_lo
	s_delay_alu instid0(VALU_DEP_2) | instskip(SKIP_2) | instid1(VALU_DEP_4)
	v_lshrrev_b32_e32 v118, v100, v87
	v_lshl_add_u32 v113, 0x100000, v100, -1
	v_lshlrev_b32_e64 v128, v100, 0x80000
	v_add_nc_u32_e32 v100, v100, v85
	s_delay_alu instid0(VALU_DEP_4) | instskip(NEXT) | instid1(VALU_DEP_4)
	v_bfe_u32 v119, v118, 20, 1
	v_and_b32_e32 v87, v113, v87
	s_delay_alu instid0(VALU_DEP_2) | instskip(NEXT) | instid1(VALU_DEP_2)
	v_add_nc_u32_e32 v113, -1, v119
	v_cmp_eq_u32_e64 s7, v87, v128
	s_delay_alu instid0(VALU_DEP_1) | instskip(SKIP_2) | instid1(VALU_DEP_2)
	v_cndmask_b32_e64 v87, 0, v113, s7
	v_lshrrev_b32_e32 v113, 23, v118
	s_mov_b32 s7, exec_lo
	v_add_nc_u32_e32 v87, v87, v118
	s_delay_alu instid0(VALU_DEP_2) | instskip(NEXT) | instid1(VALU_DEP_2)
	v_xor_b32_e32 v113, 1, v113
	v_and_b32_e32 v85, 0xfffff, v87
	s_delay_alu instid0(VALU_DEP_1) | instskip(NEXT) | instid1(VALU_DEP_3)
	v_add_nc_u32_e32 v87, v85, v118
                                        ; implicit-def: $vgpr85
	v_cmpx_ne_u32_e64 v100, v113
	s_xor_b32 s7, exec_lo, s7
; %bb.5119:                             ;   in Loop: Header=BB4_4934 Depth=2
	s_delay_alu instid0(VALU_DEP_2) | instskip(SKIP_2) | instid1(VALU_DEP_2)
	v_cmp_lt_u32_e32 vcc_lo, 0xffffff, v87
	v_sub_nc_u32_e32 v85, v100, v113
	v_cndmask_b32_e64 v100, 0, 1, vcc_lo
	v_add_co_ci_u32_e32 v85, vcc_lo, 0, v85, vcc_lo
	s_delay_alu instid0(VALU_DEP_2)
	v_lshrrev_b32_e32 v87, v100, v87
; %bb.5120:                             ;   in Loop: Header=BB4_4934 Depth=2
	s_and_not1_saveexec_b32 s7, s7
; %bb.5121:                             ;   in Loop: Header=BB4_4934 Depth=2
	s_delay_alu instid0(VALU_DEP_1)
	v_bfe_u32 v85, v87, 23, 1
; %bb.5122:                             ;   in Loop: Header=BB4_4934 Depth=2
	s_or_b32 exec_lo, exec_lo, s7
	v_lshrrev_b32_e32 v87, 20, v87
	s_delay_alu instid0(VALU_DEP_2) | instskip(SKIP_2) | instid1(VALU_DEP_2)
	v_cmp_gt_i32_e32 vcc_lo, 16, v85
	v_lshrrev_b32_e32 v16, 24, v16
	v_min_i32_e32 v100, 15, v85
	v_dual_cndmask_b32 v87, 7, v87 :: v_dual_and_b32 v16, 0x80, v16
	s_delay_alu instid0(VALU_DEP_2) | instskip(NEXT) | instid1(VALU_DEP_2)
	v_lshlrev_b32_e32 v100, 3, v100
	v_and_b32_e32 v113, 7, v87
	v_or_b32_e32 v85, v85, v87
	s_delay_alu instid0(VALU_DEP_2) | instskip(NEXT) | instid1(VALU_DEP_2)
	v_or3_b32 v16, v100, v16, v113
	v_cmp_ne_u32_e32 vcc_lo, 0, v85
	s_delay_alu instid0(VALU_DEP_2)
	v_cndmask_b32_e32 v85, 0, v16, vcc_lo
.LBB4_5123:                             ;   in Loop: Header=BB4_4934 Depth=2
	s_or_b32 exec_lo, exec_lo, s24
.LBB4_5124:                             ;   in Loop: Header=BB4_4934 Depth=2
	s_delay_alu instid0(SALU_CYCLE_1)
	s_or_b32 exec_lo, exec_lo, s23
	flat_load_u8 v16, v[10:11] offset:480 slc dlc
	s_mov_b32 s7, 0
	s_mov_b32 s24, exec_lo
                                        ; implicit-def: $sgpr23
	s_waitcnt vmcnt(0) lgkmcnt(0)
	v_cmpx_lt_i16_e32 0x7f, v16
	s_xor_b32 s24, exec_lo, s24
	s_cbranch_execnz .LBB4_5453
; %bb.5125:                             ;   in Loop: Header=BB4_4934 Depth=2
	s_or_saveexec_b32 s24, s24
	v_mov_b32_e32 v87, s23
	s_xor_b32 exec_lo, exec_lo, s24
	s_cbranch_execnz .LBB4_5456
.LBB4_5126:                             ;   in Loop: Header=BB4_4934 Depth=2
	s_or_b32 exec_lo, exec_lo, s24
	s_and_saveexec_b32 s23, s7
	s_cbranch_execz .LBB4_5128
.LBB4_5127:                             ;   in Loop: Header=BB4_4934 Depth=2
	v_and_b32_e32 v87, 0xffff, v16
	v_lshlrev_b32_e32 v16, 24, v16
	s_delay_alu instid0(VALU_DEP_2) | instskip(NEXT) | instid1(VALU_DEP_2)
	v_and_b32_e32 v100, 7, v87
	v_and_b32_e32 v16, 0x80000000, v16
	s_delay_alu instid0(VALU_DEP_2) | instskip(NEXT) | instid1(VALU_DEP_1)
	v_clz_i32_u32_e32 v113, v100
	v_min_u32_e32 v113, 32, v113
	s_delay_alu instid0(VALU_DEP_1) | instskip(SKIP_1) | instid1(VALU_DEP_2)
	v_subrev_nc_u32_e32 v118, 28, v113
	v_sub_nc_u32_e32 v113, 29, v113
	v_lshlrev_b32_e32 v118, v118, v87
	v_bfe_u32 v87, v87, 3, 4
	s_delay_alu instid0(VALU_DEP_2) | instskip(NEXT) | instid1(VALU_DEP_2)
	v_and_b32_e32 v118, 7, v118
	v_cmp_eq_u32_e32 vcc_lo, 0, v87
	s_delay_alu instid0(VALU_DEP_2) | instskip(NEXT) | instid1(VALU_DEP_1)
	v_dual_cndmask_b32 v87, v87, v113 :: v_dual_cndmask_b32 v100, v100, v118
	v_lshl_add_u32 v87, v87, 23, 0x3b800000
	s_delay_alu instid0(VALU_DEP_2) | instskip(NEXT) | instid1(VALU_DEP_1)
	v_lshlrev_b32_e32 v100, 20, v100
	v_or3_b32 v87, v16, v87, v100
.LBB4_5128:                             ;   in Loop: Header=BB4_4934 Depth=2
	s_or_b32 exec_lo, exec_lo, s23
	s_delay_alu instid0(VALU_DEP_1) | instskip(NEXT) | instid1(VALU_DEP_1)
	v_mul_f32_e32 v16, v17, v87
	v_and_b32_e32 v17, 0x7f800000, v16
	s_delay_alu instid0(VALU_DEP_1)
	v_cmp_ne_u32_e32 vcc_lo, 0x7f800000, v17
	v_mov_b32_e32 v17, 0x80
	s_and_saveexec_b32 s23, vcc_lo
	s_cbranch_execz .LBB4_5136
; %bb.5129:                             ;   in Loop: Header=BB4_4934 Depth=2
	v_mov_b32_e32 v17, 0
	s_mov_b32 s24, exec_lo
	v_cmpx_ne_u32_e32 0, v16
	s_cbranch_execz .LBB4_5135
; %bb.5130:                             ;   in Loop: Header=BB4_4934 Depth=2
	v_bfe_u32 v17, v16, 23, 8
	v_and_b32_e32 v87, 0x7fffff, v16
	s_delay_alu instid0(VALU_DEP_2) | instskip(SKIP_1) | instid1(VALU_DEP_3)
	v_sub_nc_u32_e32 v100, 0x78, v17
	v_cmp_gt_u32_e32 vcc_lo, 0x79, v17
	v_or_b32_e32 v113, 0x800000, v87
	s_delay_alu instid0(VALU_DEP_3) | instskip(SKIP_2) | instid1(VALU_DEP_4)
	v_cndmask_b32_e32 v100, 0, v100, vcc_lo
	v_cmp_eq_u32_e32 vcc_lo, 0, v17
	v_add_nc_u32_e32 v17, 0xffffff89, v17
	v_cndmask_b32_e32 v87, v113, v87, vcc_lo
	s_delay_alu instid0(VALU_DEP_4) | instskip(NEXT) | instid1(VALU_DEP_3)
	v_cndmask_b32_e64 v100, v100, 0x77, vcc_lo
	v_cndmask_b32_e64 v17, v17, 0xffffff8a, vcc_lo
	s_delay_alu instid0(VALU_DEP_2) | instskip(SKIP_2) | instid1(VALU_DEP_4)
	v_lshrrev_b32_e32 v118, v100, v87
	v_lshl_add_u32 v113, 0x100000, v100, -1
	v_lshlrev_b32_e64 v128, v100, 0x80000
	v_add_nc_u32_e32 v100, v100, v17
	s_delay_alu instid0(VALU_DEP_4) | instskip(NEXT) | instid1(VALU_DEP_4)
	v_bfe_u32 v119, v118, 20, 1
	v_and_b32_e32 v87, v113, v87
	s_delay_alu instid0(VALU_DEP_2) | instskip(NEXT) | instid1(VALU_DEP_2)
	v_add_nc_u32_e32 v113, -1, v119
	v_cmp_eq_u32_e64 s7, v87, v128
	s_delay_alu instid0(VALU_DEP_1) | instskip(SKIP_2) | instid1(VALU_DEP_2)
	v_cndmask_b32_e64 v87, 0, v113, s7
	v_lshrrev_b32_e32 v113, 23, v118
	s_mov_b32 s7, exec_lo
	v_add_nc_u32_e32 v87, v87, v118
	s_delay_alu instid0(VALU_DEP_2) | instskip(NEXT) | instid1(VALU_DEP_2)
	v_xor_b32_e32 v113, 1, v113
	v_and_b32_e32 v17, 0xfffff, v87
	s_delay_alu instid0(VALU_DEP_1) | instskip(NEXT) | instid1(VALU_DEP_3)
	v_add_nc_u32_e32 v87, v17, v118
                                        ; implicit-def: $vgpr17
	v_cmpx_ne_u32_e64 v100, v113
	s_xor_b32 s7, exec_lo, s7
; %bb.5131:                             ;   in Loop: Header=BB4_4934 Depth=2
	s_delay_alu instid0(VALU_DEP_2) | instskip(SKIP_2) | instid1(VALU_DEP_2)
	v_cmp_lt_u32_e32 vcc_lo, 0xffffff, v87
	v_sub_nc_u32_e32 v17, v100, v113
	v_cndmask_b32_e64 v100, 0, 1, vcc_lo
	v_add_co_ci_u32_e32 v17, vcc_lo, 0, v17, vcc_lo
	s_delay_alu instid0(VALU_DEP_2)
	v_lshrrev_b32_e32 v87, v100, v87
; %bb.5132:                             ;   in Loop: Header=BB4_4934 Depth=2
	s_and_not1_saveexec_b32 s7, s7
; %bb.5133:                             ;   in Loop: Header=BB4_4934 Depth=2
	s_delay_alu instid0(VALU_DEP_1)
	v_bfe_u32 v17, v87, 23, 1
; %bb.5134:                             ;   in Loop: Header=BB4_4934 Depth=2
	s_or_b32 exec_lo, exec_lo, s7
	v_lshrrev_b32_e32 v87, 20, v87
	s_delay_alu instid0(VALU_DEP_2) | instskip(SKIP_2) | instid1(VALU_DEP_2)
	v_cmp_gt_i32_e32 vcc_lo, 16, v17
	v_lshrrev_b32_e32 v16, 24, v16
	v_min_i32_e32 v100, 15, v17
	v_dual_cndmask_b32 v87, 7, v87 :: v_dual_and_b32 v16, 0x80, v16
	s_delay_alu instid0(VALU_DEP_2) | instskip(NEXT) | instid1(VALU_DEP_2)
	v_lshlrev_b32_e32 v100, 3, v100
	v_and_b32_e32 v113, 7, v87
	v_or_b32_e32 v17, v17, v87
	s_delay_alu instid0(VALU_DEP_2) | instskip(NEXT) | instid1(VALU_DEP_2)
	v_or3_b32 v16, v100, v16, v113
	v_cmp_ne_u32_e32 vcc_lo, 0, v17
	s_delay_alu instid0(VALU_DEP_2)
	v_cndmask_b32_e32 v17, 0, v16, vcc_lo
.LBB4_5135:                             ;   in Loop: Header=BB4_4934 Depth=2
	s_or_b32 exec_lo, exec_lo, s24
.LBB4_5136:                             ;   in Loop: Header=BB4_4934 Depth=2
	s_delay_alu instid0(SALU_CYCLE_1)
	s_or_b32 exec_lo, exec_lo, s23
	s_clause 0xf
	flat_load_u8 v145, v[12:13] slc dlc
	flat_load_u8 v144, v[12:13] offset:32 slc dlc
	flat_load_u8 v135, v[12:13] offset:64 slc dlc
	flat_load_u8 v134, v[12:13] offset:96 slc dlc
	flat_load_u8 v133, v[12:13] offset:128 slc dlc
	flat_load_u8 v132, v[12:13] offset:160 slc dlc
	flat_load_u8 v131, v[12:13] offset:192 slc dlc
	flat_load_u8 v130, v[12:13] offset:224 slc dlc
	flat_load_u8 v129, v[12:13] offset:256 slc dlc
	flat_load_u8 v128, v[12:13] offset:288 slc dlc
	flat_load_u8 v119, v[12:13] offset:320 slc dlc
	flat_load_u8 v118, v[12:13] offset:352 slc dlc
	flat_load_u8 v113, v[12:13] offset:384 slc dlc
	flat_load_u8 v100, v[12:13] offset:416 slc dlc
	flat_load_u8 v87, v[12:13] offset:448 slc dlc
	flat_load_u8 v16, v[12:13] offset:480 slc dlc
	v_and_b32_e32 v147, 0xff, v53
	s_mov_b32 s7, 0
	s_mov_b32 s24, exec_lo
                                        ; implicit-def: $sgpr23
	s_delay_alu instid0(VALU_DEP_1)
	v_cmpx_lt_i16_e64 0x7f, v147
	s_xor_b32 s24, exec_lo, s24
	s_cbranch_execnz .LBB4_5457
; %bb.5137:                             ;   in Loop: Header=BB4_4934 Depth=2
	s_or_saveexec_b32 s24, s24
	v_mov_b32_e32 v146, s23
	s_xor_b32 exec_lo, exec_lo, s24
	s_cbranch_execnz .LBB4_5460
.LBB4_5138:                             ;   in Loop: Header=BB4_4934 Depth=2
	s_or_b32 exec_lo, exec_lo, s24
	s_and_saveexec_b32 s23, s7
	s_cbranch_execz .LBB4_5140
.LBB4_5139:                             ;   in Loop: Header=BB4_4934 Depth=2
	v_lshrrev_b16 v149, 3, v53
	s_delay_alu instid0(VALU_DEP_1) | instskip(NEXT) | instid1(VALU_DEP_1)
	v_and_b32_e32 v149, 15, v149
	v_cmp_eq_u32_e32 vcc_lo, 0, v149
	v_and_b32_e32 v146, 7, v53
	s_delay_alu instid0(VALU_DEP_1) | instskip(NEXT) | instid1(VALU_DEP_1)
	v_clz_i32_u32_e32 v147, v146
	v_min_u32_e32 v147, 32, v147
	s_delay_alu instid0(VALU_DEP_1) | instskip(SKIP_1) | instid1(VALU_DEP_1)
	v_subrev_nc_u32_e32 v148, 28, v147
	v_sub_nc_u32_e32 v147, 29, v147
	v_dual_cndmask_b32 v147, v149, v147 :: v_dual_lshlrev_b32 v148, v148, v53
	v_lshlrev_b32_e32 v53, 24, v53
	s_delay_alu instid0(VALU_DEP_2) | instskip(NEXT) | instid1(VALU_DEP_3)
	v_and_b32_e32 v148, 7, v148
	v_lshl_add_u32 v147, v147, 23, 0x3b800000
	s_delay_alu instid0(VALU_DEP_2) | instskip(NEXT) | instid1(VALU_DEP_1)
	v_dual_cndmask_b32 v146, v146, v148 :: v_dual_and_b32 v53, 0x80000000, v53
	v_lshlrev_b32_e32 v146, 20, v146
	s_delay_alu instid0(VALU_DEP_1)
	v_or3_b32 v146, v53, v147, v146
.LBB4_5140:                             ;   in Loop: Header=BB4_4934 Depth=2
	s_or_b32 exec_lo, exec_lo, s23
	s_waitcnt vmcnt(15) lgkmcnt(15)
	v_and_b32_e32 v147, 0xff, v145
	s_mov_b32 s7, 0
	s_mov_b32 s24, exec_lo
                                        ; implicit-def: $sgpr23
	s_delay_alu instid0(VALU_DEP_1)
	v_cmpx_lt_i16_e64 0x7f, v147
	s_xor_b32 s24, exec_lo, s24
	s_cbranch_execnz .LBB4_5461
; %bb.5141:                             ;   in Loop: Header=BB4_4934 Depth=2
	s_or_saveexec_b32 s24, s24
	v_mov_b32_e32 v53, s23
	s_xor_b32 exec_lo, exec_lo, s24
	s_cbranch_execnz .LBB4_5464
.LBB4_5142:                             ;   in Loop: Header=BB4_4934 Depth=2
	s_or_b32 exec_lo, exec_lo, s24
	s_and_saveexec_b32 s23, s7
	s_cbranch_execz .LBB4_5144
.LBB4_5143:                             ;   in Loop: Header=BB4_4934 Depth=2
	v_and_b32_e32 v53, 7, v145
	v_lshrrev_b16 v149, 3, v145
	s_delay_alu instid0(VALU_DEP_2) | instskip(NEXT) | instid1(VALU_DEP_2)
	v_clz_i32_u32_e32 v147, v53
	v_and_b32_e32 v149, 15, v149
	s_delay_alu instid0(VALU_DEP_2) | instskip(NEXT) | instid1(VALU_DEP_2)
	v_min_u32_e32 v147, 32, v147
	v_cmp_eq_u32_e32 vcc_lo, 0, v149
	s_delay_alu instid0(VALU_DEP_2) | instskip(SKIP_1) | instid1(VALU_DEP_1)
	v_subrev_nc_u32_e32 v148, 28, v147
	v_sub_nc_u32_e32 v147, 29, v147
	v_dual_cndmask_b32 v147, v149, v147 :: v_dual_lshlrev_b32 v148, v148, v145
	v_lshlrev_b32_e32 v145, 24, v145
	s_delay_alu instid0(VALU_DEP_2) | instskip(NEXT) | instid1(VALU_DEP_3)
	v_and_b32_e32 v148, 7, v148
	v_lshl_add_u32 v147, v147, 23, 0x3b800000
	s_delay_alu instid0(VALU_DEP_3) | instskip(NEXT) | instid1(VALU_DEP_3)
	v_and_b32_e32 v145, 0x80000000, v145
	v_cndmask_b32_e32 v53, v53, v148, vcc_lo
	s_delay_alu instid0(VALU_DEP_1) | instskip(NEXT) | instid1(VALU_DEP_1)
	v_lshlrev_b32_e32 v53, 20, v53
	v_or3_b32 v53, v145, v147, v53
.LBB4_5144:                             ;   in Loop: Header=BB4_4934 Depth=2
	s_or_b32 exec_lo, exec_lo, s23
	s_delay_alu instid0(VALU_DEP_1) | instskip(NEXT) | instid1(VALU_DEP_1)
	v_add_f32_e32 v145, v146, v53
	v_and_b32_e32 v53, 0x7f800000, v145
	s_delay_alu instid0(VALU_DEP_1)
	v_cmp_ne_u32_e32 vcc_lo, 0x7f800000, v53
	v_mov_b32_e32 v53, 0x80
	s_and_saveexec_b32 s23, vcc_lo
	s_cbranch_execz .LBB4_5152
; %bb.5145:                             ;   in Loop: Header=BB4_4934 Depth=2
	v_mov_b32_e32 v53, 0
	s_mov_b32 s24, exec_lo
	v_cmpx_ne_u32_e32 0, v145
	s_cbranch_execz .LBB4_5151
; %bb.5146:                             ;   in Loop: Header=BB4_4934 Depth=2
	v_bfe_u32 v53, v145, 23, 8
	s_delay_alu instid0(VALU_DEP_1) | instskip(SKIP_1) | instid1(VALU_DEP_2)
	v_sub_nc_u32_e32 v147, 0x78, v53
	v_cmp_gt_u32_e32 vcc_lo, 0x79, v53
	v_dual_cndmask_b32 v147, 0, v147 :: v_dual_and_b32 v146, 0x7fffff, v145
	s_delay_alu instid0(VALU_DEP_1) | instskip(SKIP_2) | instid1(VALU_DEP_4)
	v_or_b32_e32 v148, 0x800000, v146
	v_cmp_eq_u32_e32 vcc_lo, 0, v53
	v_add_nc_u32_e32 v53, 0xffffff89, v53
	v_cndmask_b32_e64 v147, v147, 0x77, vcc_lo
	s_delay_alu instid0(VALU_DEP_4) | instskip(NEXT) | instid1(VALU_DEP_3)
	v_cndmask_b32_e32 v146, v148, v146, vcc_lo
	v_cndmask_b32_e64 v53, v53, 0xffffff8a, vcc_lo
	s_delay_alu instid0(VALU_DEP_3) | instskip(NEXT) | instid1(VALU_DEP_3)
	v_lshl_add_u32 v148, 0x100000, v147, -1
	v_lshrrev_b32_e32 v149, v147, v146
	v_lshlrev_b32_e64 v151, v147, 0x80000
	s_delay_alu instid0(VALU_DEP_4) | instskip(NEXT) | instid1(VALU_DEP_4)
	v_add_nc_u32_e32 v147, v147, v53
	v_and_b32_e32 v146, v148, v146
	s_delay_alu instid0(VALU_DEP_4) | instskip(NEXT) | instid1(VALU_DEP_2)
	v_bfe_u32 v150, v149, 20, 1
	v_cmp_eq_u32_e64 s7, v146, v151
	s_delay_alu instid0(VALU_DEP_2) | instskip(NEXT) | instid1(VALU_DEP_1)
	v_add_nc_u32_e32 v148, -1, v150
	v_cndmask_b32_e64 v146, 0, v148, s7
	v_lshrrev_b32_e32 v148, 23, v149
	s_mov_b32 s7, exec_lo
	s_delay_alu instid0(VALU_DEP_2) | instskip(NEXT) | instid1(VALU_DEP_2)
	v_add_nc_u32_e32 v146, v146, v149
	v_xor_b32_e32 v148, 1, v148
	s_delay_alu instid0(VALU_DEP_2) | instskip(NEXT) | instid1(VALU_DEP_1)
	v_and_b32_e32 v53, 0xfffff, v146
	v_add_nc_u32_e32 v146, v53, v149
                                        ; implicit-def: $vgpr53
	s_delay_alu instid0(VALU_DEP_3)
	v_cmpx_ne_u32_e64 v147, v148
	s_xor_b32 s7, exec_lo, s7
; %bb.5147:                             ;   in Loop: Header=BB4_4934 Depth=2
	s_delay_alu instid0(VALU_DEP_2) | instskip(SKIP_2) | instid1(VALU_DEP_2)
	v_cmp_lt_u32_e32 vcc_lo, 0xffffff, v146
	v_sub_nc_u32_e32 v53, v147, v148
	v_cndmask_b32_e64 v147, 0, 1, vcc_lo
	v_add_co_ci_u32_e32 v53, vcc_lo, 0, v53, vcc_lo
	s_delay_alu instid0(VALU_DEP_2)
	v_lshrrev_b32_e32 v146, v147, v146
; %bb.5148:                             ;   in Loop: Header=BB4_4934 Depth=2
	s_and_not1_saveexec_b32 s7, s7
; %bb.5149:                             ;   in Loop: Header=BB4_4934 Depth=2
	s_delay_alu instid0(VALU_DEP_1)
	v_bfe_u32 v53, v146, 23, 1
; %bb.5150:                             ;   in Loop: Header=BB4_4934 Depth=2
	s_or_b32 exec_lo, exec_lo, s7
	v_lshrrev_b32_e32 v146, 20, v146
	s_delay_alu instid0(VALU_DEP_2) | instskip(SKIP_2) | instid1(VALU_DEP_2)
	v_cmp_gt_i32_e32 vcc_lo, 16, v53
	v_lshrrev_b32_e32 v145, 24, v145
	v_min_i32_e32 v147, 15, v53
	v_dual_cndmask_b32 v146, 7, v146 :: v_dual_and_b32 v145, 0x80, v145
	s_delay_alu instid0(VALU_DEP_2) | instskip(NEXT) | instid1(VALU_DEP_2)
	v_lshlrev_b32_e32 v147, 3, v147
	v_or_b32_e32 v53, v53, v146
	s_delay_alu instid0(VALU_DEP_1) | instskip(SKIP_1) | instid1(VALU_DEP_1)
	v_cmp_ne_u32_e32 vcc_lo, 0, v53
	v_and_b32_e32 v148, 7, v146
	v_or3_b32 v145, v147, v145, v148
	s_delay_alu instid0(VALU_DEP_1)
	v_cndmask_b32_e32 v53, 0, v145, vcc_lo
.LBB4_5151:                             ;   in Loop: Header=BB4_4934 Depth=2
	s_or_b32 exec_lo, exec_lo, s24
.LBB4_5152:                             ;   in Loop: Header=BB4_4934 Depth=2
	s_delay_alu instid0(SALU_CYCLE_1) | instskip(SKIP_3) | instid1(VALU_DEP_1)
	s_or_b32 exec_lo, exec_lo, s23
	v_and_b32_e32 v146, 0xff, v97
	s_mov_b32 s7, 0
	s_mov_b32 s24, exec_lo
                                        ; implicit-def: $sgpr23
	v_cmpx_lt_i16_e64 0x7f, v146
	s_xor_b32 s24, exec_lo, s24
	s_cbranch_execnz .LBB4_5465
; %bb.5153:                             ;   in Loop: Header=BB4_4934 Depth=2
	s_or_saveexec_b32 s24, s24
	v_mov_b32_e32 v145, s23
	s_xor_b32 exec_lo, exec_lo, s24
	s_cbranch_execnz .LBB4_5468
.LBB4_5154:                             ;   in Loop: Header=BB4_4934 Depth=2
	s_or_b32 exec_lo, exec_lo, s24
	s_and_saveexec_b32 s23, s7
	s_cbranch_execz .LBB4_5156
.LBB4_5155:                             ;   in Loop: Header=BB4_4934 Depth=2
	v_lshrrev_b16 v148, 3, v97
	s_delay_alu instid0(VALU_DEP_1) | instskip(NEXT) | instid1(VALU_DEP_1)
	v_and_b32_e32 v148, 15, v148
	v_cmp_eq_u32_e32 vcc_lo, 0, v148
	v_and_b32_e32 v145, 7, v97
	s_delay_alu instid0(VALU_DEP_1) | instskip(NEXT) | instid1(VALU_DEP_1)
	v_clz_i32_u32_e32 v146, v145
	v_min_u32_e32 v146, 32, v146
	s_delay_alu instid0(VALU_DEP_1) | instskip(SKIP_1) | instid1(VALU_DEP_1)
	v_subrev_nc_u32_e32 v147, 28, v146
	v_sub_nc_u32_e32 v146, 29, v146
	v_dual_cndmask_b32 v146, v148, v146 :: v_dual_lshlrev_b32 v147, v147, v97
	v_lshlrev_b32_e32 v97, 24, v97
	s_delay_alu instid0(VALU_DEP_2) | instskip(NEXT) | instid1(VALU_DEP_3)
	v_and_b32_e32 v147, 7, v147
	v_lshl_add_u32 v146, v146, 23, 0x3b800000
	s_delay_alu instid0(VALU_DEP_3) | instskip(NEXT) | instid1(VALU_DEP_3)
	v_and_b32_e32 v97, 0x80000000, v97
	v_cndmask_b32_e32 v145, v145, v147, vcc_lo
	s_delay_alu instid0(VALU_DEP_1) | instskip(NEXT) | instid1(VALU_DEP_1)
	v_lshlrev_b32_e32 v145, 20, v145
	v_or3_b32 v145, v97, v146, v145
.LBB4_5156:                             ;   in Loop: Header=BB4_4934 Depth=2
	s_or_b32 exec_lo, exec_lo, s23
	s_waitcnt vmcnt(14) lgkmcnt(14)
	v_and_b32_e32 v146, 0xff, v144
	s_mov_b32 s7, 0
	s_mov_b32 s24, exec_lo
                                        ; implicit-def: $sgpr23
	s_delay_alu instid0(VALU_DEP_1)
	v_cmpx_lt_i16_e64 0x7f, v146
	s_xor_b32 s24, exec_lo, s24
	s_cbranch_execnz .LBB4_5469
; %bb.5157:                             ;   in Loop: Header=BB4_4934 Depth=2
	s_or_saveexec_b32 s24, s24
	v_mov_b32_e32 v97, s23
	s_xor_b32 exec_lo, exec_lo, s24
	s_cbranch_execnz .LBB4_5472
.LBB4_5158:                             ;   in Loop: Header=BB4_4934 Depth=2
	s_or_b32 exec_lo, exec_lo, s24
	s_and_saveexec_b32 s23, s7
	s_cbranch_execz .LBB4_5160
.LBB4_5159:                             ;   in Loop: Header=BB4_4934 Depth=2
	v_lshrrev_b16 v148, 3, v144
	s_delay_alu instid0(VALU_DEP_1) | instskip(NEXT) | instid1(VALU_DEP_1)
	v_and_b32_e32 v148, 15, v148
	v_cmp_eq_u32_e32 vcc_lo, 0, v148
	v_and_b32_e32 v97, 7, v144
	s_delay_alu instid0(VALU_DEP_1) | instskip(NEXT) | instid1(VALU_DEP_1)
	v_clz_i32_u32_e32 v146, v97
	v_min_u32_e32 v146, 32, v146
	s_delay_alu instid0(VALU_DEP_1) | instskip(SKIP_1) | instid1(VALU_DEP_1)
	v_subrev_nc_u32_e32 v147, 28, v146
	v_sub_nc_u32_e32 v146, 29, v146
	v_dual_cndmask_b32 v146, v148, v146 :: v_dual_lshlrev_b32 v147, v147, v144
	v_lshlrev_b32_e32 v144, 24, v144
	s_delay_alu instid0(VALU_DEP_2) | instskip(NEXT) | instid1(VALU_DEP_3)
	v_and_b32_e32 v147, 7, v147
	v_lshl_add_u32 v146, v146, 23, 0x3b800000
	s_delay_alu instid0(VALU_DEP_2) | instskip(NEXT) | instid1(VALU_DEP_1)
	v_dual_cndmask_b32 v97, v97, v147 :: v_dual_and_b32 v144, 0x80000000, v144
	v_lshlrev_b32_e32 v97, 20, v97
	s_delay_alu instid0(VALU_DEP_1)
	v_or3_b32 v97, v144, v146, v97
.LBB4_5160:                             ;   in Loop: Header=BB4_4934 Depth=2
	s_or_b32 exec_lo, exec_lo, s23
	s_delay_alu instid0(VALU_DEP_1) | instskip(NEXT) | instid1(VALU_DEP_1)
	v_add_f32_e32 v144, v145, v97
	v_and_b32_e32 v97, 0x7f800000, v144
	s_delay_alu instid0(VALU_DEP_1)
	v_cmp_ne_u32_e32 vcc_lo, 0x7f800000, v97
	v_mov_b32_e32 v97, 0x80
	s_and_saveexec_b32 s23, vcc_lo
	s_cbranch_execz .LBB4_5168
; %bb.5161:                             ;   in Loop: Header=BB4_4934 Depth=2
	v_mov_b32_e32 v97, 0
	s_mov_b32 s24, exec_lo
	v_cmpx_ne_u32_e32 0, v144
	s_cbranch_execz .LBB4_5167
; %bb.5162:                             ;   in Loop: Header=BB4_4934 Depth=2
	v_bfe_u32 v97, v144, 23, 8
	s_delay_alu instid0(VALU_DEP_1) | instskip(SKIP_1) | instid1(VALU_DEP_2)
	v_sub_nc_u32_e32 v146, 0x78, v97
	v_cmp_gt_u32_e32 vcc_lo, 0x79, v97
	v_dual_cndmask_b32 v146, 0, v146 :: v_dual_and_b32 v145, 0x7fffff, v144
	s_delay_alu instid0(VALU_DEP_1) | instskip(SKIP_2) | instid1(VALU_DEP_4)
	v_or_b32_e32 v147, 0x800000, v145
	v_cmp_eq_u32_e32 vcc_lo, 0, v97
	v_add_nc_u32_e32 v97, 0xffffff89, v97
	v_cndmask_b32_e64 v146, v146, 0x77, vcc_lo
	s_delay_alu instid0(VALU_DEP_4) | instskip(NEXT) | instid1(VALU_DEP_3)
	v_cndmask_b32_e32 v145, v147, v145, vcc_lo
	v_cndmask_b32_e64 v97, v97, 0xffffff8a, vcc_lo
	s_delay_alu instid0(VALU_DEP_3) | instskip(NEXT) | instid1(VALU_DEP_3)
	v_lshl_add_u32 v147, 0x100000, v146, -1
	v_lshrrev_b32_e32 v148, v146, v145
	v_lshlrev_b32_e64 v150, v146, 0x80000
	s_delay_alu instid0(VALU_DEP_4) | instskip(NEXT) | instid1(VALU_DEP_4)
	v_add_nc_u32_e32 v146, v146, v97
	v_and_b32_e32 v145, v147, v145
	s_delay_alu instid0(VALU_DEP_4) | instskip(NEXT) | instid1(VALU_DEP_2)
	v_bfe_u32 v149, v148, 20, 1
	v_cmp_eq_u32_e64 s7, v145, v150
	s_delay_alu instid0(VALU_DEP_2) | instskip(NEXT) | instid1(VALU_DEP_1)
	v_add_nc_u32_e32 v147, -1, v149
	v_cndmask_b32_e64 v145, 0, v147, s7
	v_lshrrev_b32_e32 v147, 23, v148
	s_mov_b32 s7, exec_lo
	s_delay_alu instid0(VALU_DEP_2) | instskip(NEXT) | instid1(VALU_DEP_2)
	v_add_nc_u32_e32 v145, v145, v148
	v_xor_b32_e32 v147, 1, v147
	s_delay_alu instid0(VALU_DEP_2) | instskip(NEXT) | instid1(VALU_DEP_1)
	v_and_b32_e32 v97, 0xfffff, v145
	v_add_nc_u32_e32 v145, v97, v148
                                        ; implicit-def: $vgpr97
	s_delay_alu instid0(VALU_DEP_3)
	v_cmpx_ne_u32_e64 v146, v147
	s_xor_b32 s7, exec_lo, s7
; %bb.5163:                             ;   in Loop: Header=BB4_4934 Depth=2
	s_delay_alu instid0(VALU_DEP_2) | instskip(SKIP_2) | instid1(VALU_DEP_2)
	v_cmp_lt_u32_e32 vcc_lo, 0xffffff, v145
	v_sub_nc_u32_e32 v97, v146, v147
	v_cndmask_b32_e64 v146, 0, 1, vcc_lo
	v_add_co_ci_u32_e32 v97, vcc_lo, 0, v97, vcc_lo
	s_delay_alu instid0(VALU_DEP_2)
	v_lshrrev_b32_e32 v145, v146, v145
; %bb.5164:                             ;   in Loop: Header=BB4_4934 Depth=2
	s_and_not1_saveexec_b32 s7, s7
; %bb.5165:                             ;   in Loop: Header=BB4_4934 Depth=2
	s_delay_alu instid0(VALU_DEP_1)
	v_bfe_u32 v97, v145, 23, 1
; %bb.5166:                             ;   in Loop: Header=BB4_4934 Depth=2
	s_or_b32 exec_lo, exec_lo, s7
	v_lshrrev_b32_e32 v145, 20, v145
	s_delay_alu instid0(VALU_DEP_2) | instskip(SKIP_2) | instid1(VALU_DEP_2)
	v_cmp_gt_i32_e32 vcc_lo, 16, v97
	v_lshrrev_b32_e32 v144, 24, v144
	v_min_i32_e32 v146, 15, v97
	v_dual_cndmask_b32 v145, 7, v145 :: v_dual_and_b32 v144, 0x80, v144
	s_delay_alu instid0(VALU_DEP_1) | instskip(SKIP_1) | instid1(VALU_DEP_2)
	v_or_b32_e32 v97, v97, v145
	v_and_b32_e32 v147, 7, v145
	v_cmp_ne_u32_e32 vcc_lo, 0, v97
	v_lshlrev_b32_e32 v146, 3, v146
	s_delay_alu instid0(VALU_DEP_1) | instskip(NEXT) | instid1(VALU_DEP_1)
	v_or3_b32 v144, v146, v144, v147
	v_cndmask_b32_e32 v97, 0, v144, vcc_lo
.LBB4_5167:                             ;   in Loop: Header=BB4_4934 Depth=2
	s_or_b32 exec_lo, exec_lo, s24
.LBB4_5168:                             ;   in Loop: Header=BB4_4934 Depth=2
	s_delay_alu instid0(SALU_CYCLE_1) | instskip(SKIP_3) | instid1(VALU_DEP_1)
	s_or_b32 exec_lo, exec_lo, s23
	v_and_b32_e32 v145, 0xff, v103
	s_mov_b32 s7, 0
	s_mov_b32 s24, exec_lo
                                        ; implicit-def: $sgpr23
	v_cmpx_lt_i16_e64 0x7f, v145
	s_xor_b32 s24, exec_lo, s24
	s_cbranch_execnz .LBB4_5473
; %bb.5169:                             ;   in Loop: Header=BB4_4934 Depth=2
	s_or_saveexec_b32 s24, s24
	v_mov_b32_e32 v144, s23
	s_xor_b32 exec_lo, exec_lo, s24
	s_cbranch_execnz .LBB4_5476
.LBB4_5170:                             ;   in Loop: Header=BB4_4934 Depth=2
	s_or_b32 exec_lo, exec_lo, s24
	s_and_saveexec_b32 s23, s7
	s_cbranch_execz .LBB4_5172
.LBB4_5171:                             ;   in Loop: Header=BB4_4934 Depth=2
	v_lshrrev_b16 v147, 3, v103
	s_delay_alu instid0(VALU_DEP_1) | instskip(NEXT) | instid1(VALU_DEP_1)
	v_and_b32_e32 v147, 15, v147
	v_cmp_eq_u32_e32 vcc_lo, 0, v147
	v_and_b32_e32 v144, 7, v103
	s_delay_alu instid0(VALU_DEP_1) | instskip(NEXT) | instid1(VALU_DEP_1)
	v_clz_i32_u32_e32 v145, v144
	v_min_u32_e32 v145, 32, v145
	s_delay_alu instid0(VALU_DEP_1) | instskip(SKIP_1) | instid1(VALU_DEP_1)
	v_subrev_nc_u32_e32 v146, 28, v145
	v_sub_nc_u32_e32 v145, 29, v145
	v_dual_cndmask_b32 v145, v147, v145 :: v_dual_lshlrev_b32 v146, v146, v103
	v_lshlrev_b32_e32 v103, 24, v103
	s_delay_alu instid0(VALU_DEP_2) | instskip(NEXT) | instid1(VALU_DEP_3)
	v_and_b32_e32 v146, 7, v146
	v_lshl_add_u32 v145, v145, 23, 0x3b800000
	s_delay_alu instid0(VALU_DEP_2) | instskip(NEXT) | instid1(VALU_DEP_1)
	v_dual_cndmask_b32 v144, v144, v146 :: v_dual_and_b32 v103, 0x80000000, v103
	v_lshlrev_b32_e32 v144, 20, v144
	s_delay_alu instid0(VALU_DEP_1)
	v_or3_b32 v144, v103, v145, v144
.LBB4_5172:                             ;   in Loop: Header=BB4_4934 Depth=2
	s_or_b32 exec_lo, exec_lo, s23
	s_waitcnt vmcnt(13) lgkmcnt(13)
	v_and_b32_e32 v145, 0xff, v135
	s_mov_b32 s7, 0
	s_mov_b32 s24, exec_lo
                                        ; implicit-def: $sgpr23
	s_delay_alu instid0(VALU_DEP_1)
	v_cmpx_lt_i16_e64 0x7f, v145
	s_xor_b32 s24, exec_lo, s24
	s_cbranch_execnz .LBB4_5477
; %bb.5173:                             ;   in Loop: Header=BB4_4934 Depth=2
	s_or_saveexec_b32 s24, s24
	v_mov_b32_e32 v103, s23
	s_xor_b32 exec_lo, exec_lo, s24
	s_cbranch_execnz .LBB4_5480
.LBB4_5174:                             ;   in Loop: Header=BB4_4934 Depth=2
	s_or_b32 exec_lo, exec_lo, s24
	s_and_saveexec_b32 s23, s7
	s_cbranch_execz .LBB4_5176
.LBB4_5175:                             ;   in Loop: Header=BB4_4934 Depth=2
	v_and_b32_e32 v103, 7, v135
	v_lshrrev_b16 v147, 3, v135
	s_delay_alu instid0(VALU_DEP_2) | instskip(NEXT) | instid1(VALU_DEP_2)
	v_clz_i32_u32_e32 v145, v103
	v_and_b32_e32 v147, 15, v147
	s_delay_alu instid0(VALU_DEP_2) | instskip(NEXT) | instid1(VALU_DEP_2)
	v_min_u32_e32 v145, 32, v145
	v_cmp_eq_u32_e32 vcc_lo, 0, v147
	s_delay_alu instid0(VALU_DEP_2) | instskip(SKIP_1) | instid1(VALU_DEP_1)
	v_subrev_nc_u32_e32 v146, 28, v145
	v_sub_nc_u32_e32 v145, 29, v145
	v_dual_cndmask_b32 v145, v147, v145 :: v_dual_lshlrev_b32 v146, v146, v135
	v_lshlrev_b32_e32 v135, 24, v135
	s_delay_alu instid0(VALU_DEP_2) | instskip(NEXT) | instid1(VALU_DEP_3)
	v_and_b32_e32 v146, 7, v146
	v_lshl_add_u32 v145, v145, 23, 0x3b800000
	s_delay_alu instid0(VALU_DEP_3) | instskip(NEXT) | instid1(VALU_DEP_3)
	v_and_b32_e32 v135, 0x80000000, v135
	v_cndmask_b32_e32 v103, v103, v146, vcc_lo
	s_delay_alu instid0(VALU_DEP_1) | instskip(NEXT) | instid1(VALU_DEP_1)
	v_lshlrev_b32_e32 v103, 20, v103
	v_or3_b32 v103, v135, v145, v103
.LBB4_5176:                             ;   in Loop: Header=BB4_4934 Depth=2
	s_or_b32 exec_lo, exec_lo, s23
	s_delay_alu instid0(VALU_DEP_1) | instskip(NEXT) | instid1(VALU_DEP_1)
	v_add_f32_e32 v135, v144, v103
	v_and_b32_e32 v103, 0x7f800000, v135
	s_delay_alu instid0(VALU_DEP_1)
	v_cmp_ne_u32_e32 vcc_lo, 0x7f800000, v103
	v_mov_b32_e32 v103, 0x80
	s_and_saveexec_b32 s23, vcc_lo
	s_cbranch_execz .LBB4_5184
; %bb.5177:                             ;   in Loop: Header=BB4_4934 Depth=2
	v_mov_b32_e32 v103, 0
	s_mov_b32 s24, exec_lo
	v_cmpx_ne_u32_e32 0, v135
	s_cbranch_execz .LBB4_5183
; %bb.5178:                             ;   in Loop: Header=BB4_4934 Depth=2
	v_bfe_u32 v103, v135, 23, 8
	s_delay_alu instid0(VALU_DEP_1) | instskip(SKIP_1) | instid1(VALU_DEP_2)
	v_sub_nc_u32_e32 v145, 0x78, v103
	v_cmp_gt_u32_e32 vcc_lo, 0x79, v103
	v_dual_cndmask_b32 v145, 0, v145 :: v_dual_and_b32 v144, 0x7fffff, v135
	s_delay_alu instid0(VALU_DEP_1) | instskip(SKIP_2) | instid1(VALU_DEP_4)
	v_or_b32_e32 v146, 0x800000, v144
	v_cmp_eq_u32_e32 vcc_lo, 0, v103
	v_add_nc_u32_e32 v103, 0xffffff89, v103
	v_cndmask_b32_e64 v145, v145, 0x77, vcc_lo
	s_delay_alu instid0(VALU_DEP_4) | instskip(NEXT) | instid1(VALU_DEP_3)
	v_cndmask_b32_e32 v144, v146, v144, vcc_lo
	v_cndmask_b32_e64 v103, v103, 0xffffff8a, vcc_lo
	s_delay_alu instid0(VALU_DEP_3) | instskip(NEXT) | instid1(VALU_DEP_3)
	v_lshl_add_u32 v146, 0x100000, v145, -1
	v_lshrrev_b32_e32 v147, v145, v144
	v_lshlrev_b32_e64 v149, v145, 0x80000
	s_delay_alu instid0(VALU_DEP_4) | instskip(NEXT) | instid1(VALU_DEP_4)
	v_add_nc_u32_e32 v145, v145, v103
	v_and_b32_e32 v144, v146, v144
	s_delay_alu instid0(VALU_DEP_4) | instskip(NEXT) | instid1(VALU_DEP_2)
	v_bfe_u32 v148, v147, 20, 1
	v_cmp_eq_u32_e64 s7, v144, v149
	s_delay_alu instid0(VALU_DEP_2) | instskip(NEXT) | instid1(VALU_DEP_1)
	v_add_nc_u32_e32 v146, -1, v148
	v_cndmask_b32_e64 v144, 0, v146, s7
	v_lshrrev_b32_e32 v146, 23, v147
	s_mov_b32 s7, exec_lo
	s_delay_alu instid0(VALU_DEP_2) | instskip(NEXT) | instid1(VALU_DEP_2)
	v_add_nc_u32_e32 v144, v144, v147
	v_xor_b32_e32 v146, 1, v146
	s_delay_alu instid0(VALU_DEP_2) | instskip(NEXT) | instid1(VALU_DEP_1)
	v_and_b32_e32 v103, 0xfffff, v144
	v_add_nc_u32_e32 v144, v103, v147
                                        ; implicit-def: $vgpr103
	s_delay_alu instid0(VALU_DEP_3)
	v_cmpx_ne_u32_e64 v145, v146
	s_xor_b32 s7, exec_lo, s7
; %bb.5179:                             ;   in Loop: Header=BB4_4934 Depth=2
	s_delay_alu instid0(VALU_DEP_2) | instskip(SKIP_2) | instid1(VALU_DEP_2)
	v_cmp_lt_u32_e32 vcc_lo, 0xffffff, v144
	v_sub_nc_u32_e32 v103, v145, v146
	v_cndmask_b32_e64 v145, 0, 1, vcc_lo
	v_add_co_ci_u32_e32 v103, vcc_lo, 0, v103, vcc_lo
	s_delay_alu instid0(VALU_DEP_2)
	v_lshrrev_b32_e32 v144, v145, v144
; %bb.5180:                             ;   in Loop: Header=BB4_4934 Depth=2
	s_and_not1_saveexec_b32 s7, s7
; %bb.5181:                             ;   in Loop: Header=BB4_4934 Depth=2
	s_delay_alu instid0(VALU_DEP_1)
	v_bfe_u32 v103, v144, 23, 1
; %bb.5182:                             ;   in Loop: Header=BB4_4934 Depth=2
	s_or_b32 exec_lo, exec_lo, s7
	v_lshrrev_b32_e32 v144, 20, v144
	s_delay_alu instid0(VALU_DEP_2) | instskip(SKIP_2) | instid1(VALU_DEP_2)
	v_cmp_gt_i32_e32 vcc_lo, 16, v103
	v_lshrrev_b32_e32 v135, 24, v135
	v_min_i32_e32 v145, 15, v103
	v_dual_cndmask_b32 v144, 7, v144 :: v_dual_and_b32 v135, 0x80, v135
	s_delay_alu instid0(VALU_DEP_2) | instskip(NEXT) | instid1(VALU_DEP_2)
	v_lshlrev_b32_e32 v145, 3, v145
	v_or_b32_e32 v103, v103, v144
	s_delay_alu instid0(VALU_DEP_1) | instskip(SKIP_1) | instid1(VALU_DEP_1)
	v_cmp_ne_u32_e32 vcc_lo, 0, v103
	v_and_b32_e32 v146, 7, v144
	v_or3_b32 v135, v145, v135, v146
	s_delay_alu instid0(VALU_DEP_1)
	v_cndmask_b32_e32 v103, 0, v135, vcc_lo
.LBB4_5183:                             ;   in Loop: Header=BB4_4934 Depth=2
	s_or_b32 exec_lo, exec_lo, s24
.LBB4_5184:                             ;   in Loop: Header=BB4_4934 Depth=2
	s_delay_alu instid0(SALU_CYCLE_1) | instskip(SKIP_3) | instid1(VALU_DEP_1)
	s_or_b32 exec_lo, exec_lo, s23
	v_and_b32_e32 v144, 0xff, v116
	s_mov_b32 s7, 0
	s_mov_b32 s24, exec_lo
                                        ; implicit-def: $sgpr23
	v_cmpx_lt_i16_e64 0x7f, v144
	s_xor_b32 s24, exec_lo, s24
	s_cbranch_execnz .LBB4_5481
; %bb.5185:                             ;   in Loop: Header=BB4_4934 Depth=2
	s_or_saveexec_b32 s24, s24
	v_mov_b32_e32 v135, s23
	s_xor_b32 exec_lo, exec_lo, s24
	s_cbranch_execnz .LBB4_5484
.LBB4_5186:                             ;   in Loop: Header=BB4_4934 Depth=2
	s_or_b32 exec_lo, exec_lo, s24
	s_and_saveexec_b32 s23, s7
	s_cbranch_execz .LBB4_5188
.LBB4_5187:                             ;   in Loop: Header=BB4_4934 Depth=2
	v_and_b32_e32 v135, 7, v116
	v_lshrrev_b16 v146, 3, v116
	s_delay_alu instid0(VALU_DEP_2) | instskip(NEXT) | instid1(VALU_DEP_1)
	v_clz_i32_u32_e32 v144, v135
	v_min_u32_e32 v144, 32, v144
	s_delay_alu instid0(VALU_DEP_1) | instskip(SKIP_1) | instid1(VALU_DEP_2)
	v_subrev_nc_u32_e32 v145, 28, v144
	v_sub_nc_u32_e32 v144, 29, v144
	v_lshlrev_b32_e32 v145, v145, v116
	v_lshlrev_b32_e32 v116, 24, v116
	s_delay_alu instid0(VALU_DEP_2) | instskip(SKIP_1) | instid1(VALU_DEP_3)
	v_and_b32_e32 v145, 7, v145
	v_and_b32_e32 v146, 15, v146
	;; [unrolled: 1-line block ×3, first 2 shown]
	s_delay_alu instid0(VALU_DEP_2) | instskip(NEXT) | instid1(VALU_DEP_4)
	v_cmp_eq_u32_e32 vcc_lo, 0, v146
	v_dual_cndmask_b32 v135, v135, v145 :: v_dual_cndmask_b32 v144, v146, v144
	s_delay_alu instid0(VALU_DEP_1) | instskip(NEXT) | instid1(VALU_DEP_2)
	v_lshlrev_b32_e32 v135, 20, v135
	v_lshl_add_u32 v144, v144, 23, 0x3b800000
	s_delay_alu instid0(VALU_DEP_1)
	v_or3_b32 v135, v116, v144, v135
.LBB4_5188:                             ;   in Loop: Header=BB4_4934 Depth=2
	s_or_b32 exec_lo, exec_lo, s23
	s_waitcnt vmcnt(12) lgkmcnt(12)
	v_and_b32_e32 v144, 0xff, v134
	s_mov_b32 s7, 0
	s_mov_b32 s24, exec_lo
                                        ; implicit-def: $sgpr23
	s_delay_alu instid0(VALU_DEP_1)
	v_cmpx_lt_i16_e64 0x7f, v144
	s_xor_b32 s24, exec_lo, s24
	s_cbranch_execnz .LBB4_5485
; %bb.5189:                             ;   in Loop: Header=BB4_4934 Depth=2
	s_or_saveexec_b32 s24, s24
	v_mov_b32_e32 v116, s23
	s_xor_b32 exec_lo, exec_lo, s24
	s_cbranch_execnz .LBB4_5488
.LBB4_5190:                             ;   in Loop: Header=BB4_4934 Depth=2
	s_or_b32 exec_lo, exec_lo, s24
	s_and_saveexec_b32 s23, s7
	s_cbranch_execz .LBB4_5192
.LBB4_5191:                             ;   in Loop: Header=BB4_4934 Depth=2
	v_and_b32_e32 v116, 7, v134
	v_lshrrev_b16 v146, 3, v134
	s_delay_alu instid0(VALU_DEP_2) | instskip(NEXT) | instid1(VALU_DEP_2)
	v_clz_i32_u32_e32 v144, v116
	v_and_b32_e32 v146, 15, v146
	s_delay_alu instid0(VALU_DEP_2) | instskip(NEXT) | instid1(VALU_DEP_2)
	v_min_u32_e32 v144, 32, v144
	v_cmp_eq_u32_e32 vcc_lo, 0, v146
	s_delay_alu instid0(VALU_DEP_2) | instskip(SKIP_1) | instid1(VALU_DEP_1)
	v_subrev_nc_u32_e32 v145, 28, v144
	v_sub_nc_u32_e32 v144, 29, v144
	v_dual_cndmask_b32 v144, v146, v144 :: v_dual_lshlrev_b32 v145, v145, v134
	v_lshlrev_b32_e32 v134, 24, v134
	s_delay_alu instid0(VALU_DEP_2) | instskip(NEXT) | instid1(VALU_DEP_3)
	v_and_b32_e32 v145, 7, v145
	v_lshl_add_u32 v144, v144, 23, 0x3b800000
	s_delay_alu instid0(VALU_DEP_3) | instskip(NEXT) | instid1(VALU_DEP_3)
	v_and_b32_e32 v134, 0x80000000, v134
	v_cndmask_b32_e32 v116, v116, v145, vcc_lo
	s_delay_alu instid0(VALU_DEP_1) | instskip(NEXT) | instid1(VALU_DEP_1)
	v_lshlrev_b32_e32 v116, 20, v116
	v_or3_b32 v116, v134, v144, v116
.LBB4_5192:                             ;   in Loop: Header=BB4_4934 Depth=2
	s_or_b32 exec_lo, exec_lo, s23
	s_delay_alu instid0(VALU_DEP_1) | instskip(NEXT) | instid1(VALU_DEP_1)
	v_add_f32_e32 v134, v135, v116
	v_and_b32_e32 v116, 0x7f800000, v134
	s_delay_alu instid0(VALU_DEP_1)
	v_cmp_ne_u32_e32 vcc_lo, 0x7f800000, v116
	v_mov_b32_e32 v116, 0x80
	s_and_saveexec_b32 s23, vcc_lo
	s_cbranch_execz .LBB4_5200
; %bb.5193:                             ;   in Loop: Header=BB4_4934 Depth=2
	v_mov_b32_e32 v116, 0
	s_mov_b32 s24, exec_lo
	v_cmpx_ne_u32_e32 0, v134
	s_cbranch_execz .LBB4_5199
; %bb.5194:                             ;   in Loop: Header=BB4_4934 Depth=2
	v_bfe_u32 v116, v134, 23, 8
	s_delay_alu instid0(VALU_DEP_1) | instskip(SKIP_1) | instid1(VALU_DEP_2)
	v_sub_nc_u32_e32 v144, 0x78, v116
	v_cmp_gt_u32_e32 vcc_lo, 0x79, v116
	v_dual_cndmask_b32 v144, 0, v144 :: v_dual_and_b32 v135, 0x7fffff, v134
	s_delay_alu instid0(VALU_DEP_1) | instskip(SKIP_2) | instid1(VALU_DEP_4)
	v_or_b32_e32 v145, 0x800000, v135
	v_cmp_eq_u32_e32 vcc_lo, 0, v116
	v_add_nc_u32_e32 v116, 0xffffff89, v116
	v_cndmask_b32_e64 v144, v144, 0x77, vcc_lo
	s_delay_alu instid0(VALU_DEP_4) | instskip(NEXT) | instid1(VALU_DEP_3)
	v_cndmask_b32_e32 v135, v145, v135, vcc_lo
	v_cndmask_b32_e64 v116, v116, 0xffffff8a, vcc_lo
	s_delay_alu instid0(VALU_DEP_3) | instskip(NEXT) | instid1(VALU_DEP_3)
	v_lshl_add_u32 v145, 0x100000, v144, -1
	v_lshrrev_b32_e32 v146, v144, v135
	v_lshlrev_b32_e64 v148, v144, 0x80000
	s_delay_alu instid0(VALU_DEP_4) | instskip(NEXT) | instid1(VALU_DEP_4)
	v_add_nc_u32_e32 v144, v144, v116
	v_and_b32_e32 v135, v145, v135
	s_delay_alu instid0(VALU_DEP_4) | instskip(NEXT) | instid1(VALU_DEP_2)
	v_bfe_u32 v147, v146, 20, 1
	v_cmp_eq_u32_e64 s7, v135, v148
	s_delay_alu instid0(VALU_DEP_2) | instskip(NEXT) | instid1(VALU_DEP_1)
	v_add_nc_u32_e32 v145, -1, v147
	v_cndmask_b32_e64 v135, 0, v145, s7
	v_lshrrev_b32_e32 v145, 23, v146
	s_mov_b32 s7, exec_lo
	s_delay_alu instid0(VALU_DEP_2) | instskip(NEXT) | instid1(VALU_DEP_2)
	v_add_nc_u32_e32 v135, v135, v146
	v_xor_b32_e32 v145, 1, v145
	s_delay_alu instid0(VALU_DEP_2) | instskip(NEXT) | instid1(VALU_DEP_1)
	v_and_b32_e32 v116, 0xfffff, v135
	v_add_nc_u32_e32 v135, v116, v146
                                        ; implicit-def: $vgpr116
	s_delay_alu instid0(VALU_DEP_3)
	v_cmpx_ne_u32_e64 v144, v145
	s_xor_b32 s7, exec_lo, s7
; %bb.5195:                             ;   in Loop: Header=BB4_4934 Depth=2
	s_delay_alu instid0(VALU_DEP_2) | instskip(SKIP_2) | instid1(VALU_DEP_2)
	v_cmp_lt_u32_e32 vcc_lo, 0xffffff, v135
	v_sub_nc_u32_e32 v116, v144, v145
	v_cndmask_b32_e64 v144, 0, 1, vcc_lo
	v_add_co_ci_u32_e32 v116, vcc_lo, 0, v116, vcc_lo
	s_delay_alu instid0(VALU_DEP_2)
	v_lshrrev_b32_e32 v135, v144, v135
; %bb.5196:                             ;   in Loop: Header=BB4_4934 Depth=2
	s_and_not1_saveexec_b32 s7, s7
; %bb.5197:                             ;   in Loop: Header=BB4_4934 Depth=2
	s_delay_alu instid0(VALU_DEP_1)
	v_bfe_u32 v116, v135, 23, 1
; %bb.5198:                             ;   in Loop: Header=BB4_4934 Depth=2
	s_or_b32 exec_lo, exec_lo, s7
	v_lshrrev_b32_e32 v135, 20, v135
	s_delay_alu instid0(VALU_DEP_2) | instskip(SKIP_2) | instid1(VALU_DEP_2)
	v_cmp_gt_i32_e32 vcc_lo, 16, v116
	v_lshrrev_b32_e32 v134, 24, v134
	v_min_i32_e32 v144, 15, v116
	v_dual_cndmask_b32 v135, 7, v135 :: v_dual_and_b32 v134, 0x80, v134
	s_delay_alu instid0(VALU_DEP_2) | instskip(NEXT) | instid1(VALU_DEP_2)
	v_lshlrev_b32_e32 v144, 3, v144
	v_or_b32_e32 v116, v116, v135
	s_delay_alu instid0(VALU_DEP_1) | instskip(SKIP_1) | instid1(VALU_DEP_1)
	v_cmp_ne_u32_e32 vcc_lo, 0, v116
	v_and_b32_e32 v145, 7, v135
	v_or3_b32 v134, v144, v134, v145
	s_delay_alu instid0(VALU_DEP_1)
	v_cndmask_b32_e32 v116, 0, v134, vcc_lo
.LBB4_5199:                             ;   in Loop: Header=BB4_4934 Depth=2
	s_or_b32 exec_lo, exec_lo, s24
.LBB4_5200:                             ;   in Loop: Header=BB4_4934 Depth=2
	s_delay_alu instid0(SALU_CYCLE_1) | instskip(SKIP_3) | instid1(VALU_DEP_1)
	s_or_b32 exec_lo, exec_lo, s23
	v_and_b32_e32 v135, 0xff, v117
	s_mov_b32 s7, 0
	s_mov_b32 s24, exec_lo
                                        ; implicit-def: $sgpr23
	v_cmpx_lt_i16_e64 0x7f, v135
	s_xor_b32 s24, exec_lo, s24
	s_cbranch_execnz .LBB4_5489
; %bb.5201:                             ;   in Loop: Header=BB4_4934 Depth=2
	s_or_saveexec_b32 s24, s24
	v_mov_b32_e32 v134, s23
	s_xor_b32 exec_lo, exec_lo, s24
	s_cbranch_execnz .LBB4_5492
.LBB4_5202:                             ;   in Loop: Header=BB4_4934 Depth=2
	s_or_b32 exec_lo, exec_lo, s24
	s_and_saveexec_b32 s23, s7
	s_cbranch_execz .LBB4_5204
.LBB4_5203:                             ;   in Loop: Header=BB4_4934 Depth=2
	v_lshrrev_b16 v145, 3, v117
	s_delay_alu instid0(VALU_DEP_1) | instskip(NEXT) | instid1(VALU_DEP_1)
	v_and_b32_e32 v145, 15, v145
	v_cmp_eq_u32_e32 vcc_lo, 0, v145
	v_and_b32_e32 v134, 7, v117
	s_delay_alu instid0(VALU_DEP_1) | instskip(NEXT) | instid1(VALU_DEP_1)
	v_clz_i32_u32_e32 v135, v134
	v_min_u32_e32 v135, 32, v135
	s_delay_alu instid0(VALU_DEP_1) | instskip(SKIP_1) | instid1(VALU_DEP_1)
	v_subrev_nc_u32_e32 v144, 28, v135
	v_sub_nc_u32_e32 v135, 29, v135
	v_dual_cndmask_b32 v135, v145, v135 :: v_dual_lshlrev_b32 v144, v144, v117
	v_lshlrev_b32_e32 v117, 24, v117
	s_delay_alu instid0(VALU_DEP_2) | instskip(NEXT) | instid1(VALU_DEP_3)
	v_and_b32_e32 v144, 7, v144
	v_lshl_add_u32 v135, v135, 23, 0x3b800000
	s_delay_alu instid0(VALU_DEP_2) | instskip(NEXT) | instid1(VALU_DEP_1)
	v_dual_cndmask_b32 v134, v134, v144 :: v_dual_and_b32 v117, 0x80000000, v117
	v_lshlrev_b32_e32 v134, 20, v134
	s_delay_alu instid0(VALU_DEP_1)
	v_or3_b32 v134, v117, v135, v134
.LBB4_5204:                             ;   in Loop: Header=BB4_4934 Depth=2
	s_or_b32 exec_lo, exec_lo, s23
	s_waitcnt vmcnt(11) lgkmcnt(11)
	v_and_b32_e32 v135, 0xff, v133
	s_mov_b32 s7, 0
	s_mov_b32 s24, exec_lo
                                        ; implicit-def: $sgpr23
	s_delay_alu instid0(VALU_DEP_1)
	v_cmpx_lt_i16_e64 0x7f, v135
	s_xor_b32 s24, exec_lo, s24
	s_cbranch_execnz .LBB4_5493
; %bb.5205:                             ;   in Loop: Header=BB4_4934 Depth=2
	s_or_saveexec_b32 s24, s24
	v_mov_b32_e32 v117, s23
	s_xor_b32 exec_lo, exec_lo, s24
	s_cbranch_execnz .LBB4_5496
.LBB4_5206:                             ;   in Loop: Header=BB4_4934 Depth=2
	s_or_b32 exec_lo, exec_lo, s24
	s_and_saveexec_b32 s23, s7
	s_cbranch_execz .LBB4_5208
.LBB4_5207:                             ;   in Loop: Header=BB4_4934 Depth=2
	v_and_b32_e32 v117, 7, v133
	v_lshrrev_b16 v145, 3, v133
	s_delay_alu instid0(VALU_DEP_2) | instskip(NEXT) | instid1(VALU_DEP_2)
	v_clz_i32_u32_e32 v135, v117
	v_and_b32_e32 v145, 15, v145
	s_delay_alu instid0(VALU_DEP_2) | instskip(NEXT) | instid1(VALU_DEP_2)
	v_min_u32_e32 v135, 32, v135
	v_cmp_eq_u32_e32 vcc_lo, 0, v145
	s_delay_alu instid0(VALU_DEP_2) | instskip(SKIP_1) | instid1(VALU_DEP_1)
	v_subrev_nc_u32_e32 v144, 28, v135
	v_sub_nc_u32_e32 v135, 29, v135
	v_dual_cndmask_b32 v135, v145, v135 :: v_dual_lshlrev_b32 v144, v144, v133
	v_lshlrev_b32_e32 v133, 24, v133
	s_delay_alu instid0(VALU_DEP_2) | instskip(NEXT) | instid1(VALU_DEP_3)
	v_and_b32_e32 v144, 7, v144
	v_lshl_add_u32 v135, v135, 23, 0x3b800000
	s_delay_alu instid0(VALU_DEP_3) | instskip(NEXT) | instid1(VALU_DEP_3)
	v_and_b32_e32 v133, 0x80000000, v133
	v_cndmask_b32_e32 v117, v117, v144, vcc_lo
	s_delay_alu instid0(VALU_DEP_1) | instskip(NEXT) | instid1(VALU_DEP_1)
	v_lshlrev_b32_e32 v117, 20, v117
	v_or3_b32 v117, v133, v135, v117
.LBB4_5208:                             ;   in Loop: Header=BB4_4934 Depth=2
	s_or_b32 exec_lo, exec_lo, s23
	s_delay_alu instid0(VALU_DEP_1) | instskip(NEXT) | instid1(VALU_DEP_1)
	v_add_f32_e32 v133, v134, v117
	v_and_b32_e32 v117, 0x7f800000, v133
	s_delay_alu instid0(VALU_DEP_1)
	v_cmp_ne_u32_e32 vcc_lo, 0x7f800000, v117
	v_mov_b32_e32 v117, 0x80
	s_and_saveexec_b32 s23, vcc_lo
	s_cbranch_execz .LBB4_5216
; %bb.5209:                             ;   in Loop: Header=BB4_4934 Depth=2
	v_mov_b32_e32 v117, 0
	s_mov_b32 s24, exec_lo
	v_cmpx_ne_u32_e32 0, v133
	s_cbranch_execz .LBB4_5215
; %bb.5210:                             ;   in Loop: Header=BB4_4934 Depth=2
	v_bfe_u32 v117, v133, 23, 8
	s_delay_alu instid0(VALU_DEP_1) | instskip(SKIP_1) | instid1(VALU_DEP_2)
	v_sub_nc_u32_e32 v135, 0x78, v117
	v_cmp_gt_u32_e32 vcc_lo, 0x79, v117
	v_dual_cndmask_b32 v135, 0, v135 :: v_dual_and_b32 v134, 0x7fffff, v133
	s_delay_alu instid0(VALU_DEP_1) | instskip(SKIP_2) | instid1(VALU_DEP_4)
	v_or_b32_e32 v144, 0x800000, v134
	v_cmp_eq_u32_e32 vcc_lo, 0, v117
	v_add_nc_u32_e32 v117, 0xffffff89, v117
	v_cndmask_b32_e64 v135, v135, 0x77, vcc_lo
	s_delay_alu instid0(VALU_DEP_4) | instskip(NEXT) | instid1(VALU_DEP_3)
	v_cndmask_b32_e32 v134, v144, v134, vcc_lo
	v_cndmask_b32_e64 v117, v117, 0xffffff8a, vcc_lo
	s_delay_alu instid0(VALU_DEP_3) | instskip(NEXT) | instid1(VALU_DEP_3)
	v_lshl_add_u32 v144, 0x100000, v135, -1
	v_lshrrev_b32_e32 v145, v135, v134
	v_lshlrev_b32_e64 v147, v135, 0x80000
	s_delay_alu instid0(VALU_DEP_4) | instskip(NEXT) | instid1(VALU_DEP_4)
	v_add_nc_u32_e32 v135, v135, v117
	v_and_b32_e32 v134, v144, v134
	s_delay_alu instid0(VALU_DEP_4) | instskip(NEXT) | instid1(VALU_DEP_2)
	v_bfe_u32 v146, v145, 20, 1
	v_cmp_eq_u32_e64 s7, v134, v147
	s_delay_alu instid0(VALU_DEP_2) | instskip(NEXT) | instid1(VALU_DEP_1)
	v_add_nc_u32_e32 v144, -1, v146
	v_cndmask_b32_e64 v134, 0, v144, s7
	v_lshrrev_b32_e32 v144, 23, v145
	s_mov_b32 s7, exec_lo
	s_delay_alu instid0(VALU_DEP_2) | instskip(NEXT) | instid1(VALU_DEP_2)
	v_add_nc_u32_e32 v134, v134, v145
	v_xor_b32_e32 v144, 1, v144
	s_delay_alu instid0(VALU_DEP_2) | instskip(NEXT) | instid1(VALU_DEP_1)
	v_and_b32_e32 v117, 0xfffff, v134
	v_add_nc_u32_e32 v134, v117, v145
                                        ; implicit-def: $vgpr117
	s_delay_alu instid0(VALU_DEP_3)
	v_cmpx_ne_u32_e64 v135, v144
	s_xor_b32 s7, exec_lo, s7
; %bb.5211:                             ;   in Loop: Header=BB4_4934 Depth=2
	s_delay_alu instid0(VALU_DEP_2) | instskip(SKIP_2) | instid1(VALU_DEP_2)
	v_cmp_lt_u32_e32 vcc_lo, 0xffffff, v134
	v_sub_nc_u32_e32 v117, v135, v144
	v_cndmask_b32_e64 v135, 0, 1, vcc_lo
	v_add_co_ci_u32_e32 v117, vcc_lo, 0, v117, vcc_lo
	s_delay_alu instid0(VALU_DEP_2)
	v_lshrrev_b32_e32 v134, v135, v134
; %bb.5212:                             ;   in Loop: Header=BB4_4934 Depth=2
	s_and_not1_saveexec_b32 s7, s7
; %bb.5213:                             ;   in Loop: Header=BB4_4934 Depth=2
	s_delay_alu instid0(VALU_DEP_1)
	v_bfe_u32 v117, v134, 23, 1
; %bb.5214:                             ;   in Loop: Header=BB4_4934 Depth=2
	s_or_b32 exec_lo, exec_lo, s7
	v_lshrrev_b32_e32 v134, 20, v134
	s_delay_alu instid0(VALU_DEP_2) | instskip(SKIP_2) | instid1(VALU_DEP_2)
	v_cmp_gt_i32_e32 vcc_lo, 16, v117
	v_lshrrev_b32_e32 v133, 24, v133
	v_min_i32_e32 v135, 15, v117
	v_dual_cndmask_b32 v134, 7, v134 :: v_dual_and_b32 v133, 0x80, v133
	s_delay_alu instid0(VALU_DEP_2) | instskip(NEXT) | instid1(VALU_DEP_2)
	v_lshlrev_b32_e32 v135, 3, v135
	v_or_b32_e32 v117, v117, v134
	s_delay_alu instid0(VALU_DEP_1) | instskip(SKIP_1) | instid1(VALU_DEP_1)
	v_cmp_ne_u32_e32 vcc_lo, 0, v117
	v_and_b32_e32 v144, 7, v134
	v_or3_b32 v133, v135, v133, v144
	s_delay_alu instid0(VALU_DEP_1)
	v_cndmask_b32_e32 v117, 0, v133, vcc_lo
.LBB4_5215:                             ;   in Loop: Header=BB4_4934 Depth=2
	s_or_b32 exec_lo, exec_lo, s24
.LBB4_5216:                             ;   in Loop: Header=BB4_4934 Depth=2
	s_delay_alu instid0(SALU_CYCLE_1) | instskip(SKIP_3) | instid1(VALU_DEP_1)
	s_or_b32 exec_lo, exec_lo, s23
	v_and_b32_e32 v134, 0xff, v115
	s_mov_b32 s7, 0
	s_mov_b32 s24, exec_lo
                                        ; implicit-def: $sgpr23
	v_cmpx_lt_i16_e64 0x7f, v134
	s_xor_b32 s24, exec_lo, s24
	s_cbranch_execnz .LBB4_5497
; %bb.5217:                             ;   in Loop: Header=BB4_4934 Depth=2
	s_or_saveexec_b32 s24, s24
	v_mov_b32_e32 v133, s23
	s_xor_b32 exec_lo, exec_lo, s24
	s_cbranch_execnz .LBB4_5500
.LBB4_5218:                             ;   in Loop: Header=BB4_4934 Depth=2
	s_or_b32 exec_lo, exec_lo, s24
	s_and_saveexec_b32 s23, s7
	s_cbranch_execz .LBB4_5220
.LBB4_5219:                             ;   in Loop: Header=BB4_4934 Depth=2
	v_lshrrev_b16 v144, 3, v115
	s_delay_alu instid0(VALU_DEP_1) | instskip(NEXT) | instid1(VALU_DEP_1)
	v_and_b32_e32 v144, 15, v144
	v_cmp_eq_u32_e32 vcc_lo, 0, v144
	v_and_b32_e32 v133, 7, v115
	s_delay_alu instid0(VALU_DEP_1) | instskip(NEXT) | instid1(VALU_DEP_1)
	v_clz_i32_u32_e32 v134, v133
	v_min_u32_e32 v134, 32, v134
	s_delay_alu instid0(VALU_DEP_1) | instskip(SKIP_1) | instid1(VALU_DEP_1)
	v_subrev_nc_u32_e32 v135, 28, v134
	v_sub_nc_u32_e32 v134, 29, v134
	v_dual_cndmask_b32 v134, v144, v134 :: v_dual_lshlrev_b32 v135, v135, v115
	v_lshlrev_b32_e32 v115, 24, v115
	s_delay_alu instid0(VALU_DEP_2) | instskip(NEXT) | instid1(VALU_DEP_3)
	v_and_b32_e32 v135, 7, v135
	v_lshl_add_u32 v134, v134, 23, 0x3b800000
	s_delay_alu instid0(VALU_DEP_3) | instskip(NEXT) | instid1(VALU_DEP_3)
	v_and_b32_e32 v115, 0x80000000, v115
	v_cndmask_b32_e32 v133, v133, v135, vcc_lo
	s_delay_alu instid0(VALU_DEP_1) | instskip(NEXT) | instid1(VALU_DEP_1)
	v_lshlrev_b32_e32 v133, 20, v133
	v_or3_b32 v133, v115, v134, v133
.LBB4_5220:                             ;   in Loop: Header=BB4_4934 Depth=2
	s_or_b32 exec_lo, exec_lo, s23
	s_waitcnt vmcnt(10) lgkmcnt(10)
	v_and_b32_e32 v134, 0xff, v132
	s_mov_b32 s7, 0
	s_mov_b32 s24, exec_lo
                                        ; implicit-def: $sgpr23
	s_delay_alu instid0(VALU_DEP_1)
	v_cmpx_lt_i16_e64 0x7f, v134
	s_xor_b32 s24, exec_lo, s24
	s_cbranch_execnz .LBB4_5501
; %bb.5221:                             ;   in Loop: Header=BB4_4934 Depth=2
	s_or_saveexec_b32 s24, s24
	v_mov_b32_e32 v115, s23
	s_xor_b32 exec_lo, exec_lo, s24
	s_cbranch_execnz .LBB4_5504
.LBB4_5222:                             ;   in Loop: Header=BB4_4934 Depth=2
	s_or_b32 exec_lo, exec_lo, s24
	s_and_saveexec_b32 s23, s7
	s_cbranch_execz .LBB4_5224
.LBB4_5223:                             ;   in Loop: Header=BB4_4934 Depth=2
	v_lshrrev_b16 v144, 3, v132
	s_delay_alu instid0(VALU_DEP_1) | instskip(NEXT) | instid1(VALU_DEP_1)
	v_and_b32_e32 v144, 15, v144
	v_cmp_eq_u32_e32 vcc_lo, 0, v144
	v_and_b32_e32 v115, 7, v132
	s_delay_alu instid0(VALU_DEP_1) | instskip(NEXT) | instid1(VALU_DEP_1)
	v_clz_i32_u32_e32 v134, v115
	v_min_u32_e32 v134, 32, v134
	s_delay_alu instid0(VALU_DEP_1) | instskip(SKIP_1) | instid1(VALU_DEP_1)
	v_subrev_nc_u32_e32 v135, 28, v134
	v_sub_nc_u32_e32 v134, 29, v134
	v_dual_cndmask_b32 v134, v144, v134 :: v_dual_lshlrev_b32 v135, v135, v132
	v_lshlrev_b32_e32 v132, 24, v132
	s_delay_alu instid0(VALU_DEP_2) | instskip(NEXT) | instid1(VALU_DEP_3)
	v_and_b32_e32 v135, 7, v135
	v_lshl_add_u32 v134, v134, 23, 0x3b800000
	s_delay_alu instid0(VALU_DEP_2) | instskip(NEXT) | instid1(VALU_DEP_1)
	v_dual_cndmask_b32 v115, v115, v135 :: v_dual_and_b32 v132, 0x80000000, v132
	v_lshlrev_b32_e32 v115, 20, v115
	s_delay_alu instid0(VALU_DEP_1)
	v_or3_b32 v115, v132, v134, v115
.LBB4_5224:                             ;   in Loop: Header=BB4_4934 Depth=2
	s_or_b32 exec_lo, exec_lo, s23
	s_delay_alu instid0(VALU_DEP_1) | instskip(NEXT) | instid1(VALU_DEP_1)
	v_add_f32_e32 v132, v133, v115
	v_and_b32_e32 v115, 0x7f800000, v132
	s_delay_alu instid0(VALU_DEP_1)
	v_cmp_ne_u32_e32 vcc_lo, 0x7f800000, v115
	v_mov_b32_e32 v115, 0x80
	s_and_saveexec_b32 s23, vcc_lo
	s_cbranch_execz .LBB4_5232
; %bb.5225:                             ;   in Loop: Header=BB4_4934 Depth=2
	v_mov_b32_e32 v115, 0
	s_mov_b32 s24, exec_lo
	v_cmpx_ne_u32_e32 0, v132
	s_cbranch_execz .LBB4_5231
; %bb.5226:                             ;   in Loop: Header=BB4_4934 Depth=2
	v_bfe_u32 v115, v132, 23, 8
	s_delay_alu instid0(VALU_DEP_1) | instskip(SKIP_1) | instid1(VALU_DEP_2)
	v_sub_nc_u32_e32 v134, 0x78, v115
	v_cmp_gt_u32_e32 vcc_lo, 0x79, v115
	v_dual_cndmask_b32 v134, 0, v134 :: v_dual_and_b32 v133, 0x7fffff, v132
	s_delay_alu instid0(VALU_DEP_1) | instskip(SKIP_2) | instid1(VALU_DEP_4)
	v_or_b32_e32 v135, 0x800000, v133
	v_cmp_eq_u32_e32 vcc_lo, 0, v115
	v_add_nc_u32_e32 v115, 0xffffff89, v115
	v_cndmask_b32_e64 v134, v134, 0x77, vcc_lo
	s_delay_alu instid0(VALU_DEP_2) | instskip(SKIP_1) | instid1(VALU_DEP_3)
	v_cndmask_b32_e64 v115, v115, 0xffffff8a, vcc_lo
	v_cndmask_b32_e32 v133, v135, v133, vcc_lo
	v_lshl_add_u32 v135, 0x100000, v134, -1
	v_lshlrev_b32_e64 v146, v134, 0x80000
	s_delay_alu instid0(VALU_DEP_3) | instskip(SKIP_1) | instid1(VALU_DEP_4)
	v_lshrrev_b32_e32 v144, v134, v133
	v_add_nc_u32_e32 v134, v134, v115
	v_and_b32_e32 v133, v135, v133
	s_delay_alu instid0(VALU_DEP_3) | instskip(NEXT) | instid1(VALU_DEP_2)
	v_bfe_u32 v145, v144, 20, 1
	v_cmp_eq_u32_e64 s7, v133, v146
	s_delay_alu instid0(VALU_DEP_2) | instskip(NEXT) | instid1(VALU_DEP_1)
	v_add_nc_u32_e32 v135, -1, v145
	v_cndmask_b32_e64 v133, 0, v135, s7
	v_lshrrev_b32_e32 v135, 23, v144
	s_mov_b32 s7, exec_lo
	s_delay_alu instid0(VALU_DEP_2) | instskip(NEXT) | instid1(VALU_DEP_2)
	v_add_nc_u32_e32 v133, v133, v144
	v_xor_b32_e32 v135, 1, v135
	s_delay_alu instid0(VALU_DEP_2) | instskip(NEXT) | instid1(VALU_DEP_1)
	v_and_b32_e32 v115, 0xfffff, v133
	v_add_nc_u32_e32 v133, v115, v144
                                        ; implicit-def: $vgpr115
	s_delay_alu instid0(VALU_DEP_3)
	v_cmpx_ne_u32_e64 v134, v135
	s_xor_b32 s7, exec_lo, s7
; %bb.5227:                             ;   in Loop: Header=BB4_4934 Depth=2
	s_delay_alu instid0(VALU_DEP_2) | instskip(SKIP_2) | instid1(VALU_DEP_2)
	v_cmp_lt_u32_e32 vcc_lo, 0xffffff, v133
	v_sub_nc_u32_e32 v115, v134, v135
	v_cndmask_b32_e64 v134, 0, 1, vcc_lo
	v_add_co_ci_u32_e32 v115, vcc_lo, 0, v115, vcc_lo
	s_delay_alu instid0(VALU_DEP_2)
	v_lshrrev_b32_e32 v133, v134, v133
; %bb.5228:                             ;   in Loop: Header=BB4_4934 Depth=2
	s_and_not1_saveexec_b32 s7, s7
; %bb.5229:                             ;   in Loop: Header=BB4_4934 Depth=2
	s_delay_alu instid0(VALU_DEP_1)
	v_bfe_u32 v115, v133, 23, 1
; %bb.5230:                             ;   in Loop: Header=BB4_4934 Depth=2
	s_or_b32 exec_lo, exec_lo, s7
	v_lshrrev_b32_e32 v133, 20, v133
	s_delay_alu instid0(VALU_DEP_2) | instskip(SKIP_2) | instid1(VALU_DEP_2)
	v_cmp_gt_i32_e32 vcc_lo, 16, v115
	v_lshrrev_b32_e32 v132, 24, v132
	v_min_i32_e32 v134, 15, v115
	v_dual_cndmask_b32 v133, 7, v133 :: v_dual_and_b32 v132, 0x80, v132
	s_delay_alu instid0(VALU_DEP_1) | instskip(SKIP_1) | instid1(VALU_DEP_2)
	v_or_b32_e32 v115, v115, v133
	v_and_b32_e32 v135, 7, v133
	v_cmp_ne_u32_e32 vcc_lo, 0, v115
	v_lshlrev_b32_e32 v134, 3, v134
	s_delay_alu instid0(VALU_DEP_1) | instskip(NEXT) | instid1(VALU_DEP_1)
	v_or3_b32 v132, v134, v132, v135
	v_cndmask_b32_e32 v115, 0, v132, vcc_lo
.LBB4_5231:                             ;   in Loop: Header=BB4_4934 Depth=2
	s_or_b32 exec_lo, exec_lo, s24
.LBB4_5232:                             ;   in Loop: Header=BB4_4934 Depth=2
	s_delay_alu instid0(SALU_CYCLE_1) | instskip(SKIP_3) | instid1(VALU_DEP_1)
	s_or_b32 exec_lo, exec_lo, s23
	v_and_b32_e32 v133, 0xff, v114
	s_mov_b32 s7, 0
	s_mov_b32 s24, exec_lo
                                        ; implicit-def: $sgpr23
	v_cmpx_lt_i16_e64 0x7f, v133
	s_xor_b32 s24, exec_lo, s24
	s_cbranch_execnz .LBB4_5505
; %bb.5233:                             ;   in Loop: Header=BB4_4934 Depth=2
	s_or_saveexec_b32 s24, s24
	v_mov_b32_e32 v132, s23
	s_xor_b32 exec_lo, exec_lo, s24
	s_cbranch_execnz .LBB4_5508
.LBB4_5234:                             ;   in Loop: Header=BB4_4934 Depth=2
	s_or_b32 exec_lo, exec_lo, s24
	s_and_saveexec_b32 s23, s7
	s_cbranch_execz .LBB4_5236
.LBB4_5235:                             ;   in Loop: Header=BB4_4934 Depth=2
	v_lshrrev_b16 v135, 3, v114
	s_delay_alu instid0(VALU_DEP_1) | instskip(NEXT) | instid1(VALU_DEP_1)
	v_and_b32_e32 v135, 15, v135
	v_cmp_eq_u32_e32 vcc_lo, 0, v135
	v_and_b32_e32 v132, 7, v114
	s_delay_alu instid0(VALU_DEP_1) | instskip(NEXT) | instid1(VALU_DEP_1)
	v_clz_i32_u32_e32 v133, v132
	v_min_u32_e32 v133, 32, v133
	s_delay_alu instid0(VALU_DEP_1) | instskip(SKIP_1) | instid1(VALU_DEP_1)
	v_subrev_nc_u32_e32 v134, 28, v133
	v_sub_nc_u32_e32 v133, 29, v133
	v_dual_cndmask_b32 v133, v135, v133 :: v_dual_lshlrev_b32 v134, v134, v114
	v_lshlrev_b32_e32 v114, 24, v114
	s_delay_alu instid0(VALU_DEP_2) | instskip(NEXT) | instid1(VALU_DEP_3)
	v_and_b32_e32 v134, 7, v134
	v_lshl_add_u32 v133, v133, 23, 0x3b800000
	s_delay_alu instid0(VALU_DEP_3) | instskip(NEXT) | instid1(VALU_DEP_3)
	v_and_b32_e32 v114, 0x80000000, v114
	v_cndmask_b32_e32 v132, v132, v134, vcc_lo
	s_delay_alu instid0(VALU_DEP_1) | instskip(NEXT) | instid1(VALU_DEP_1)
	v_lshlrev_b32_e32 v132, 20, v132
	v_or3_b32 v132, v114, v133, v132
.LBB4_5236:                             ;   in Loop: Header=BB4_4934 Depth=2
	s_or_b32 exec_lo, exec_lo, s23
	s_waitcnt vmcnt(9) lgkmcnt(9)
	v_and_b32_e32 v133, 0xff, v131
	s_mov_b32 s7, 0
	s_mov_b32 s24, exec_lo
                                        ; implicit-def: $sgpr23
	s_delay_alu instid0(VALU_DEP_1)
	v_cmpx_lt_i16_e64 0x7f, v133
	s_xor_b32 s24, exec_lo, s24
	s_cbranch_execnz .LBB4_5509
; %bb.5237:                             ;   in Loop: Header=BB4_4934 Depth=2
	s_or_saveexec_b32 s24, s24
	v_mov_b32_e32 v114, s23
	s_xor_b32 exec_lo, exec_lo, s24
	s_cbranch_execnz .LBB4_5512
.LBB4_5238:                             ;   in Loop: Header=BB4_4934 Depth=2
	s_or_b32 exec_lo, exec_lo, s24
	s_and_saveexec_b32 s23, s7
	s_cbranch_execz .LBB4_5240
.LBB4_5239:                             ;   in Loop: Header=BB4_4934 Depth=2
	v_lshrrev_b16 v135, 3, v131
	s_delay_alu instid0(VALU_DEP_1) | instskip(NEXT) | instid1(VALU_DEP_1)
	v_and_b32_e32 v135, 15, v135
	v_cmp_eq_u32_e32 vcc_lo, 0, v135
	v_and_b32_e32 v114, 7, v131
	s_delay_alu instid0(VALU_DEP_1) | instskip(NEXT) | instid1(VALU_DEP_1)
	v_clz_i32_u32_e32 v133, v114
	v_min_u32_e32 v133, 32, v133
	s_delay_alu instid0(VALU_DEP_1) | instskip(SKIP_1) | instid1(VALU_DEP_1)
	v_subrev_nc_u32_e32 v134, 28, v133
	v_sub_nc_u32_e32 v133, 29, v133
	v_dual_cndmask_b32 v133, v135, v133 :: v_dual_lshlrev_b32 v134, v134, v131
	v_lshlrev_b32_e32 v131, 24, v131
	s_delay_alu instid0(VALU_DEP_2) | instskip(NEXT) | instid1(VALU_DEP_3)
	v_and_b32_e32 v134, 7, v134
	v_lshl_add_u32 v133, v133, 23, 0x3b800000
	s_delay_alu instid0(VALU_DEP_2) | instskip(NEXT) | instid1(VALU_DEP_1)
	v_dual_cndmask_b32 v114, v114, v134 :: v_dual_and_b32 v131, 0x80000000, v131
	v_lshlrev_b32_e32 v114, 20, v114
	s_delay_alu instid0(VALU_DEP_1)
	v_or3_b32 v114, v131, v133, v114
.LBB4_5240:                             ;   in Loop: Header=BB4_4934 Depth=2
	s_or_b32 exec_lo, exec_lo, s23
	s_delay_alu instid0(VALU_DEP_1) | instskip(NEXT) | instid1(VALU_DEP_1)
	v_add_f32_e32 v131, v132, v114
	v_and_b32_e32 v114, 0x7f800000, v131
	s_delay_alu instid0(VALU_DEP_1)
	v_cmp_ne_u32_e32 vcc_lo, 0x7f800000, v114
	v_mov_b32_e32 v114, 0x80
	s_and_saveexec_b32 s23, vcc_lo
	s_cbranch_execz .LBB4_5248
; %bb.5241:                             ;   in Loop: Header=BB4_4934 Depth=2
	v_mov_b32_e32 v114, 0
	s_mov_b32 s24, exec_lo
	v_cmpx_ne_u32_e32 0, v131
	s_cbranch_execz .LBB4_5247
; %bb.5242:                             ;   in Loop: Header=BB4_4934 Depth=2
	v_bfe_u32 v114, v131, 23, 8
	s_delay_alu instid0(VALU_DEP_1) | instskip(SKIP_1) | instid1(VALU_DEP_2)
	v_sub_nc_u32_e32 v133, 0x78, v114
	v_cmp_gt_u32_e32 vcc_lo, 0x79, v114
	v_dual_cndmask_b32 v133, 0, v133 :: v_dual_and_b32 v132, 0x7fffff, v131
	s_delay_alu instid0(VALU_DEP_1) | instskip(SKIP_2) | instid1(VALU_DEP_4)
	v_or_b32_e32 v134, 0x800000, v132
	v_cmp_eq_u32_e32 vcc_lo, 0, v114
	v_add_nc_u32_e32 v114, 0xffffff89, v114
	v_cndmask_b32_e64 v133, v133, 0x77, vcc_lo
	s_delay_alu instid0(VALU_DEP_2) | instskip(SKIP_1) | instid1(VALU_DEP_3)
	v_cndmask_b32_e64 v114, v114, 0xffffff8a, vcc_lo
	v_cndmask_b32_e32 v132, v134, v132, vcc_lo
	v_lshl_add_u32 v134, 0x100000, v133, -1
	v_lshlrev_b32_e64 v145, v133, 0x80000
	s_delay_alu instid0(VALU_DEP_3) | instskip(SKIP_1) | instid1(VALU_DEP_4)
	v_lshrrev_b32_e32 v135, v133, v132
	v_add_nc_u32_e32 v133, v133, v114
	v_and_b32_e32 v132, v134, v132
	s_delay_alu instid0(VALU_DEP_3) | instskip(NEXT) | instid1(VALU_DEP_2)
	v_bfe_u32 v144, v135, 20, 1
	v_cmp_eq_u32_e64 s7, v132, v145
	s_delay_alu instid0(VALU_DEP_2) | instskip(NEXT) | instid1(VALU_DEP_1)
	v_add_nc_u32_e32 v134, -1, v144
	v_cndmask_b32_e64 v132, 0, v134, s7
	v_lshrrev_b32_e32 v134, 23, v135
	s_mov_b32 s7, exec_lo
	s_delay_alu instid0(VALU_DEP_2) | instskip(NEXT) | instid1(VALU_DEP_2)
	v_add_nc_u32_e32 v132, v132, v135
	v_xor_b32_e32 v134, 1, v134
	s_delay_alu instid0(VALU_DEP_2) | instskip(NEXT) | instid1(VALU_DEP_1)
	v_and_b32_e32 v114, 0xfffff, v132
	v_add_nc_u32_e32 v132, v114, v135
                                        ; implicit-def: $vgpr114
	s_delay_alu instid0(VALU_DEP_3)
	v_cmpx_ne_u32_e64 v133, v134
	s_xor_b32 s7, exec_lo, s7
; %bb.5243:                             ;   in Loop: Header=BB4_4934 Depth=2
	s_delay_alu instid0(VALU_DEP_2) | instskip(SKIP_2) | instid1(VALU_DEP_2)
	v_cmp_lt_u32_e32 vcc_lo, 0xffffff, v132
	v_sub_nc_u32_e32 v114, v133, v134
	v_cndmask_b32_e64 v133, 0, 1, vcc_lo
	v_add_co_ci_u32_e32 v114, vcc_lo, 0, v114, vcc_lo
	s_delay_alu instid0(VALU_DEP_2)
	v_lshrrev_b32_e32 v132, v133, v132
; %bb.5244:                             ;   in Loop: Header=BB4_4934 Depth=2
	s_and_not1_saveexec_b32 s7, s7
; %bb.5245:                             ;   in Loop: Header=BB4_4934 Depth=2
	s_delay_alu instid0(VALU_DEP_1)
	v_bfe_u32 v114, v132, 23, 1
; %bb.5246:                             ;   in Loop: Header=BB4_4934 Depth=2
	s_or_b32 exec_lo, exec_lo, s7
	v_lshrrev_b32_e32 v132, 20, v132
	s_delay_alu instid0(VALU_DEP_2) | instskip(SKIP_2) | instid1(VALU_DEP_2)
	v_cmp_gt_i32_e32 vcc_lo, 16, v114
	v_lshrrev_b32_e32 v131, 24, v131
	v_min_i32_e32 v133, 15, v114
	v_dual_cndmask_b32 v132, 7, v132 :: v_dual_and_b32 v131, 0x80, v131
	s_delay_alu instid0(VALU_DEP_1) | instskip(SKIP_1) | instid1(VALU_DEP_2)
	v_or_b32_e32 v114, v114, v132
	v_and_b32_e32 v134, 7, v132
	v_cmp_ne_u32_e32 vcc_lo, 0, v114
	v_lshlrev_b32_e32 v133, 3, v133
	s_delay_alu instid0(VALU_DEP_1) | instskip(NEXT) | instid1(VALU_DEP_1)
	v_or3_b32 v131, v133, v131, v134
	v_cndmask_b32_e32 v114, 0, v131, vcc_lo
.LBB4_5247:                             ;   in Loop: Header=BB4_4934 Depth=2
	s_or_b32 exec_lo, exec_lo, s24
.LBB4_5248:                             ;   in Loop: Header=BB4_4934 Depth=2
	s_delay_alu instid0(SALU_CYCLE_1) | instskip(SKIP_3) | instid1(VALU_DEP_1)
	s_or_b32 exec_lo, exec_lo, s23
	v_and_b32_e32 v132, 0xff, v112
	s_mov_b32 s7, 0
	s_mov_b32 s24, exec_lo
                                        ; implicit-def: $sgpr23
	v_cmpx_lt_i16_e64 0x7f, v132
	s_xor_b32 s24, exec_lo, s24
	s_cbranch_execnz .LBB4_5513
; %bb.5249:                             ;   in Loop: Header=BB4_4934 Depth=2
	s_or_saveexec_b32 s24, s24
	v_mov_b32_e32 v131, s23
	s_xor_b32 exec_lo, exec_lo, s24
	s_cbranch_execnz .LBB4_5516
.LBB4_5250:                             ;   in Loop: Header=BB4_4934 Depth=2
	s_or_b32 exec_lo, exec_lo, s24
	s_and_saveexec_b32 s23, s7
	s_cbranch_execz .LBB4_5252
.LBB4_5251:                             ;   in Loop: Header=BB4_4934 Depth=2
	v_and_b32_e32 v131, 7, v112
	v_lshrrev_b16 v134, 3, v112
	s_delay_alu instid0(VALU_DEP_2) | instskip(NEXT) | instid1(VALU_DEP_1)
	v_clz_i32_u32_e32 v132, v131
	v_min_u32_e32 v132, 32, v132
	s_delay_alu instid0(VALU_DEP_1) | instskip(SKIP_1) | instid1(VALU_DEP_2)
	v_subrev_nc_u32_e32 v133, 28, v132
	v_sub_nc_u32_e32 v132, 29, v132
	v_lshlrev_b32_e32 v133, v133, v112
	v_lshlrev_b32_e32 v112, 24, v112
	s_delay_alu instid0(VALU_DEP_2) | instskip(SKIP_1) | instid1(VALU_DEP_3)
	v_and_b32_e32 v133, 7, v133
	v_and_b32_e32 v134, 15, v134
	;; [unrolled: 1-line block ×3, first 2 shown]
	s_delay_alu instid0(VALU_DEP_2) | instskip(NEXT) | instid1(VALU_DEP_4)
	v_cmp_eq_u32_e32 vcc_lo, 0, v134
	v_dual_cndmask_b32 v131, v131, v133 :: v_dual_cndmask_b32 v132, v134, v132
	s_delay_alu instid0(VALU_DEP_1) | instskip(NEXT) | instid1(VALU_DEP_2)
	v_lshlrev_b32_e32 v131, 20, v131
	v_lshl_add_u32 v132, v132, 23, 0x3b800000
	s_delay_alu instid0(VALU_DEP_1)
	v_or3_b32 v131, v112, v132, v131
.LBB4_5252:                             ;   in Loop: Header=BB4_4934 Depth=2
	s_or_b32 exec_lo, exec_lo, s23
	s_waitcnt vmcnt(8) lgkmcnt(8)
	v_and_b32_e32 v132, 0xff, v130
	s_mov_b32 s7, 0
	s_mov_b32 s24, exec_lo
                                        ; implicit-def: $sgpr23
	s_delay_alu instid0(VALU_DEP_1)
	v_cmpx_lt_i16_e64 0x7f, v132
	s_xor_b32 s24, exec_lo, s24
	s_cbranch_execnz .LBB4_5517
; %bb.5253:                             ;   in Loop: Header=BB4_4934 Depth=2
	s_or_saveexec_b32 s24, s24
	v_mov_b32_e32 v112, s23
	s_xor_b32 exec_lo, exec_lo, s24
	s_cbranch_execnz .LBB4_5520
.LBB4_5254:                             ;   in Loop: Header=BB4_4934 Depth=2
	s_or_b32 exec_lo, exec_lo, s24
	s_and_saveexec_b32 s23, s7
	s_cbranch_execz .LBB4_5256
.LBB4_5255:                             ;   in Loop: Header=BB4_4934 Depth=2
	v_and_b32_e32 v112, 7, v130
	v_lshrrev_b16 v134, 3, v130
	s_delay_alu instid0(VALU_DEP_2) | instskip(NEXT) | instid1(VALU_DEP_2)
	v_clz_i32_u32_e32 v132, v112
	v_and_b32_e32 v134, 15, v134
	s_delay_alu instid0(VALU_DEP_2) | instskip(NEXT) | instid1(VALU_DEP_2)
	v_min_u32_e32 v132, 32, v132
	v_cmp_eq_u32_e32 vcc_lo, 0, v134
	s_delay_alu instid0(VALU_DEP_2) | instskip(SKIP_1) | instid1(VALU_DEP_1)
	v_subrev_nc_u32_e32 v133, 28, v132
	v_sub_nc_u32_e32 v132, 29, v132
	v_dual_cndmask_b32 v132, v134, v132 :: v_dual_lshlrev_b32 v133, v133, v130
	v_lshlrev_b32_e32 v130, 24, v130
	s_delay_alu instid0(VALU_DEP_2) | instskip(NEXT) | instid1(VALU_DEP_3)
	v_and_b32_e32 v133, 7, v133
	v_lshl_add_u32 v132, v132, 23, 0x3b800000
	s_delay_alu instid0(VALU_DEP_3) | instskip(NEXT) | instid1(VALU_DEP_3)
	v_and_b32_e32 v130, 0x80000000, v130
	v_cndmask_b32_e32 v112, v112, v133, vcc_lo
	s_delay_alu instid0(VALU_DEP_1) | instskip(NEXT) | instid1(VALU_DEP_1)
	v_lshlrev_b32_e32 v112, 20, v112
	v_or3_b32 v112, v130, v132, v112
.LBB4_5256:                             ;   in Loop: Header=BB4_4934 Depth=2
	s_or_b32 exec_lo, exec_lo, s23
	s_delay_alu instid0(VALU_DEP_1) | instskip(NEXT) | instid1(VALU_DEP_1)
	v_add_f32_e32 v130, v131, v112
	v_and_b32_e32 v112, 0x7f800000, v130
	s_delay_alu instid0(VALU_DEP_1)
	v_cmp_ne_u32_e32 vcc_lo, 0x7f800000, v112
	v_mov_b32_e32 v112, 0x80
	s_and_saveexec_b32 s23, vcc_lo
	s_cbranch_execz .LBB4_5264
; %bb.5257:                             ;   in Loop: Header=BB4_4934 Depth=2
	v_mov_b32_e32 v112, 0
	s_mov_b32 s24, exec_lo
	v_cmpx_ne_u32_e32 0, v130
	s_cbranch_execz .LBB4_5263
; %bb.5258:                             ;   in Loop: Header=BB4_4934 Depth=2
	v_bfe_u32 v112, v130, 23, 8
	s_delay_alu instid0(VALU_DEP_1) | instskip(SKIP_1) | instid1(VALU_DEP_2)
	v_sub_nc_u32_e32 v132, 0x78, v112
	v_cmp_gt_u32_e32 vcc_lo, 0x79, v112
	v_dual_cndmask_b32 v132, 0, v132 :: v_dual_and_b32 v131, 0x7fffff, v130
	s_delay_alu instid0(VALU_DEP_1) | instskip(SKIP_2) | instid1(VALU_DEP_4)
	v_or_b32_e32 v133, 0x800000, v131
	v_cmp_eq_u32_e32 vcc_lo, 0, v112
	v_add_nc_u32_e32 v112, 0xffffff89, v112
	v_cndmask_b32_e64 v132, v132, 0x77, vcc_lo
	s_delay_alu instid0(VALU_DEP_4) | instskip(NEXT) | instid1(VALU_DEP_3)
	v_cndmask_b32_e32 v131, v133, v131, vcc_lo
	v_cndmask_b32_e64 v112, v112, 0xffffff8a, vcc_lo
	s_delay_alu instid0(VALU_DEP_3) | instskip(NEXT) | instid1(VALU_DEP_3)
	v_lshl_add_u32 v133, 0x100000, v132, -1
	v_lshrrev_b32_e32 v134, v132, v131
	v_lshlrev_b32_e64 v144, v132, 0x80000
	s_delay_alu instid0(VALU_DEP_4) | instskip(NEXT) | instid1(VALU_DEP_4)
	v_add_nc_u32_e32 v132, v132, v112
	v_and_b32_e32 v131, v133, v131
	s_delay_alu instid0(VALU_DEP_4) | instskip(NEXT) | instid1(VALU_DEP_2)
	v_bfe_u32 v135, v134, 20, 1
	v_cmp_eq_u32_e64 s7, v131, v144
	s_delay_alu instid0(VALU_DEP_2) | instskip(NEXT) | instid1(VALU_DEP_1)
	v_add_nc_u32_e32 v133, -1, v135
	v_cndmask_b32_e64 v131, 0, v133, s7
	v_lshrrev_b32_e32 v133, 23, v134
	s_mov_b32 s7, exec_lo
	s_delay_alu instid0(VALU_DEP_2) | instskip(NEXT) | instid1(VALU_DEP_2)
	v_add_nc_u32_e32 v131, v131, v134
	v_xor_b32_e32 v133, 1, v133
	s_delay_alu instid0(VALU_DEP_2) | instskip(NEXT) | instid1(VALU_DEP_1)
	v_and_b32_e32 v112, 0xfffff, v131
	v_add_nc_u32_e32 v131, v112, v134
                                        ; implicit-def: $vgpr112
	s_delay_alu instid0(VALU_DEP_3)
	v_cmpx_ne_u32_e64 v132, v133
	s_xor_b32 s7, exec_lo, s7
; %bb.5259:                             ;   in Loop: Header=BB4_4934 Depth=2
	s_delay_alu instid0(VALU_DEP_2) | instskip(SKIP_2) | instid1(VALU_DEP_2)
	v_cmp_lt_u32_e32 vcc_lo, 0xffffff, v131
	v_sub_nc_u32_e32 v112, v132, v133
	v_cndmask_b32_e64 v132, 0, 1, vcc_lo
	v_add_co_ci_u32_e32 v112, vcc_lo, 0, v112, vcc_lo
	s_delay_alu instid0(VALU_DEP_2)
	v_lshrrev_b32_e32 v131, v132, v131
; %bb.5260:                             ;   in Loop: Header=BB4_4934 Depth=2
	s_and_not1_saveexec_b32 s7, s7
; %bb.5261:                             ;   in Loop: Header=BB4_4934 Depth=2
	s_delay_alu instid0(VALU_DEP_1)
	v_bfe_u32 v112, v131, 23, 1
; %bb.5262:                             ;   in Loop: Header=BB4_4934 Depth=2
	s_or_b32 exec_lo, exec_lo, s7
	v_lshrrev_b32_e32 v131, 20, v131
	s_delay_alu instid0(VALU_DEP_2) | instskip(SKIP_2) | instid1(VALU_DEP_2)
	v_cmp_gt_i32_e32 vcc_lo, 16, v112
	v_lshrrev_b32_e32 v130, 24, v130
	v_min_i32_e32 v132, 15, v112
	v_dual_cndmask_b32 v131, 7, v131 :: v_dual_and_b32 v130, 0x80, v130
	s_delay_alu instid0(VALU_DEP_2) | instskip(NEXT) | instid1(VALU_DEP_2)
	v_lshlrev_b32_e32 v132, 3, v132
	v_or_b32_e32 v112, v112, v131
	s_delay_alu instid0(VALU_DEP_1) | instskip(SKIP_1) | instid1(VALU_DEP_1)
	v_cmp_ne_u32_e32 vcc_lo, 0, v112
	v_and_b32_e32 v133, 7, v131
	v_or3_b32 v130, v132, v130, v133
	s_delay_alu instid0(VALU_DEP_1)
	v_cndmask_b32_e32 v112, 0, v130, vcc_lo
.LBB4_5263:                             ;   in Loop: Header=BB4_4934 Depth=2
	s_or_b32 exec_lo, exec_lo, s24
.LBB4_5264:                             ;   in Loop: Header=BB4_4934 Depth=2
	s_delay_alu instid0(SALU_CYCLE_1) | instskip(SKIP_3) | instid1(VALU_DEP_1)
	s_or_b32 exec_lo, exec_lo, s23
	v_and_b32_e32 v131, 0xff, v102
	s_mov_b32 s7, 0
	s_mov_b32 s24, exec_lo
                                        ; implicit-def: $sgpr23
	v_cmpx_lt_i16_e64 0x7f, v131
	s_xor_b32 s24, exec_lo, s24
	s_cbranch_execnz .LBB4_5521
; %bb.5265:                             ;   in Loop: Header=BB4_4934 Depth=2
	s_or_saveexec_b32 s24, s24
	v_mov_b32_e32 v130, s23
	s_xor_b32 exec_lo, exec_lo, s24
	s_cbranch_execnz .LBB4_5524
.LBB4_5266:                             ;   in Loop: Header=BB4_4934 Depth=2
	s_or_b32 exec_lo, exec_lo, s24
	s_and_saveexec_b32 s23, s7
	s_cbranch_execz .LBB4_5268
.LBB4_5267:                             ;   in Loop: Header=BB4_4934 Depth=2
	v_lshrrev_b16 v133, 3, v102
	s_delay_alu instid0(VALU_DEP_1) | instskip(NEXT) | instid1(VALU_DEP_1)
	v_and_b32_e32 v133, 15, v133
	v_cmp_eq_u32_e32 vcc_lo, 0, v133
	v_and_b32_e32 v130, 7, v102
	s_delay_alu instid0(VALU_DEP_1) | instskip(NEXT) | instid1(VALU_DEP_1)
	v_clz_i32_u32_e32 v131, v130
	v_min_u32_e32 v131, 32, v131
	s_delay_alu instid0(VALU_DEP_1) | instskip(SKIP_1) | instid1(VALU_DEP_1)
	v_subrev_nc_u32_e32 v132, 28, v131
	v_sub_nc_u32_e32 v131, 29, v131
	v_dual_cndmask_b32 v131, v133, v131 :: v_dual_lshlrev_b32 v132, v132, v102
	v_lshlrev_b32_e32 v102, 24, v102
	s_delay_alu instid0(VALU_DEP_2) | instskip(NEXT) | instid1(VALU_DEP_3)
	v_and_b32_e32 v132, 7, v132
	v_lshl_add_u32 v131, v131, 23, 0x3b800000
	s_delay_alu instid0(VALU_DEP_3) | instskip(NEXT) | instid1(VALU_DEP_3)
	v_and_b32_e32 v102, 0x80000000, v102
	v_cndmask_b32_e32 v130, v130, v132, vcc_lo
	s_delay_alu instid0(VALU_DEP_1) | instskip(NEXT) | instid1(VALU_DEP_1)
	v_lshlrev_b32_e32 v130, 20, v130
	v_or3_b32 v130, v102, v131, v130
.LBB4_5268:                             ;   in Loop: Header=BB4_4934 Depth=2
	s_or_b32 exec_lo, exec_lo, s23
	s_waitcnt vmcnt(7) lgkmcnt(7)
	v_and_b32_e32 v131, 0xff, v129
	s_mov_b32 s7, 0
	s_mov_b32 s24, exec_lo
                                        ; implicit-def: $sgpr23
	s_delay_alu instid0(VALU_DEP_1)
	v_cmpx_lt_i16_e64 0x7f, v131
	s_xor_b32 s24, exec_lo, s24
	s_cbranch_execnz .LBB4_5525
; %bb.5269:                             ;   in Loop: Header=BB4_4934 Depth=2
	s_or_saveexec_b32 s24, s24
	v_mov_b32_e32 v102, s23
	s_xor_b32 exec_lo, exec_lo, s24
	s_cbranch_execnz .LBB4_5528
.LBB4_5270:                             ;   in Loop: Header=BB4_4934 Depth=2
	s_or_b32 exec_lo, exec_lo, s24
	s_and_saveexec_b32 s23, s7
	s_cbranch_execz .LBB4_5272
.LBB4_5271:                             ;   in Loop: Header=BB4_4934 Depth=2
	v_lshrrev_b16 v133, 3, v129
	s_delay_alu instid0(VALU_DEP_1) | instskip(NEXT) | instid1(VALU_DEP_1)
	v_and_b32_e32 v133, 15, v133
	v_cmp_eq_u32_e32 vcc_lo, 0, v133
	v_and_b32_e32 v102, 7, v129
	s_delay_alu instid0(VALU_DEP_1) | instskip(NEXT) | instid1(VALU_DEP_1)
	v_clz_i32_u32_e32 v131, v102
	v_min_u32_e32 v131, 32, v131
	s_delay_alu instid0(VALU_DEP_1) | instskip(SKIP_1) | instid1(VALU_DEP_1)
	v_subrev_nc_u32_e32 v132, 28, v131
	v_sub_nc_u32_e32 v131, 29, v131
	v_dual_cndmask_b32 v131, v133, v131 :: v_dual_lshlrev_b32 v132, v132, v129
	v_lshlrev_b32_e32 v129, 24, v129
	s_delay_alu instid0(VALU_DEP_2) | instskip(NEXT) | instid1(VALU_DEP_3)
	v_and_b32_e32 v132, 7, v132
	v_lshl_add_u32 v131, v131, 23, 0x3b800000
	s_delay_alu instid0(VALU_DEP_2) | instskip(NEXT) | instid1(VALU_DEP_1)
	v_dual_cndmask_b32 v102, v102, v132 :: v_dual_and_b32 v129, 0x80000000, v129
	v_lshlrev_b32_e32 v102, 20, v102
	s_delay_alu instid0(VALU_DEP_1)
	v_or3_b32 v102, v129, v131, v102
.LBB4_5272:                             ;   in Loop: Header=BB4_4934 Depth=2
	s_or_b32 exec_lo, exec_lo, s23
	s_delay_alu instid0(VALU_DEP_1) | instskip(NEXT) | instid1(VALU_DEP_1)
	v_add_f32_e32 v129, v130, v102
	v_and_b32_e32 v102, 0x7f800000, v129
	s_delay_alu instid0(VALU_DEP_1)
	v_cmp_ne_u32_e32 vcc_lo, 0x7f800000, v102
	v_mov_b32_e32 v102, 0x80
	s_and_saveexec_b32 s23, vcc_lo
	s_cbranch_execz .LBB4_5280
; %bb.5273:                             ;   in Loop: Header=BB4_4934 Depth=2
	v_mov_b32_e32 v102, 0
	s_mov_b32 s24, exec_lo
	v_cmpx_ne_u32_e32 0, v129
	s_cbranch_execz .LBB4_5279
; %bb.5274:                             ;   in Loop: Header=BB4_4934 Depth=2
	v_bfe_u32 v102, v129, 23, 8
	s_delay_alu instid0(VALU_DEP_1) | instskip(SKIP_1) | instid1(VALU_DEP_2)
	v_sub_nc_u32_e32 v131, 0x78, v102
	v_cmp_gt_u32_e32 vcc_lo, 0x79, v102
	v_dual_cndmask_b32 v131, 0, v131 :: v_dual_and_b32 v130, 0x7fffff, v129
	s_delay_alu instid0(VALU_DEP_1) | instskip(SKIP_2) | instid1(VALU_DEP_4)
	v_or_b32_e32 v132, 0x800000, v130
	v_cmp_eq_u32_e32 vcc_lo, 0, v102
	v_add_nc_u32_e32 v102, 0xffffff89, v102
	v_cndmask_b32_e64 v131, v131, 0x77, vcc_lo
	s_delay_alu instid0(VALU_DEP_4) | instskip(NEXT) | instid1(VALU_DEP_3)
	v_cndmask_b32_e32 v130, v132, v130, vcc_lo
	v_cndmask_b32_e64 v102, v102, 0xffffff8a, vcc_lo
	s_delay_alu instid0(VALU_DEP_3) | instskip(NEXT) | instid1(VALU_DEP_3)
	v_lshl_add_u32 v132, 0x100000, v131, -1
	v_lshrrev_b32_e32 v133, v131, v130
	v_lshlrev_b32_e64 v135, v131, 0x80000
	s_delay_alu instid0(VALU_DEP_4) | instskip(NEXT) | instid1(VALU_DEP_4)
	v_add_nc_u32_e32 v131, v131, v102
	v_and_b32_e32 v130, v132, v130
	s_delay_alu instid0(VALU_DEP_4) | instskip(NEXT) | instid1(VALU_DEP_2)
	v_bfe_u32 v134, v133, 20, 1
	v_cmp_eq_u32_e64 s7, v130, v135
	s_delay_alu instid0(VALU_DEP_2) | instskip(NEXT) | instid1(VALU_DEP_1)
	v_add_nc_u32_e32 v132, -1, v134
	v_cndmask_b32_e64 v130, 0, v132, s7
	v_lshrrev_b32_e32 v132, 23, v133
	s_mov_b32 s7, exec_lo
	s_delay_alu instid0(VALU_DEP_2) | instskip(NEXT) | instid1(VALU_DEP_2)
	v_add_nc_u32_e32 v130, v130, v133
	v_xor_b32_e32 v132, 1, v132
	s_delay_alu instid0(VALU_DEP_2) | instskip(NEXT) | instid1(VALU_DEP_1)
	v_and_b32_e32 v102, 0xfffff, v130
	v_add_nc_u32_e32 v130, v102, v133
                                        ; implicit-def: $vgpr102
	s_delay_alu instid0(VALU_DEP_3)
	v_cmpx_ne_u32_e64 v131, v132
	s_xor_b32 s7, exec_lo, s7
; %bb.5275:                             ;   in Loop: Header=BB4_4934 Depth=2
	s_delay_alu instid0(VALU_DEP_2) | instskip(SKIP_2) | instid1(VALU_DEP_2)
	v_cmp_lt_u32_e32 vcc_lo, 0xffffff, v130
	v_sub_nc_u32_e32 v102, v131, v132
	v_cndmask_b32_e64 v131, 0, 1, vcc_lo
	v_add_co_ci_u32_e32 v102, vcc_lo, 0, v102, vcc_lo
	s_delay_alu instid0(VALU_DEP_2)
	v_lshrrev_b32_e32 v130, v131, v130
; %bb.5276:                             ;   in Loop: Header=BB4_4934 Depth=2
	s_and_not1_saveexec_b32 s7, s7
; %bb.5277:                             ;   in Loop: Header=BB4_4934 Depth=2
	s_delay_alu instid0(VALU_DEP_1)
	v_bfe_u32 v102, v130, 23, 1
; %bb.5278:                             ;   in Loop: Header=BB4_4934 Depth=2
	s_or_b32 exec_lo, exec_lo, s7
	v_lshrrev_b32_e32 v130, 20, v130
	s_delay_alu instid0(VALU_DEP_2) | instskip(SKIP_2) | instid1(VALU_DEP_2)
	v_cmp_gt_i32_e32 vcc_lo, 16, v102
	v_lshrrev_b32_e32 v129, 24, v129
	v_min_i32_e32 v131, 15, v102
	v_dual_cndmask_b32 v130, 7, v130 :: v_dual_and_b32 v129, 0x80, v129
	s_delay_alu instid0(VALU_DEP_1) | instskip(SKIP_1) | instid1(VALU_DEP_2)
	v_or_b32_e32 v102, v102, v130
	v_and_b32_e32 v132, 7, v130
	v_cmp_ne_u32_e32 vcc_lo, 0, v102
	v_lshlrev_b32_e32 v131, 3, v131
	s_delay_alu instid0(VALU_DEP_1) | instskip(NEXT) | instid1(VALU_DEP_1)
	v_or3_b32 v129, v131, v129, v132
	v_cndmask_b32_e32 v102, 0, v129, vcc_lo
.LBB4_5279:                             ;   in Loop: Header=BB4_4934 Depth=2
	s_or_b32 exec_lo, exec_lo, s24
.LBB4_5280:                             ;   in Loop: Header=BB4_4934 Depth=2
	s_delay_alu instid0(SALU_CYCLE_1) | instskip(SKIP_3) | instid1(VALU_DEP_1)
	s_or_b32 exec_lo, exec_lo, s23
	v_and_b32_e32 v130, 0xff, v101
	s_mov_b32 s7, 0
	s_mov_b32 s24, exec_lo
                                        ; implicit-def: $sgpr23
	v_cmpx_lt_i16_e64 0x7f, v130
	s_xor_b32 s24, exec_lo, s24
	s_cbranch_execnz .LBB4_5529
; %bb.5281:                             ;   in Loop: Header=BB4_4934 Depth=2
	s_or_saveexec_b32 s24, s24
	v_mov_b32_e32 v129, s23
	s_xor_b32 exec_lo, exec_lo, s24
	s_cbranch_execnz .LBB4_5532
.LBB4_5282:                             ;   in Loop: Header=BB4_4934 Depth=2
	s_or_b32 exec_lo, exec_lo, s24
	s_and_saveexec_b32 s23, s7
	s_cbranch_execz .LBB4_5284
.LBB4_5283:                             ;   in Loop: Header=BB4_4934 Depth=2
	v_lshrrev_b16 v132, 3, v101
	s_delay_alu instid0(VALU_DEP_1) | instskip(NEXT) | instid1(VALU_DEP_1)
	v_and_b32_e32 v132, 15, v132
	v_cmp_eq_u32_e32 vcc_lo, 0, v132
	v_and_b32_e32 v129, 7, v101
	s_delay_alu instid0(VALU_DEP_1) | instskip(NEXT) | instid1(VALU_DEP_1)
	v_clz_i32_u32_e32 v130, v129
	v_min_u32_e32 v130, 32, v130
	s_delay_alu instid0(VALU_DEP_1) | instskip(SKIP_1) | instid1(VALU_DEP_1)
	v_subrev_nc_u32_e32 v131, 28, v130
	v_sub_nc_u32_e32 v130, 29, v130
	v_dual_cndmask_b32 v130, v132, v130 :: v_dual_lshlrev_b32 v131, v131, v101
	v_lshlrev_b32_e32 v101, 24, v101
	s_delay_alu instid0(VALU_DEP_2) | instskip(NEXT) | instid1(VALU_DEP_3)
	v_and_b32_e32 v131, 7, v131
	v_lshl_add_u32 v130, v130, 23, 0x3b800000
	s_delay_alu instid0(VALU_DEP_3) | instskip(NEXT) | instid1(VALU_DEP_3)
	v_and_b32_e32 v101, 0x80000000, v101
	v_cndmask_b32_e32 v129, v129, v131, vcc_lo
	s_delay_alu instid0(VALU_DEP_1) | instskip(NEXT) | instid1(VALU_DEP_1)
	v_lshlrev_b32_e32 v129, 20, v129
	v_or3_b32 v129, v101, v130, v129
.LBB4_5284:                             ;   in Loop: Header=BB4_4934 Depth=2
	s_or_b32 exec_lo, exec_lo, s23
	s_waitcnt vmcnt(6) lgkmcnt(6)
	v_and_b32_e32 v130, 0xff, v128
	s_mov_b32 s7, 0
	s_mov_b32 s24, exec_lo
                                        ; implicit-def: $sgpr23
	s_delay_alu instid0(VALU_DEP_1)
	v_cmpx_lt_i16_e64 0x7f, v130
	s_xor_b32 s24, exec_lo, s24
	s_cbranch_execnz .LBB4_5533
; %bb.5285:                             ;   in Loop: Header=BB4_4934 Depth=2
	s_or_saveexec_b32 s24, s24
	v_mov_b32_e32 v101, s23
	s_xor_b32 exec_lo, exec_lo, s24
	s_cbranch_execnz .LBB4_5536
.LBB4_5286:                             ;   in Loop: Header=BB4_4934 Depth=2
	s_or_b32 exec_lo, exec_lo, s24
	s_and_saveexec_b32 s23, s7
	s_cbranch_execz .LBB4_5288
.LBB4_5287:                             ;   in Loop: Header=BB4_4934 Depth=2
	v_lshrrev_b16 v132, 3, v128
	s_delay_alu instid0(VALU_DEP_1) | instskip(NEXT) | instid1(VALU_DEP_1)
	v_and_b32_e32 v132, 15, v132
	v_cmp_eq_u32_e32 vcc_lo, 0, v132
	v_and_b32_e32 v101, 7, v128
	s_delay_alu instid0(VALU_DEP_1) | instskip(NEXT) | instid1(VALU_DEP_1)
	v_clz_i32_u32_e32 v130, v101
	v_min_u32_e32 v130, 32, v130
	s_delay_alu instid0(VALU_DEP_1) | instskip(SKIP_1) | instid1(VALU_DEP_1)
	v_subrev_nc_u32_e32 v131, 28, v130
	v_sub_nc_u32_e32 v130, 29, v130
	v_dual_cndmask_b32 v130, v132, v130 :: v_dual_lshlrev_b32 v131, v131, v128
	v_lshlrev_b32_e32 v128, 24, v128
	s_delay_alu instid0(VALU_DEP_2) | instskip(NEXT) | instid1(VALU_DEP_3)
	v_and_b32_e32 v131, 7, v131
	v_lshl_add_u32 v130, v130, 23, 0x3b800000
	s_delay_alu instid0(VALU_DEP_2) | instskip(NEXT) | instid1(VALU_DEP_1)
	v_dual_cndmask_b32 v101, v101, v131 :: v_dual_and_b32 v128, 0x80000000, v128
	v_lshlrev_b32_e32 v101, 20, v101
	s_delay_alu instid0(VALU_DEP_1)
	v_or3_b32 v101, v128, v130, v101
.LBB4_5288:                             ;   in Loop: Header=BB4_4934 Depth=2
	s_or_b32 exec_lo, exec_lo, s23
	s_delay_alu instid0(VALU_DEP_1) | instskip(NEXT) | instid1(VALU_DEP_1)
	v_add_f32_e32 v128, v129, v101
	v_and_b32_e32 v101, 0x7f800000, v128
	s_delay_alu instid0(VALU_DEP_1)
	v_cmp_ne_u32_e32 vcc_lo, 0x7f800000, v101
	v_mov_b32_e32 v101, 0x80
	s_and_saveexec_b32 s23, vcc_lo
	s_cbranch_execz .LBB4_5296
; %bb.5289:                             ;   in Loop: Header=BB4_4934 Depth=2
	v_mov_b32_e32 v101, 0
	s_mov_b32 s24, exec_lo
	v_cmpx_ne_u32_e32 0, v128
	s_cbranch_execz .LBB4_5295
; %bb.5290:                             ;   in Loop: Header=BB4_4934 Depth=2
	v_bfe_u32 v101, v128, 23, 8
	s_delay_alu instid0(VALU_DEP_1) | instskip(SKIP_1) | instid1(VALU_DEP_2)
	v_sub_nc_u32_e32 v130, 0x78, v101
	v_cmp_gt_u32_e32 vcc_lo, 0x79, v101
	v_dual_cndmask_b32 v130, 0, v130 :: v_dual_and_b32 v129, 0x7fffff, v128
	s_delay_alu instid0(VALU_DEP_1) | instskip(SKIP_2) | instid1(VALU_DEP_4)
	v_or_b32_e32 v131, 0x800000, v129
	v_cmp_eq_u32_e32 vcc_lo, 0, v101
	v_add_nc_u32_e32 v101, 0xffffff89, v101
	v_cndmask_b32_e64 v130, v130, 0x77, vcc_lo
	s_delay_alu instid0(VALU_DEP_4) | instskip(NEXT) | instid1(VALU_DEP_3)
	v_cndmask_b32_e32 v129, v131, v129, vcc_lo
	v_cndmask_b32_e64 v101, v101, 0xffffff8a, vcc_lo
	s_delay_alu instid0(VALU_DEP_3) | instskip(NEXT) | instid1(VALU_DEP_3)
	v_lshl_add_u32 v131, 0x100000, v130, -1
	v_lshrrev_b32_e32 v132, v130, v129
	v_lshlrev_b32_e64 v134, v130, 0x80000
	s_delay_alu instid0(VALU_DEP_4) | instskip(NEXT) | instid1(VALU_DEP_4)
	v_add_nc_u32_e32 v130, v130, v101
	v_and_b32_e32 v129, v131, v129
	s_delay_alu instid0(VALU_DEP_4) | instskip(NEXT) | instid1(VALU_DEP_2)
	v_bfe_u32 v133, v132, 20, 1
	v_cmp_eq_u32_e64 s7, v129, v134
	s_delay_alu instid0(VALU_DEP_2) | instskip(NEXT) | instid1(VALU_DEP_1)
	v_add_nc_u32_e32 v131, -1, v133
	v_cndmask_b32_e64 v129, 0, v131, s7
	v_lshrrev_b32_e32 v131, 23, v132
	s_mov_b32 s7, exec_lo
	s_delay_alu instid0(VALU_DEP_2) | instskip(NEXT) | instid1(VALU_DEP_2)
	v_add_nc_u32_e32 v129, v129, v132
	v_xor_b32_e32 v131, 1, v131
	s_delay_alu instid0(VALU_DEP_2) | instskip(NEXT) | instid1(VALU_DEP_1)
	v_and_b32_e32 v101, 0xfffff, v129
	v_add_nc_u32_e32 v129, v101, v132
                                        ; implicit-def: $vgpr101
	s_delay_alu instid0(VALU_DEP_3)
	v_cmpx_ne_u32_e64 v130, v131
	s_xor_b32 s7, exec_lo, s7
; %bb.5291:                             ;   in Loop: Header=BB4_4934 Depth=2
	s_delay_alu instid0(VALU_DEP_2) | instskip(SKIP_2) | instid1(VALU_DEP_2)
	v_cmp_lt_u32_e32 vcc_lo, 0xffffff, v129
	v_sub_nc_u32_e32 v101, v130, v131
	v_cndmask_b32_e64 v130, 0, 1, vcc_lo
	v_add_co_ci_u32_e32 v101, vcc_lo, 0, v101, vcc_lo
	s_delay_alu instid0(VALU_DEP_2)
	v_lshrrev_b32_e32 v129, v130, v129
; %bb.5292:                             ;   in Loop: Header=BB4_4934 Depth=2
	s_and_not1_saveexec_b32 s7, s7
; %bb.5293:                             ;   in Loop: Header=BB4_4934 Depth=2
	s_delay_alu instid0(VALU_DEP_1)
	v_bfe_u32 v101, v129, 23, 1
; %bb.5294:                             ;   in Loop: Header=BB4_4934 Depth=2
	s_or_b32 exec_lo, exec_lo, s7
	v_lshrrev_b32_e32 v129, 20, v129
	s_delay_alu instid0(VALU_DEP_2) | instskip(SKIP_2) | instid1(VALU_DEP_2)
	v_cmp_gt_i32_e32 vcc_lo, 16, v101
	v_lshrrev_b32_e32 v128, 24, v128
	v_min_i32_e32 v130, 15, v101
	v_dual_cndmask_b32 v129, 7, v129 :: v_dual_and_b32 v128, 0x80, v128
	s_delay_alu instid0(VALU_DEP_1) | instskip(SKIP_1) | instid1(VALU_DEP_2)
	v_or_b32_e32 v101, v101, v129
	v_and_b32_e32 v131, 7, v129
	v_cmp_ne_u32_e32 vcc_lo, 0, v101
	v_lshlrev_b32_e32 v130, 3, v130
	s_delay_alu instid0(VALU_DEP_1) | instskip(NEXT) | instid1(VALU_DEP_1)
	v_or3_b32 v128, v130, v128, v131
	v_cndmask_b32_e32 v101, 0, v128, vcc_lo
.LBB4_5295:                             ;   in Loop: Header=BB4_4934 Depth=2
	s_or_b32 exec_lo, exec_lo, s24
.LBB4_5296:                             ;   in Loop: Header=BB4_4934 Depth=2
	s_delay_alu instid0(SALU_CYCLE_1) | instskip(SKIP_3) | instid1(VALU_DEP_1)
	s_or_b32 exec_lo, exec_lo, s23
	v_and_b32_e32 v129, 0xff, v99
	s_mov_b32 s7, 0
	s_mov_b32 s24, exec_lo
                                        ; implicit-def: $sgpr23
	v_cmpx_lt_i16_e64 0x7f, v129
	s_xor_b32 s24, exec_lo, s24
	s_cbranch_execnz .LBB4_5537
; %bb.5297:                             ;   in Loop: Header=BB4_4934 Depth=2
	s_or_saveexec_b32 s24, s24
	v_mov_b32_e32 v128, s23
	s_xor_b32 exec_lo, exec_lo, s24
	s_cbranch_execnz .LBB4_5540
.LBB4_5298:                             ;   in Loop: Header=BB4_4934 Depth=2
	s_or_b32 exec_lo, exec_lo, s24
	s_and_saveexec_b32 s23, s7
	s_cbranch_execz .LBB4_5300
.LBB4_5299:                             ;   in Loop: Header=BB4_4934 Depth=2
	v_lshrrev_b16 v131, 3, v99
	s_delay_alu instid0(VALU_DEP_1) | instskip(NEXT) | instid1(VALU_DEP_1)
	v_and_b32_e32 v131, 15, v131
	v_cmp_eq_u32_e32 vcc_lo, 0, v131
	v_and_b32_e32 v128, 7, v99
	s_delay_alu instid0(VALU_DEP_1) | instskip(NEXT) | instid1(VALU_DEP_1)
	v_clz_i32_u32_e32 v129, v128
	v_min_u32_e32 v129, 32, v129
	s_delay_alu instid0(VALU_DEP_1) | instskip(SKIP_1) | instid1(VALU_DEP_1)
	v_subrev_nc_u32_e32 v130, 28, v129
	v_sub_nc_u32_e32 v129, 29, v129
	v_dual_cndmask_b32 v129, v131, v129 :: v_dual_lshlrev_b32 v130, v130, v99
	v_lshlrev_b32_e32 v99, 24, v99
	s_delay_alu instid0(VALU_DEP_2) | instskip(NEXT) | instid1(VALU_DEP_3)
	v_and_b32_e32 v130, 7, v130
	v_lshl_add_u32 v129, v129, 23, 0x3b800000
	s_delay_alu instid0(VALU_DEP_2) | instskip(NEXT) | instid1(VALU_DEP_1)
	v_dual_cndmask_b32 v128, v128, v130 :: v_dual_and_b32 v99, 0x80000000, v99
	v_lshlrev_b32_e32 v128, 20, v128
	s_delay_alu instid0(VALU_DEP_1)
	v_or3_b32 v128, v99, v129, v128
.LBB4_5300:                             ;   in Loop: Header=BB4_4934 Depth=2
	s_or_b32 exec_lo, exec_lo, s23
	s_waitcnt vmcnt(5) lgkmcnt(5)
	v_and_b32_e32 v129, 0xff, v119
	s_mov_b32 s7, 0
	s_mov_b32 s24, exec_lo
                                        ; implicit-def: $sgpr23
	s_delay_alu instid0(VALU_DEP_1)
	v_cmpx_lt_i16_e64 0x7f, v129
	s_xor_b32 s24, exec_lo, s24
	s_cbranch_execnz .LBB4_5541
; %bb.5301:                             ;   in Loop: Header=BB4_4934 Depth=2
	s_or_saveexec_b32 s24, s24
	v_mov_b32_e32 v99, s23
	s_xor_b32 exec_lo, exec_lo, s24
	s_cbranch_execnz .LBB4_5544
.LBB4_5302:                             ;   in Loop: Header=BB4_4934 Depth=2
	s_or_b32 exec_lo, exec_lo, s24
	s_and_saveexec_b32 s23, s7
	s_cbranch_execz .LBB4_5304
.LBB4_5303:                             ;   in Loop: Header=BB4_4934 Depth=2
	v_and_b32_e32 v99, 7, v119
	v_lshrrev_b16 v131, 3, v119
	s_delay_alu instid0(VALU_DEP_2) | instskip(NEXT) | instid1(VALU_DEP_2)
	v_clz_i32_u32_e32 v129, v99
	v_and_b32_e32 v131, 15, v131
	s_delay_alu instid0(VALU_DEP_2) | instskip(NEXT) | instid1(VALU_DEP_2)
	v_min_u32_e32 v129, 32, v129
	v_cmp_eq_u32_e32 vcc_lo, 0, v131
	s_delay_alu instid0(VALU_DEP_2) | instskip(SKIP_1) | instid1(VALU_DEP_1)
	v_subrev_nc_u32_e32 v130, 28, v129
	v_sub_nc_u32_e32 v129, 29, v129
	v_dual_cndmask_b32 v129, v131, v129 :: v_dual_lshlrev_b32 v130, v130, v119
	v_lshlrev_b32_e32 v119, 24, v119
	s_delay_alu instid0(VALU_DEP_2) | instskip(NEXT) | instid1(VALU_DEP_3)
	v_and_b32_e32 v130, 7, v130
	v_lshl_add_u32 v129, v129, 23, 0x3b800000
	s_delay_alu instid0(VALU_DEP_3) | instskip(NEXT) | instid1(VALU_DEP_3)
	v_and_b32_e32 v119, 0x80000000, v119
	v_cndmask_b32_e32 v99, v99, v130, vcc_lo
	s_delay_alu instid0(VALU_DEP_1) | instskip(NEXT) | instid1(VALU_DEP_1)
	v_lshlrev_b32_e32 v99, 20, v99
	v_or3_b32 v99, v119, v129, v99
.LBB4_5304:                             ;   in Loop: Header=BB4_4934 Depth=2
	s_or_b32 exec_lo, exec_lo, s23
	s_delay_alu instid0(VALU_DEP_1) | instskip(NEXT) | instid1(VALU_DEP_1)
	v_add_f32_e32 v119, v128, v99
	v_and_b32_e32 v99, 0x7f800000, v119
	s_delay_alu instid0(VALU_DEP_1)
	v_cmp_ne_u32_e32 vcc_lo, 0x7f800000, v99
	v_mov_b32_e32 v99, 0x80
	s_and_saveexec_b32 s23, vcc_lo
	s_cbranch_execz .LBB4_5312
; %bb.5305:                             ;   in Loop: Header=BB4_4934 Depth=2
	v_mov_b32_e32 v99, 0
	s_mov_b32 s24, exec_lo
	v_cmpx_ne_u32_e32 0, v119
	s_cbranch_execz .LBB4_5311
; %bb.5306:                             ;   in Loop: Header=BB4_4934 Depth=2
	v_bfe_u32 v99, v119, 23, 8
	s_delay_alu instid0(VALU_DEP_1) | instskip(SKIP_1) | instid1(VALU_DEP_2)
	v_sub_nc_u32_e32 v129, 0x78, v99
	v_cmp_gt_u32_e32 vcc_lo, 0x79, v99
	v_dual_cndmask_b32 v129, 0, v129 :: v_dual_and_b32 v128, 0x7fffff, v119
	s_delay_alu instid0(VALU_DEP_1) | instskip(SKIP_2) | instid1(VALU_DEP_4)
	v_or_b32_e32 v130, 0x800000, v128
	v_cmp_eq_u32_e32 vcc_lo, 0, v99
	v_add_nc_u32_e32 v99, 0xffffff89, v99
	v_cndmask_b32_e64 v129, v129, 0x77, vcc_lo
	s_delay_alu instid0(VALU_DEP_4) | instskip(NEXT) | instid1(VALU_DEP_3)
	v_cndmask_b32_e32 v128, v130, v128, vcc_lo
	v_cndmask_b32_e64 v99, v99, 0xffffff8a, vcc_lo
	s_delay_alu instid0(VALU_DEP_3) | instskip(NEXT) | instid1(VALU_DEP_3)
	v_lshl_add_u32 v130, 0x100000, v129, -1
	v_lshrrev_b32_e32 v131, v129, v128
	v_lshlrev_b32_e64 v133, v129, 0x80000
	s_delay_alu instid0(VALU_DEP_4) | instskip(NEXT) | instid1(VALU_DEP_4)
	v_add_nc_u32_e32 v129, v129, v99
	v_and_b32_e32 v128, v130, v128
	s_delay_alu instid0(VALU_DEP_4) | instskip(NEXT) | instid1(VALU_DEP_2)
	v_bfe_u32 v132, v131, 20, 1
	v_cmp_eq_u32_e64 s7, v128, v133
	s_delay_alu instid0(VALU_DEP_2) | instskip(NEXT) | instid1(VALU_DEP_1)
	v_add_nc_u32_e32 v130, -1, v132
	v_cndmask_b32_e64 v128, 0, v130, s7
	v_lshrrev_b32_e32 v130, 23, v131
	s_mov_b32 s7, exec_lo
	s_delay_alu instid0(VALU_DEP_2) | instskip(NEXT) | instid1(VALU_DEP_2)
	v_add_nc_u32_e32 v128, v128, v131
	v_xor_b32_e32 v130, 1, v130
	s_delay_alu instid0(VALU_DEP_2) | instskip(NEXT) | instid1(VALU_DEP_1)
	v_and_b32_e32 v99, 0xfffff, v128
	v_add_nc_u32_e32 v128, v99, v131
                                        ; implicit-def: $vgpr99
	s_delay_alu instid0(VALU_DEP_3)
	v_cmpx_ne_u32_e64 v129, v130
	s_xor_b32 s7, exec_lo, s7
; %bb.5307:                             ;   in Loop: Header=BB4_4934 Depth=2
	s_delay_alu instid0(VALU_DEP_2) | instskip(SKIP_2) | instid1(VALU_DEP_2)
	v_cmp_lt_u32_e32 vcc_lo, 0xffffff, v128
	v_sub_nc_u32_e32 v99, v129, v130
	v_cndmask_b32_e64 v129, 0, 1, vcc_lo
	v_add_co_ci_u32_e32 v99, vcc_lo, 0, v99, vcc_lo
	s_delay_alu instid0(VALU_DEP_2)
	v_lshrrev_b32_e32 v128, v129, v128
; %bb.5308:                             ;   in Loop: Header=BB4_4934 Depth=2
	s_and_not1_saveexec_b32 s7, s7
; %bb.5309:                             ;   in Loop: Header=BB4_4934 Depth=2
	s_delay_alu instid0(VALU_DEP_1)
	v_bfe_u32 v99, v128, 23, 1
; %bb.5310:                             ;   in Loop: Header=BB4_4934 Depth=2
	s_or_b32 exec_lo, exec_lo, s7
	v_lshrrev_b32_e32 v128, 20, v128
	s_delay_alu instid0(VALU_DEP_2) | instskip(SKIP_2) | instid1(VALU_DEP_2)
	v_cmp_gt_i32_e32 vcc_lo, 16, v99
	v_lshrrev_b32_e32 v119, 24, v119
	v_min_i32_e32 v129, 15, v99
	v_dual_cndmask_b32 v128, 7, v128 :: v_dual_and_b32 v119, 0x80, v119
	s_delay_alu instid0(VALU_DEP_2) | instskip(NEXT) | instid1(VALU_DEP_2)
	v_lshlrev_b32_e32 v129, 3, v129
	v_or_b32_e32 v99, v99, v128
	s_delay_alu instid0(VALU_DEP_1) | instskip(SKIP_1) | instid1(VALU_DEP_1)
	v_cmp_ne_u32_e32 vcc_lo, 0, v99
	v_and_b32_e32 v130, 7, v128
	v_or3_b32 v119, v129, v119, v130
	s_delay_alu instid0(VALU_DEP_1)
	v_cndmask_b32_e32 v99, 0, v119, vcc_lo
.LBB4_5311:                             ;   in Loop: Header=BB4_4934 Depth=2
	s_or_b32 exec_lo, exec_lo, s24
.LBB4_5312:                             ;   in Loop: Header=BB4_4934 Depth=2
	s_delay_alu instid0(SALU_CYCLE_1) | instskip(SKIP_3) | instid1(VALU_DEP_1)
	s_or_b32 exec_lo, exec_lo, s23
	v_and_b32_e32 v128, 0xff, v98
	s_mov_b32 s7, 0
	s_mov_b32 s24, exec_lo
                                        ; implicit-def: $sgpr23
	v_cmpx_lt_i16_e64 0x7f, v128
	s_xor_b32 s24, exec_lo, s24
	s_cbranch_execnz .LBB4_5545
; %bb.5313:                             ;   in Loop: Header=BB4_4934 Depth=2
	s_or_saveexec_b32 s24, s24
	v_mov_b32_e32 v119, s23
	s_xor_b32 exec_lo, exec_lo, s24
	s_cbranch_execnz .LBB4_5548
.LBB4_5314:                             ;   in Loop: Header=BB4_4934 Depth=2
	s_or_b32 exec_lo, exec_lo, s24
	s_and_saveexec_b32 s23, s7
	s_cbranch_execz .LBB4_5316
.LBB4_5315:                             ;   in Loop: Header=BB4_4934 Depth=2
	v_lshrrev_b16 v130, 3, v98
	s_delay_alu instid0(VALU_DEP_1) | instskip(NEXT) | instid1(VALU_DEP_1)
	v_and_b32_e32 v130, 15, v130
	v_cmp_eq_u32_e32 vcc_lo, 0, v130
	v_and_b32_e32 v119, 7, v98
	s_delay_alu instid0(VALU_DEP_1) | instskip(NEXT) | instid1(VALU_DEP_1)
	v_clz_i32_u32_e32 v128, v119
	v_min_u32_e32 v128, 32, v128
	s_delay_alu instid0(VALU_DEP_1) | instskip(SKIP_1) | instid1(VALU_DEP_1)
	v_subrev_nc_u32_e32 v129, 28, v128
	v_sub_nc_u32_e32 v128, 29, v128
	v_dual_cndmask_b32 v128, v130, v128 :: v_dual_lshlrev_b32 v129, v129, v98
	v_lshlrev_b32_e32 v98, 24, v98
	s_delay_alu instid0(VALU_DEP_2) | instskip(NEXT) | instid1(VALU_DEP_3)
	v_and_b32_e32 v129, 7, v129
	v_lshl_add_u32 v128, v128, 23, 0x3b800000
	s_delay_alu instid0(VALU_DEP_2) | instskip(NEXT) | instid1(VALU_DEP_1)
	v_dual_cndmask_b32 v119, v119, v129 :: v_dual_and_b32 v98, 0x80000000, v98
	v_lshlrev_b32_e32 v119, 20, v119
	s_delay_alu instid0(VALU_DEP_1)
	v_or3_b32 v119, v98, v128, v119
.LBB4_5316:                             ;   in Loop: Header=BB4_4934 Depth=2
	s_or_b32 exec_lo, exec_lo, s23
	s_waitcnt vmcnt(4) lgkmcnt(4)
	v_and_b32_e32 v128, 0xff, v118
	s_mov_b32 s7, 0
	s_mov_b32 s24, exec_lo
                                        ; implicit-def: $sgpr23
	s_delay_alu instid0(VALU_DEP_1)
	v_cmpx_lt_i16_e64 0x7f, v128
	s_xor_b32 s24, exec_lo, s24
	s_cbranch_execnz .LBB4_5549
; %bb.5317:                             ;   in Loop: Header=BB4_4934 Depth=2
	s_or_saveexec_b32 s24, s24
	v_mov_b32_e32 v98, s23
	s_xor_b32 exec_lo, exec_lo, s24
	s_cbranch_execnz .LBB4_5552
.LBB4_5318:                             ;   in Loop: Header=BB4_4934 Depth=2
	s_or_b32 exec_lo, exec_lo, s24
	s_and_saveexec_b32 s23, s7
	s_cbranch_execz .LBB4_5320
.LBB4_5319:                             ;   in Loop: Header=BB4_4934 Depth=2
	v_and_b32_e32 v98, 7, v118
	v_lshrrev_b16 v130, 3, v118
	s_delay_alu instid0(VALU_DEP_2) | instskip(NEXT) | instid1(VALU_DEP_2)
	v_clz_i32_u32_e32 v128, v98
	v_and_b32_e32 v130, 15, v130
	s_delay_alu instid0(VALU_DEP_2) | instskip(NEXT) | instid1(VALU_DEP_2)
	v_min_u32_e32 v128, 32, v128
	v_cmp_eq_u32_e32 vcc_lo, 0, v130
	s_delay_alu instid0(VALU_DEP_2) | instskip(SKIP_1) | instid1(VALU_DEP_1)
	v_subrev_nc_u32_e32 v129, 28, v128
	v_sub_nc_u32_e32 v128, 29, v128
	v_dual_cndmask_b32 v128, v130, v128 :: v_dual_lshlrev_b32 v129, v129, v118
	v_lshlrev_b32_e32 v118, 24, v118
	s_delay_alu instid0(VALU_DEP_2) | instskip(NEXT) | instid1(VALU_DEP_3)
	v_and_b32_e32 v129, 7, v129
	v_lshl_add_u32 v128, v128, 23, 0x3b800000
	s_delay_alu instid0(VALU_DEP_3) | instskip(NEXT) | instid1(VALU_DEP_3)
	v_and_b32_e32 v118, 0x80000000, v118
	v_cndmask_b32_e32 v98, v98, v129, vcc_lo
	s_delay_alu instid0(VALU_DEP_1) | instskip(NEXT) | instid1(VALU_DEP_1)
	v_lshlrev_b32_e32 v98, 20, v98
	v_or3_b32 v98, v118, v128, v98
.LBB4_5320:                             ;   in Loop: Header=BB4_4934 Depth=2
	s_or_b32 exec_lo, exec_lo, s23
	s_delay_alu instid0(VALU_DEP_1) | instskip(NEXT) | instid1(VALU_DEP_1)
	v_add_f32_e32 v118, v119, v98
	v_and_b32_e32 v98, 0x7f800000, v118
	s_delay_alu instid0(VALU_DEP_1)
	v_cmp_ne_u32_e32 vcc_lo, 0x7f800000, v98
	v_mov_b32_e32 v98, 0x80
	s_and_saveexec_b32 s23, vcc_lo
	s_cbranch_execz .LBB4_5328
; %bb.5321:                             ;   in Loop: Header=BB4_4934 Depth=2
	v_mov_b32_e32 v98, 0
	s_mov_b32 s24, exec_lo
	v_cmpx_ne_u32_e32 0, v118
	s_cbranch_execz .LBB4_5327
; %bb.5322:                             ;   in Loop: Header=BB4_4934 Depth=2
	v_bfe_u32 v98, v118, 23, 8
	s_delay_alu instid0(VALU_DEP_1) | instskip(SKIP_1) | instid1(VALU_DEP_2)
	v_sub_nc_u32_e32 v128, 0x78, v98
	v_cmp_gt_u32_e32 vcc_lo, 0x79, v98
	v_dual_cndmask_b32 v128, 0, v128 :: v_dual_and_b32 v119, 0x7fffff, v118
	s_delay_alu instid0(VALU_DEP_1) | instskip(SKIP_2) | instid1(VALU_DEP_4)
	v_or_b32_e32 v129, 0x800000, v119
	v_cmp_eq_u32_e32 vcc_lo, 0, v98
	v_add_nc_u32_e32 v98, 0xffffff89, v98
	v_cndmask_b32_e64 v128, v128, 0x77, vcc_lo
	s_delay_alu instid0(VALU_DEP_4) | instskip(NEXT) | instid1(VALU_DEP_3)
	v_cndmask_b32_e32 v119, v129, v119, vcc_lo
	v_cndmask_b32_e64 v98, v98, 0xffffff8a, vcc_lo
	s_delay_alu instid0(VALU_DEP_3) | instskip(NEXT) | instid1(VALU_DEP_3)
	v_lshl_add_u32 v129, 0x100000, v128, -1
	v_lshrrev_b32_e32 v130, v128, v119
	v_lshlrev_b32_e64 v132, v128, 0x80000
	s_delay_alu instid0(VALU_DEP_4) | instskip(NEXT) | instid1(VALU_DEP_4)
	v_add_nc_u32_e32 v128, v128, v98
	v_and_b32_e32 v119, v129, v119
	s_delay_alu instid0(VALU_DEP_4) | instskip(NEXT) | instid1(VALU_DEP_2)
	v_bfe_u32 v131, v130, 20, 1
	v_cmp_eq_u32_e64 s7, v119, v132
	s_delay_alu instid0(VALU_DEP_2) | instskip(NEXT) | instid1(VALU_DEP_1)
	v_add_nc_u32_e32 v129, -1, v131
	v_cndmask_b32_e64 v119, 0, v129, s7
	v_lshrrev_b32_e32 v129, 23, v130
	s_mov_b32 s7, exec_lo
	s_delay_alu instid0(VALU_DEP_2) | instskip(NEXT) | instid1(VALU_DEP_2)
	v_add_nc_u32_e32 v119, v119, v130
	v_xor_b32_e32 v129, 1, v129
	s_delay_alu instid0(VALU_DEP_2) | instskip(NEXT) | instid1(VALU_DEP_1)
	v_and_b32_e32 v98, 0xfffff, v119
	v_add_nc_u32_e32 v119, v98, v130
                                        ; implicit-def: $vgpr98
	s_delay_alu instid0(VALU_DEP_3)
	v_cmpx_ne_u32_e64 v128, v129
	s_xor_b32 s7, exec_lo, s7
; %bb.5323:                             ;   in Loop: Header=BB4_4934 Depth=2
	s_delay_alu instid0(VALU_DEP_2) | instskip(SKIP_2) | instid1(VALU_DEP_2)
	v_cmp_lt_u32_e32 vcc_lo, 0xffffff, v119
	v_sub_nc_u32_e32 v98, v128, v129
	v_cndmask_b32_e64 v128, 0, 1, vcc_lo
	v_add_co_ci_u32_e32 v98, vcc_lo, 0, v98, vcc_lo
	s_delay_alu instid0(VALU_DEP_2)
	v_lshrrev_b32_e32 v119, v128, v119
; %bb.5324:                             ;   in Loop: Header=BB4_4934 Depth=2
	s_and_not1_saveexec_b32 s7, s7
; %bb.5325:                             ;   in Loop: Header=BB4_4934 Depth=2
	s_delay_alu instid0(VALU_DEP_1)
	v_bfe_u32 v98, v119, 23, 1
; %bb.5326:                             ;   in Loop: Header=BB4_4934 Depth=2
	s_or_b32 exec_lo, exec_lo, s7
	v_lshrrev_b32_e32 v119, 20, v119
	s_delay_alu instid0(VALU_DEP_2) | instskip(SKIP_2) | instid1(VALU_DEP_2)
	v_cmp_gt_i32_e32 vcc_lo, 16, v98
	v_lshrrev_b32_e32 v118, 24, v118
	v_min_i32_e32 v128, 15, v98
	v_dual_cndmask_b32 v119, 7, v119 :: v_dual_and_b32 v118, 0x80, v118
	s_delay_alu instid0(VALU_DEP_2) | instskip(NEXT) | instid1(VALU_DEP_2)
	v_lshlrev_b32_e32 v128, 3, v128
	v_or_b32_e32 v98, v98, v119
	s_delay_alu instid0(VALU_DEP_1) | instskip(SKIP_1) | instid1(VALU_DEP_1)
	v_cmp_ne_u32_e32 vcc_lo, 0, v98
	v_and_b32_e32 v129, 7, v119
	v_or3_b32 v118, v128, v118, v129
	s_delay_alu instid0(VALU_DEP_1)
	v_cndmask_b32_e32 v98, 0, v118, vcc_lo
.LBB4_5327:                             ;   in Loop: Header=BB4_4934 Depth=2
	s_or_b32 exec_lo, exec_lo, s24
.LBB4_5328:                             ;   in Loop: Header=BB4_4934 Depth=2
	s_delay_alu instid0(SALU_CYCLE_1) | instskip(SKIP_3) | instid1(VALU_DEP_1)
	s_or_b32 exec_lo, exec_lo, s23
	v_and_b32_e32 v119, 0xff, v96
	s_mov_b32 s7, 0
	s_mov_b32 s24, exec_lo
                                        ; implicit-def: $sgpr23
	v_cmpx_lt_i16_e32 0x7f, v119
	s_xor_b32 s24, exec_lo, s24
	s_cbranch_execnz .LBB4_5553
; %bb.5329:                             ;   in Loop: Header=BB4_4934 Depth=2
	s_or_saveexec_b32 s24, s24
	v_mov_b32_e32 v118, s23
	s_xor_b32 exec_lo, exec_lo, s24
	s_cbranch_execnz .LBB4_5556
.LBB4_5330:                             ;   in Loop: Header=BB4_4934 Depth=2
	s_or_b32 exec_lo, exec_lo, s24
	s_and_saveexec_b32 s23, s7
	s_cbranch_execz .LBB4_5332
.LBB4_5331:                             ;   in Loop: Header=BB4_4934 Depth=2
	v_lshrrev_b16 v129, 3, v96
	s_delay_alu instid0(VALU_DEP_1) | instskip(NEXT) | instid1(VALU_DEP_1)
	v_and_b32_e32 v129, 15, v129
	v_cmp_eq_u32_e32 vcc_lo, 0, v129
	v_and_b32_e32 v118, 7, v96
	s_delay_alu instid0(VALU_DEP_1) | instskip(NEXT) | instid1(VALU_DEP_1)
	v_clz_i32_u32_e32 v119, v118
	v_min_u32_e32 v119, 32, v119
	s_delay_alu instid0(VALU_DEP_1) | instskip(SKIP_1) | instid1(VALU_DEP_1)
	v_subrev_nc_u32_e32 v128, 28, v119
	v_sub_nc_u32_e32 v119, 29, v119
	v_dual_cndmask_b32 v119, v129, v119 :: v_dual_lshlrev_b32 v128, v128, v96
	v_lshlrev_b32_e32 v96, 24, v96
	s_delay_alu instid0(VALU_DEP_2) | instskip(NEXT) | instid1(VALU_DEP_3)
	v_and_b32_e32 v128, 7, v128
	v_lshl_add_u32 v119, v119, 23, 0x3b800000
	s_delay_alu instid0(VALU_DEP_3) | instskip(NEXT) | instid1(VALU_DEP_3)
	v_and_b32_e32 v96, 0x80000000, v96
	v_cndmask_b32_e32 v118, v118, v128, vcc_lo
	s_delay_alu instid0(VALU_DEP_1) | instskip(NEXT) | instid1(VALU_DEP_1)
	v_lshlrev_b32_e32 v118, 20, v118
	v_or3_b32 v118, v96, v119, v118
.LBB4_5332:                             ;   in Loop: Header=BB4_4934 Depth=2
	s_or_b32 exec_lo, exec_lo, s23
	s_waitcnt vmcnt(3) lgkmcnt(3)
	v_and_b32_e32 v119, 0xff, v113
	s_mov_b32 s7, 0
	s_mov_b32 s24, exec_lo
                                        ; implicit-def: $sgpr23
	s_delay_alu instid0(VALU_DEP_1)
	v_cmpx_lt_i16_e32 0x7f, v119
	s_xor_b32 s24, exec_lo, s24
	s_cbranch_execnz .LBB4_5557
; %bb.5333:                             ;   in Loop: Header=BB4_4934 Depth=2
	s_or_saveexec_b32 s24, s24
	v_mov_b32_e32 v96, s23
	s_xor_b32 exec_lo, exec_lo, s24
	s_cbranch_execnz .LBB4_5560
.LBB4_5334:                             ;   in Loop: Header=BB4_4934 Depth=2
	s_or_b32 exec_lo, exec_lo, s24
	s_and_saveexec_b32 s23, s7
	s_cbranch_execz .LBB4_5336
.LBB4_5335:                             ;   in Loop: Header=BB4_4934 Depth=2
	v_lshrrev_b16 v129, 3, v113
	s_delay_alu instid0(VALU_DEP_1) | instskip(NEXT) | instid1(VALU_DEP_1)
	v_and_b32_e32 v129, 15, v129
	v_cmp_eq_u32_e32 vcc_lo, 0, v129
	v_and_b32_e32 v96, 7, v113
	s_delay_alu instid0(VALU_DEP_1) | instskip(NEXT) | instid1(VALU_DEP_1)
	v_clz_i32_u32_e32 v119, v96
	v_min_u32_e32 v119, 32, v119
	s_delay_alu instid0(VALU_DEP_1) | instskip(SKIP_1) | instid1(VALU_DEP_1)
	v_subrev_nc_u32_e32 v128, 28, v119
	v_sub_nc_u32_e32 v119, 29, v119
	v_dual_cndmask_b32 v119, v129, v119 :: v_dual_lshlrev_b32 v128, v128, v113
	v_lshlrev_b32_e32 v113, 24, v113
	s_delay_alu instid0(VALU_DEP_2) | instskip(NEXT) | instid1(VALU_DEP_3)
	v_and_b32_e32 v128, 7, v128
	v_lshl_add_u32 v119, v119, 23, 0x3b800000
	s_delay_alu instid0(VALU_DEP_2) | instskip(NEXT) | instid1(VALU_DEP_1)
	v_dual_cndmask_b32 v96, v96, v128 :: v_dual_and_b32 v113, 0x80000000, v113
	v_lshlrev_b32_e32 v96, 20, v96
	s_delay_alu instid0(VALU_DEP_1)
	v_or3_b32 v96, v113, v119, v96
.LBB4_5336:                             ;   in Loop: Header=BB4_4934 Depth=2
	s_or_b32 exec_lo, exec_lo, s23
	s_delay_alu instid0(VALU_DEP_1) | instskip(NEXT) | instid1(VALU_DEP_1)
	v_add_f32_e32 v113, v118, v96
	v_and_b32_e32 v96, 0x7f800000, v113
	s_delay_alu instid0(VALU_DEP_1)
	v_cmp_ne_u32_e32 vcc_lo, 0x7f800000, v96
	v_mov_b32_e32 v96, 0x80
	s_and_saveexec_b32 s23, vcc_lo
	s_cbranch_execz .LBB4_5344
; %bb.5337:                             ;   in Loop: Header=BB4_4934 Depth=2
	v_mov_b32_e32 v96, 0
	s_mov_b32 s24, exec_lo
	v_cmpx_ne_u32_e32 0, v113
	s_cbranch_execz .LBB4_5343
; %bb.5338:                             ;   in Loop: Header=BB4_4934 Depth=2
	v_bfe_u32 v96, v113, 23, 8
	s_delay_alu instid0(VALU_DEP_1) | instskip(SKIP_1) | instid1(VALU_DEP_2)
	v_sub_nc_u32_e32 v119, 0x78, v96
	v_cmp_gt_u32_e32 vcc_lo, 0x79, v96
	v_dual_cndmask_b32 v119, 0, v119 :: v_dual_and_b32 v118, 0x7fffff, v113
	s_delay_alu instid0(VALU_DEP_1) | instskip(SKIP_2) | instid1(VALU_DEP_4)
	v_or_b32_e32 v128, 0x800000, v118
	v_cmp_eq_u32_e32 vcc_lo, 0, v96
	v_add_nc_u32_e32 v96, 0xffffff89, v96
	v_cndmask_b32_e64 v119, v119, 0x77, vcc_lo
	s_delay_alu instid0(VALU_DEP_2) | instskip(SKIP_1) | instid1(VALU_DEP_3)
	v_cndmask_b32_e64 v96, v96, 0xffffff8a, vcc_lo
	v_cndmask_b32_e32 v118, v128, v118, vcc_lo
	v_lshl_add_u32 v128, 0x100000, v119, -1
	v_lshlrev_b32_e64 v131, v119, 0x80000
	s_delay_alu instid0(VALU_DEP_3) | instskip(SKIP_1) | instid1(VALU_DEP_4)
	v_lshrrev_b32_e32 v129, v119, v118
	v_add_nc_u32_e32 v119, v119, v96
	v_and_b32_e32 v118, v128, v118
	s_delay_alu instid0(VALU_DEP_3) | instskip(NEXT) | instid1(VALU_DEP_2)
	v_bfe_u32 v130, v129, 20, 1
	v_cmp_eq_u32_e64 s7, v118, v131
	s_delay_alu instid0(VALU_DEP_2) | instskip(NEXT) | instid1(VALU_DEP_1)
	v_add_nc_u32_e32 v128, -1, v130
	v_cndmask_b32_e64 v118, 0, v128, s7
	v_lshrrev_b32_e32 v128, 23, v129
	s_mov_b32 s7, exec_lo
	s_delay_alu instid0(VALU_DEP_2) | instskip(NEXT) | instid1(VALU_DEP_2)
	v_add_nc_u32_e32 v118, v118, v129
	v_xor_b32_e32 v128, 1, v128
	s_delay_alu instid0(VALU_DEP_2) | instskip(NEXT) | instid1(VALU_DEP_1)
	v_and_b32_e32 v96, 0xfffff, v118
	v_add_nc_u32_e32 v118, v96, v129
                                        ; implicit-def: $vgpr96
	s_delay_alu instid0(VALU_DEP_3)
	v_cmpx_ne_u32_e64 v119, v128
	s_xor_b32 s7, exec_lo, s7
; %bb.5339:                             ;   in Loop: Header=BB4_4934 Depth=2
	s_delay_alu instid0(VALU_DEP_2) | instskip(SKIP_2) | instid1(VALU_DEP_2)
	v_cmp_lt_u32_e32 vcc_lo, 0xffffff, v118
	v_sub_nc_u32_e32 v96, v119, v128
	v_cndmask_b32_e64 v119, 0, 1, vcc_lo
	v_add_co_ci_u32_e32 v96, vcc_lo, 0, v96, vcc_lo
	s_delay_alu instid0(VALU_DEP_2)
	v_lshrrev_b32_e32 v118, v119, v118
; %bb.5340:                             ;   in Loop: Header=BB4_4934 Depth=2
	s_and_not1_saveexec_b32 s7, s7
; %bb.5341:                             ;   in Loop: Header=BB4_4934 Depth=2
	s_delay_alu instid0(VALU_DEP_1)
	v_bfe_u32 v96, v118, 23, 1
; %bb.5342:                             ;   in Loop: Header=BB4_4934 Depth=2
	s_or_b32 exec_lo, exec_lo, s7
	v_lshrrev_b32_e32 v118, 20, v118
	s_delay_alu instid0(VALU_DEP_2) | instskip(SKIP_2) | instid1(VALU_DEP_2)
	v_cmp_gt_i32_e32 vcc_lo, 16, v96
	v_lshrrev_b32_e32 v113, 24, v113
	v_min_i32_e32 v119, 15, v96
	v_dual_cndmask_b32 v118, 7, v118 :: v_dual_and_b32 v113, 0x80, v113
	s_delay_alu instid0(VALU_DEP_1) | instskip(SKIP_1) | instid1(VALU_DEP_2)
	v_or_b32_e32 v96, v96, v118
	v_and_b32_e32 v128, 7, v118
	v_cmp_ne_u32_e32 vcc_lo, 0, v96
	v_lshlrev_b32_e32 v119, 3, v119
	s_delay_alu instid0(VALU_DEP_1) | instskip(NEXT) | instid1(VALU_DEP_1)
	v_or3_b32 v113, v119, v113, v128
	v_cndmask_b32_e32 v96, 0, v113, vcc_lo
.LBB4_5343:                             ;   in Loop: Header=BB4_4934 Depth=2
	s_or_b32 exec_lo, exec_lo, s24
.LBB4_5344:                             ;   in Loop: Header=BB4_4934 Depth=2
	s_delay_alu instid0(SALU_CYCLE_1) | instskip(SKIP_3) | instid1(VALU_DEP_1)
	s_or_b32 exec_lo, exec_lo, s23
	v_and_b32_e32 v118, 0xff, v86
	s_mov_b32 s7, 0
	s_mov_b32 s24, exec_lo
                                        ; implicit-def: $sgpr23
	v_cmpx_lt_i16_e32 0x7f, v118
	s_xor_b32 s24, exec_lo, s24
	s_cbranch_execnz .LBB4_5561
; %bb.5345:                             ;   in Loop: Header=BB4_4934 Depth=2
	s_or_saveexec_b32 s24, s24
	v_mov_b32_e32 v113, s23
	s_xor_b32 exec_lo, exec_lo, s24
	s_cbranch_execnz .LBB4_5564
.LBB4_5346:                             ;   in Loop: Header=BB4_4934 Depth=2
	s_or_b32 exec_lo, exec_lo, s24
	s_and_saveexec_b32 s23, s7
	s_cbranch_execz .LBB4_5348
.LBB4_5347:                             ;   in Loop: Header=BB4_4934 Depth=2
	v_and_b32_e32 v113, 7, v86
	v_lshrrev_b16 v128, 3, v86
	s_delay_alu instid0(VALU_DEP_2) | instskip(NEXT) | instid1(VALU_DEP_1)
	v_clz_i32_u32_e32 v118, v113
	v_min_u32_e32 v118, 32, v118
	s_delay_alu instid0(VALU_DEP_1) | instskip(SKIP_1) | instid1(VALU_DEP_2)
	v_subrev_nc_u32_e32 v119, 28, v118
	v_sub_nc_u32_e32 v118, 29, v118
	v_lshlrev_b32_e32 v119, v119, v86
	v_lshlrev_b32_e32 v86, 24, v86
	s_delay_alu instid0(VALU_DEP_2) | instskip(SKIP_1) | instid1(VALU_DEP_3)
	v_and_b32_e32 v119, 7, v119
	v_and_b32_e32 v128, 15, v128
	;; [unrolled: 1-line block ×3, first 2 shown]
	s_delay_alu instid0(VALU_DEP_2) | instskip(NEXT) | instid1(VALU_DEP_4)
	v_cmp_eq_u32_e32 vcc_lo, 0, v128
	v_dual_cndmask_b32 v113, v113, v119 :: v_dual_cndmask_b32 v118, v128, v118
	s_delay_alu instid0(VALU_DEP_1) | instskip(NEXT) | instid1(VALU_DEP_2)
	v_lshlrev_b32_e32 v113, 20, v113
	v_lshl_add_u32 v118, v118, 23, 0x3b800000
	s_delay_alu instid0(VALU_DEP_1)
	v_or3_b32 v113, v86, v118, v113
.LBB4_5348:                             ;   in Loop: Header=BB4_4934 Depth=2
	s_or_b32 exec_lo, exec_lo, s23
	s_waitcnt vmcnt(2) lgkmcnt(2)
	v_and_b32_e32 v118, 0xff, v100
	s_mov_b32 s7, 0
	s_mov_b32 s24, exec_lo
                                        ; implicit-def: $sgpr23
	s_delay_alu instid0(VALU_DEP_1)
	v_cmpx_lt_i16_e32 0x7f, v118
	s_xor_b32 s24, exec_lo, s24
	s_cbranch_execnz .LBB4_5565
; %bb.5349:                             ;   in Loop: Header=BB4_4934 Depth=2
	s_or_saveexec_b32 s24, s24
	v_mov_b32_e32 v86, s23
	s_xor_b32 exec_lo, exec_lo, s24
	s_cbranch_execnz .LBB4_5568
.LBB4_5350:                             ;   in Loop: Header=BB4_4934 Depth=2
	s_or_b32 exec_lo, exec_lo, s24
	s_and_saveexec_b32 s23, s7
	s_cbranch_execz .LBB4_5352
.LBB4_5351:                             ;   in Loop: Header=BB4_4934 Depth=2
	v_and_b32_e32 v86, 7, v100
	v_lshrrev_b16 v128, 3, v100
	s_delay_alu instid0(VALU_DEP_2) | instskip(NEXT) | instid1(VALU_DEP_2)
	v_clz_i32_u32_e32 v118, v86
	v_and_b32_e32 v128, 15, v128
	s_delay_alu instid0(VALU_DEP_2) | instskip(NEXT) | instid1(VALU_DEP_2)
	v_min_u32_e32 v118, 32, v118
	v_cmp_eq_u32_e32 vcc_lo, 0, v128
	s_delay_alu instid0(VALU_DEP_2) | instskip(SKIP_1) | instid1(VALU_DEP_1)
	v_subrev_nc_u32_e32 v119, 28, v118
	v_sub_nc_u32_e32 v118, 29, v118
	v_dual_cndmask_b32 v118, v128, v118 :: v_dual_lshlrev_b32 v119, v119, v100
	v_lshlrev_b32_e32 v100, 24, v100
	s_delay_alu instid0(VALU_DEP_2) | instskip(NEXT) | instid1(VALU_DEP_3)
	v_and_b32_e32 v119, 7, v119
	v_lshl_add_u32 v118, v118, 23, 0x3b800000
	s_delay_alu instid0(VALU_DEP_3) | instskip(NEXT) | instid1(VALU_DEP_3)
	v_and_b32_e32 v100, 0x80000000, v100
	v_cndmask_b32_e32 v86, v86, v119, vcc_lo
	s_delay_alu instid0(VALU_DEP_1) | instskip(NEXT) | instid1(VALU_DEP_1)
	v_lshlrev_b32_e32 v86, 20, v86
	v_or3_b32 v86, v100, v118, v86
.LBB4_5352:                             ;   in Loop: Header=BB4_4934 Depth=2
	s_or_b32 exec_lo, exec_lo, s23
	s_delay_alu instid0(VALU_DEP_1) | instskip(NEXT) | instid1(VALU_DEP_1)
	v_add_f32_e32 v100, v113, v86
	v_and_b32_e32 v86, 0x7f800000, v100
	s_delay_alu instid0(VALU_DEP_1)
	v_cmp_ne_u32_e32 vcc_lo, 0x7f800000, v86
	v_mov_b32_e32 v86, 0x80
	s_and_saveexec_b32 s23, vcc_lo
	s_cbranch_execz .LBB4_5360
; %bb.5353:                             ;   in Loop: Header=BB4_4934 Depth=2
	v_mov_b32_e32 v86, 0
	s_mov_b32 s24, exec_lo
	v_cmpx_ne_u32_e32 0, v100
	s_cbranch_execz .LBB4_5359
; %bb.5354:                             ;   in Loop: Header=BB4_4934 Depth=2
	v_bfe_u32 v86, v100, 23, 8
	s_delay_alu instid0(VALU_DEP_1) | instskip(SKIP_1) | instid1(VALU_DEP_2)
	v_sub_nc_u32_e32 v118, 0x78, v86
	v_cmp_gt_u32_e32 vcc_lo, 0x79, v86
	v_dual_cndmask_b32 v118, 0, v118 :: v_dual_and_b32 v113, 0x7fffff, v100
	s_delay_alu instid0(VALU_DEP_1) | instskip(SKIP_2) | instid1(VALU_DEP_4)
	v_or_b32_e32 v119, 0x800000, v113
	v_cmp_eq_u32_e32 vcc_lo, 0, v86
	v_add_nc_u32_e32 v86, 0xffffff89, v86
	v_cndmask_b32_e64 v118, v118, 0x77, vcc_lo
	s_delay_alu instid0(VALU_DEP_4) | instskip(NEXT) | instid1(VALU_DEP_3)
	v_cndmask_b32_e32 v113, v119, v113, vcc_lo
	v_cndmask_b32_e64 v86, v86, 0xffffff8a, vcc_lo
	s_delay_alu instid0(VALU_DEP_3) | instskip(NEXT) | instid1(VALU_DEP_3)
	v_lshl_add_u32 v119, 0x100000, v118, -1
	v_lshrrev_b32_e32 v128, v118, v113
	v_lshlrev_b32_e64 v130, v118, 0x80000
	s_delay_alu instid0(VALU_DEP_4) | instskip(NEXT) | instid1(VALU_DEP_4)
	v_add_nc_u32_e32 v118, v118, v86
	v_and_b32_e32 v113, v119, v113
	s_delay_alu instid0(VALU_DEP_4) | instskip(NEXT) | instid1(VALU_DEP_2)
	v_bfe_u32 v129, v128, 20, 1
	v_cmp_eq_u32_e64 s7, v113, v130
	s_delay_alu instid0(VALU_DEP_2) | instskip(NEXT) | instid1(VALU_DEP_1)
	v_add_nc_u32_e32 v119, -1, v129
	v_cndmask_b32_e64 v113, 0, v119, s7
	v_lshrrev_b32_e32 v119, 23, v128
	s_mov_b32 s7, exec_lo
	s_delay_alu instid0(VALU_DEP_2) | instskip(NEXT) | instid1(VALU_DEP_2)
	v_add_nc_u32_e32 v113, v113, v128
	v_xor_b32_e32 v119, 1, v119
	s_delay_alu instid0(VALU_DEP_2) | instskip(NEXT) | instid1(VALU_DEP_1)
	v_and_b32_e32 v86, 0xfffff, v113
	v_add_nc_u32_e32 v113, v86, v128
                                        ; implicit-def: $vgpr86
	s_delay_alu instid0(VALU_DEP_3)
	v_cmpx_ne_u32_e64 v118, v119
	s_xor_b32 s7, exec_lo, s7
; %bb.5355:                             ;   in Loop: Header=BB4_4934 Depth=2
	s_delay_alu instid0(VALU_DEP_2) | instskip(SKIP_2) | instid1(VALU_DEP_2)
	v_cmp_lt_u32_e32 vcc_lo, 0xffffff, v113
	v_sub_nc_u32_e32 v86, v118, v119
	v_cndmask_b32_e64 v118, 0, 1, vcc_lo
	v_add_co_ci_u32_e32 v86, vcc_lo, 0, v86, vcc_lo
	s_delay_alu instid0(VALU_DEP_2)
	v_lshrrev_b32_e32 v113, v118, v113
; %bb.5356:                             ;   in Loop: Header=BB4_4934 Depth=2
	s_and_not1_saveexec_b32 s7, s7
; %bb.5357:                             ;   in Loop: Header=BB4_4934 Depth=2
	s_delay_alu instid0(VALU_DEP_1)
	v_bfe_u32 v86, v113, 23, 1
; %bb.5358:                             ;   in Loop: Header=BB4_4934 Depth=2
	s_or_b32 exec_lo, exec_lo, s7
	v_lshrrev_b32_e32 v113, 20, v113
	s_delay_alu instid0(VALU_DEP_2) | instskip(SKIP_2) | instid1(VALU_DEP_2)
	v_cmp_gt_i32_e32 vcc_lo, 16, v86
	v_lshrrev_b32_e32 v100, 24, v100
	v_min_i32_e32 v118, 15, v86
	v_dual_cndmask_b32 v113, 7, v113 :: v_dual_and_b32 v100, 0x80, v100
	s_delay_alu instid0(VALU_DEP_2) | instskip(NEXT) | instid1(VALU_DEP_2)
	v_lshlrev_b32_e32 v118, 3, v118
	v_or_b32_e32 v86, v86, v113
	s_delay_alu instid0(VALU_DEP_1) | instskip(SKIP_1) | instid1(VALU_DEP_1)
	v_cmp_ne_u32_e32 vcc_lo, 0, v86
	v_and_b32_e32 v119, 7, v113
	v_or3_b32 v100, v118, v100, v119
	s_delay_alu instid0(VALU_DEP_1)
	v_cndmask_b32_e32 v86, 0, v100, vcc_lo
.LBB4_5359:                             ;   in Loop: Header=BB4_4934 Depth=2
	s_or_b32 exec_lo, exec_lo, s24
.LBB4_5360:                             ;   in Loop: Header=BB4_4934 Depth=2
	s_delay_alu instid0(SALU_CYCLE_1) | instskip(SKIP_3) | instid1(VALU_DEP_1)
	s_or_b32 exec_lo, exec_lo, s23
	v_and_b32_e32 v113, 0xff, v85
	s_mov_b32 s7, 0
	s_mov_b32 s24, exec_lo
                                        ; implicit-def: $sgpr23
	v_cmpx_lt_i16_e32 0x7f, v113
	s_xor_b32 s24, exec_lo, s24
	s_cbranch_execnz .LBB4_5569
; %bb.5361:                             ;   in Loop: Header=BB4_4934 Depth=2
	s_or_saveexec_b32 s24, s24
	v_mov_b32_e32 v100, s23
	s_xor_b32 exec_lo, exec_lo, s24
	s_cbranch_execnz .LBB4_5572
.LBB4_5362:                             ;   in Loop: Header=BB4_4934 Depth=2
	s_or_b32 exec_lo, exec_lo, s24
	s_and_saveexec_b32 s23, s7
	s_cbranch_execz .LBB4_5364
.LBB4_5363:                             ;   in Loop: Header=BB4_4934 Depth=2
	v_and_b32_e32 v100, 7, v85
	v_lshrrev_b16 v119, 3, v85
	s_delay_alu instid0(VALU_DEP_2) | instskip(NEXT) | instid1(VALU_DEP_1)
	v_clz_i32_u32_e32 v113, v100
	v_min_u32_e32 v113, 32, v113
	s_delay_alu instid0(VALU_DEP_1) | instskip(SKIP_1) | instid1(VALU_DEP_2)
	v_subrev_nc_u32_e32 v118, 28, v113
	v_sub_nc_u32_e32 v113, 29, v113
	v_lshlrev_b32_e32 v118, v118, v85
	v_lshlrev_b32_e32 v85, 24, v85
	s_delay_alu instid0(VALU_DEP_2) | instskip(SKIP_1) | instid1(VALU_DEP_3)
	v_and_b32_e32 v118, 7, v118
	v_and_b32_e32 v119, 15, v119
	;; [unrolled: 1-line block ×3, first 2 shown]
	s_delay_alu instid0(VALU_DEP_2) | instskip(NEXT) | instid1(VALU_DEP_4)
	v_cmp_eq_u32_e32 vcc_lo, 0, v119
	v_dual_cndmask_b32 v100, v100, v118 :: v_dual_cndmask_b32 v113, v119, v113
	s_delay_alu instid0(VALU_DEP_1) | instskip(NEXT) | instid1(VALU_DEP_2)
	v_lshlrev_b32_e32 v100, 20, v100
	v_lshl_add_u32 v113, v113, 23, 0x3b800000
	s_delay_alu instid0(VALU_DEP_1)
	v_or3_b32 v100, v85, v113, v100
.LBB4_5364:                             ;   in Loop: Header=BB4_4934 Depth=2
	s_or_b32 exec_lo, exec_lo, s23
	s_waitcnt vmcnt(1) lgkmcnt(1)
	v_and_b32_e32 v113, 0xff, v87
	s_mov_b32 s7, 0
	s_mov_b32 s24, exec_lo
                                        ; implicit-def: $sgpr23
	s_delay_alu instid0(VALU_DEP_1)
	v_cmpx_lt_i16_e32 0x7f, v113
	s_xor_b32 s24, exec_lo, s24
	s_cbranch_execnz .LBB4_5573
; %bb.5365:                             ;   in Loop: Header=BB4_4934 Depth=2
	s_or_saveexec_b32 s24, s24
	v_mov_b32_e32 v85, s23
	s_xor_b32 exec_lo, exec_lo, s24
	s_cbranch_execnz .LBB4_5576
.LBB4_5366:                             ;   in Loop: Header=BB4_4934 Depth=2
	s_or_b32 exec_lo, exec_lo, s24
	s_and_saveexec_b32 s23, s7
	s_cbranch_execz .LBB4_5368
.LBB4_5367:                             ;   in Loop: Header=BB4_4934 Depth=2
	v_and_b32_e32 v85, 7, v87
	v_lshrrev_b16 v119, 3, v87
	s_delay_alu instid0(VALU_DEP_2) | instskip(NEXT) | instid1(VALU_DEP_2)
	v_clz_i32_u32_e32 v113, v85
	v_and_b32_e32 v119, 15, v119
	s_delay_alu instid0(VALU_DEP_2) | instskip(NEXT) | instid1(VALU_DEP_2)
	v_min_u32_e32 v113, 32, v113
	v_cmp_eq_u32_e32 vcc_lo, 0, v119
	s_delay_alu instid0(VALU_DEP_2) | instskip(SKIP_1) | instid1(VALU_DEP_1)
	v_subrev_nc_u32_e32 v118, 28, v113
	v_sub_nc_u32_e32 v113, 29, v113
	v_dual_cndmask_b32 v113, v119, v113 :: v_dual_lshlrev_b32 v118, v118, v87
	v_lshlrev_b32_e32 v87, 24, v87
	s_delay_alu instid0(VALU_DEP_2) | instskip(NEXT) | instid1(VALU_DEP_3)
	v_and_b32_e32 v118, 7, v118
	v_lshl_add_u32 v113, v113, 23, 0x3b800000
	s_delay_alu instid0(VALU_DEP_3) | instskip(NEXT) | instid1(VALU_DEP_3)
	v_and_b32_e32 v87, 0x80000000, v87
	v_cndmask_b32_e32 v85, v85, v118, vcc_lo
	s_delay_alu instid0(VALU_DEP_1) | instskip(NEXT) | instid1(VALU_DEP_1)
	v_lshlrev_b32_e32 v85, 20, v85
	v_or3_b32 v85, v87, v113, v85
.LBB4_5368:                             ;   in Loop: Header=BB4_4934 Depth=2
	s_or_b32 exec_lo, exec_lo, s23
	s_delay_alu instid0(VALU_DEP_1) | instskip(NEXT) | instid1(VALU_DEP_1)
	v_add_f32_e32 v87, v100, v85
	v_and_b32_e32 v85, 0x7f800000, v87
	s_delay_alu instid0(VALU_DEP_1)
	v_cmp_ne_u32_e32 vcc_lo, 0x7f800000, v85
	v_mov_b32_e32 v85, 0x80
	s_and_saveexec_b32 s23, vcc_lo
	s_cbranch_execz .LBB4_5376
; %bb.5369:                             ;   in Loop: Header=BB4_4934 Depth=2
	v_mov_b32_e32 v85, 0
	s_mov_b32 s24, exec_lo
	v_cmpx_ne_u32_e32 0, v87
	s_cbranch_execz .LBB4_5375
; %bb.5370:                             ;   in Loop: Header=BB4_4934 Depth=2
	v_bfe_u32 v85, v87, 23, 8
	s_delay_alu instid0(VALU_DEP_1) | instskip(SKIP_1) | instid1(VALU_DEP_2)
	v_sub_nc_u32_e32 v113, 0x78, v85
	v_cmp_gt_u32_e32 vcc_lo, 0x79, v85
	v_dual_cndmask_b32 v113, 0, v113 :: v_dual_and_b32 v100, 0x7fffff, v87
	s_delay_alu instid0(VALU_DEP_1) | instskip(SKIP_2) | instid1(VALU_DEP_4)
	v_or_b32_e32 v118, 0x800000, v100
	v_cmp_eq_u32_e32 vcc_lo, 0, v85
	v_add_nc_u32_e32 v85, 0xffffff89, v85
	v_cndmask_b32_e64 v113, v113, 0x77, vcc_lo
	s_delay_alu instid0(VALU_DEP_4) | instskip(NEXT) | instid1(VALU_DEP_3)
	v_cndmask_b32_e32 v100, v118, v100, vcc_lo
	v_cndmask_b32_e64 v85, v85, 0xffffff8a, vcc_lo
	s_delay_alu instid0(VALU_DEP_3) | instskip(NEXT) | instid1(VALU_DEP_3)
	v_lshl_add_u32 v118, 0x100000, v113, -1
	v_lshrrev_b32_e32 v119, v113, v100
	v_lshlrev_b32_e64 v129, v113, 0x80000
	s_delay_alu instid0(VALU_DEP_4) | instskip(NEXT) | instid1(VALU_DEP_4)
	v_add_nc_u32_e32 v113, v113, v85
	v_and_b32_e32 v100, v118, v100
	s_delay_alu instid0(VALU_DEP_4) | instskip(NEXT) | instid1(VALU_DEP_2)
	v_bfe_u32 v128, v119, 20, 1
	v_cmp_eq_u32_e64 s7, v100, v129
	s_delay_alu instid0(VALU_DEP_2) | instskip(NEXT) | instid1(VALU_DEP_1)
	v_add_nc_u32_e32 v118, -1, v128
	v_cndmask_b32_e64 v100, 0, v118, s7
	v_lshrrev_b32_e32 v118, 23, v119
	s_mov_b32 s7, exec_lo
	s_delay_alu instid0(VALU_DEP_2) | instskip(NEXT) | instid1(VALU_DEP_2)
	v_add_nc_u32_e32 v100, v100, v119
	v_xor_b32_e32 v118, 1, v118
	s_delay_alu instid0(VALU_DEP_2) | instskip(NEXT) | instid1(VALU_DEP_1)
	v_and_b32_e32 v85, 0xfffff, v100
	v_add_nc_u32_e32 v100, v85, v119
                                        ; implicit-def: $vgpr85
	s_delay_alu instid0(VALU_DEP_3)
	v_cmpx_ne_u32_e64 v113, v118
	s_xor_b32 s7, exec_lo, s7
; %bb.5371:                             ;   in Loop: Header=BB4_4934 Depth=2
	s_delay_alu instid0(VALU_DEP_2) | instskip(SKIP_2) | instid1(VALU_DEP_2)
	v_cmp_lt_u32_e32 vcc_lo, 0xffffff, v100
	v_sub_nc_u32_e32 v85, v113, v118
	v_cndmask_b32_e64 v113, 0, 1, vcc_lo
	v_add_co_ci_u32_e32 v85, vcc_lo, 0, v85, vcc_lo
	s_delay_alu instid0(VALU_DEP_2)
	v_lshrrev_b32_e32 v100, v113, v100
; %bb.5372:                             ;   in Loop: Header=BB4_4934 Depth=2
	s_and_not1_saveexec_b32 s7, s7
; %bb.5373:                             ;   in Loop: Header=BB4_4934 Depth=2
	s_delay_alu instid0(VALU_DEP_1)
	v_bfe_u32 v85, v100, 23, 1
; %bb.5374:                             ;   in Loop: Header=BB4_4934 Depth=2
	s_or_b32 exec_lo, exec_lo, s7
	v_lshrrev_b32_e32 v100, 20, v100
	s_delay_alu instid0(VALU_DEP_2) | instskip(SKIP_2) | instid1(VALU_DEP_2)
	v_cmp_gt_i32_e32 vcc_lo, 16, v85
	v_lshrrev_b32_e32 v87, 24, v87
	v_min_i32_e32 v113, 15, v85
	v_dual_cndmask_b32 v100, 7, v100 :: v_dual_and_b32 v87, 0x80, v87
	s_delay_alu instid0(VALU_DEP_2) | instskip(NEXT) | instid1(VALU_DEP_2)
	v_lshlrev_b32_e32 v113, 3, v113
	v_or_b32_e32 v85, v85, v100
	s_delay_alu instid0(VALU_DEP_1) | instskip(SKIP_1) | instid1(VALU_DEP_1)
	v_cmp_ne_u32_e32 vcc_lo, 0, v85
	v_and_b32_e32 v118, 7, v100
	v_or3_b32 v87, v113, v87, v118
	s_delay_alu instid0(VALU_DEP_1)
	v_cndmask_b32_e32 v85, 0, v87, vcc_lo
.LBB4_5375:                             ;   in Loop: Header=BB4_4934 Depth=2
	s_or_b32 exec_lo, exec_lo, s24
.LBB4_5376:                             ;   in Loop: Header=BB4_4934 Depth=2
	s_delay_alu instid0(SALU_CYCLE_1) | instskip(SKIP_3) | instid1(VALU_DEP_1)
	s_or_b32 exec_lo, exec_lo, s23
	v_and_b32_e32 v100, 0xff, v17
	s_mov_b32 s7, 0
	s_mov_b32 s24, exec_lo
                                        ; implicit-def: $sgpr23
	v_cmpx_lt_i16_e32 0x7f, v100
	s_xor_b32 s24, exec_lo, s24
	s_cbranch_execnz .LBB4_5577
; %bb.5377:                             ;   in Loop: Header=BB4_4934 Depth=2
	s_or_saveexec_b32 s24, s24
	v_mov_b32_e32 v87, s23
	s_xor_b32 exec_lo, exec_lo, s24
	s_cbranch_execnz .LBB4_5580
.LBB4_5378:                             ;   in Loop: Header=BB4_4934 Depth=2
	s_or_b32 exec_lo, exec_lo, s24
	s_and_saveexec_b32 s23, s7
	s_cbranch_execz .LBB4_5380
.LBB4_5379:                             ;   in Loop: Header=BB4_4934 Depth=2
	v_lshrrev_b16 v118, 3, v17
	s_delay_alu instid0(VALU_DEP_1) | instskip(NEXT) | instid1(VALU_DEP_1)
	v_and_b32_e32 v118, 15, v118
	v_cmp_eq_u32_e32 vcc_lo, 0, v118
	v_and_b32_e32 v87, 7, v17
	s_delay_alu instid0(VALU_DEP_1) | instskip(NEXT) | instid1(VALU_DEP_1)
	v_clz_i32_u32_e32 v100, v87
	v_min_u32_e32 v100, 32, v100
	s_delay_alu instid0(VALU_DEP_1) | instskip(SKIP_1) | instid1(VALU_DEP_1)
	v_subrev_nc_u32_e32 v113, 28, v100
	v_sub_nc_u32_e32 v100, 29, v100
	v_dual_cndmask_b32 v100, v118, v100 :: v_dual_lshlrev_b32 v113, v113, v17
	v_lshlrev_b32_e32 v17, 24, v17
	s_delay_alu instid0(VALU_DEP_2) | instskip(NEXT) | instid1(VALU_DEP_3)
	v_and_b32_e32 v113, 7, v113
	v_lshl_add_u32 v100, v100, 23, 0x3b800000
	s_delay_alu instid0(VALU_DEP_3) | instskip(NEXT) | instid1(VALU_DEP_3)
	v_and_b32_e32 v17, 0x80000000, v17
	v_cndmask_b32_e32 v87, v87, v113, vcc_lo
	s_delay_alu instid0(VALU_DEP_1) | instskip(NEXT) | instid1(VALU_DEP_1)
	v_lshlrev_b32_e32 v87, 20, v87
	v_or3_b32 v87, v17, v100, v87
.LBB4_5380:                             ;   in Loop: Header=BB4_4934 Depth=2
	s_or_b32 exec_lo, exec_lo, s23
	s_waitcnt vmcnt(0) lgkmcnt(0)
	v_and_b32_e32 v100, 0xff, v16
	s_mov_b32 s7, 0
	s_mov_b32 s24, exec_lo
                                        ; implicit-def: $sgpr23
	s_delay_alu instid0(VALU_DEP_1)
	v_cmpx_lt_i16_e32 0x7f, v100
	s_xor_b32 s24, exec_lo, s24
	s_cbranch_execnz .LBB4_5581
; %bb.5381:                             ;   in Loop: Header=BB4_4934 Depth=2
	s_or_saveexec_b32 s24, s24
	v_mov_b32_e32 v17, s23
	s_xor_b32 exec_lo, exec_lo, s24
	s_cbranch_execnz .LBB4_5584
.LBB4_5382:                             ;   in Loop: Header=BB4_4934 Depth=2
	s_or_b32 exec_lo, exec_lo, s24
	s_and_saveexec_b32 s23, s7
	s_cbranch_execz .LBB4_5384
.LBB4_5383:                             ;   in Loop: Header=BB4_4934 Depth=2
	v_and_b32_e32 v17, 7, v16
	v_lshrrev_b16 v118, 3, v16
	s_delay_alu instid0(VALU_DEP_2) | instskip(NEXT) | instid1(VALU_DEP_1)
	v_clz_i32_u32_e32 v100, v17
	v_min_u32_e32 v100, 32, v100
	s_delay_alu instid0(VALU_DEP_1) | instskip(SKIP_1) | instid1(VALU_DEP_2)
	v_subrev_nc_u32_e32 v113, 28, v100
	v_sub_nc_u32_e32 v100, 29, v100
	v_lshlrev_b32_e32 v113, v113, v16
	v_lshlrev_b32_e32 v16, 24, v16
	s_delay_alu instid0(VALU_DEP_2) | instskip(SKIP_1) | instid1(VALU_DEP_3)
	v_and_b32_e32 v113, 7, v113
	v_and_b32_e32 v118, 15, v118
	;; [unrolled: 1-line block ×3, first 2 shown]
	s_delay_alu instid0(VALU_DEP_2) | instskip(NEXT) | instid1(VALU_DEP_4)
	v_cmp_eq_u32_e32 vcc_lo, 0, v118
	v_dual_cndmask_b32 v17, v17, v113 :: v_dual_cndmask_b32 v100, v118, v100
	s_delay_alu instid0(VALU_DEP_1) | instskip(NEXT) | instid1(VALU_DEP_2)
	v_lshlrev_b32_e32 v17, 20, v17
	v_lshl_add_u32 v100, v100, 23, 0x3b800000
	s_delay_alu instid0(VALU_DEP_1)
	v_or3_b32 v17, v16, v100, v17
.LBB4_5384:                             ;   in Loop: Header=BB4_4934 Depth=2
	s_or_b32 exec_lo, exec_lo, s23
	s_delay_alu instid0(VALU_DEP_1) | instskip(NEXT) | instid1(VALU_DEP_1)
	v_add_f32_e32 v17, v87, v17
	v_and_b32_e32 v16, 0x7f800000, v17
	s_delay_alu instid0(VALU_DEP_1)
	v_cmp_ne_u32_e32 vcc_lo, 0x7f800000, v16
	v_mov_b32_e32 v16, 0x80
	s_and_saveexec_b32 s23, vcc_lo
	s_cbranch_execz .LBB4_5392
; %bb.5385:                             ;   in Loop: Header=BB4_4934 Depth=2
	v_mov_b32_e32 v16, 0
	s_mov_b32 s24, exec_lo
	v_cmpx_ne_u32_e32 0, v17
	s_cbranch_execz .LBB4_5391
; %bb.5386:                             ;   in Loop: Header=BB4_4934 Depth=2
	v_bfe_u32 v16, v17, 23, 8
	s_delay_alu instid0(VALU_DEP_1) | instskip(SKIP_1) | instid1(VALU_DEP_2)
	v_sub_nc_u32_e32 v100, 0x78, v16
	v_cmp_gt_u32_e32 vcc_lo, 0x79, v16
	v_dual_cndmask_b32 v100, 0, v100 :: v_dual_and_b32 v87, 0x7fffff, v17
	s_delay_alu instid0(VALU_DEP_1) | instskip(SKIP_2) | instid1(VALU_DEP_4)
	v_or_b32_e32 v113, 0x800000, v87
	v_cmp_eq_u32_e32 vcc_lo, 0, v16
	v_add_nc_u32_e32 v16, 0xffffff89, v16
	v_cndmask_b32_e64 v100, v100, 0x77, vcc_lo
	s_delay_alu instid0(VALU_DEP_4) | instskip(NEXT) | instid1(VALU_DEP_3)
	v_cndmask_b32_e32 v87, v113, v87, vcc_lo
	v_cndmask_b32_e64 v16, v16, 0xffffff8a, vcc_lo
	s_delay_alu instid0(VALU_DEP_3) | instskip(NEXT) | instid1(VALU_DEP_3)
	v_lshl_add_u32 v113, 0x100000, v100, -1
	v_lshrrev_b32_e32 v118, v100, v87
	v_lshlrev_b32_e64 v128, v100, 0x80000
	s_delay_alu instid0(VALU_DEP_4) | instskip(NEXT) | instid1(VALU_DEP_4)
	v_add_nc_u32_e32 v100, v100, v16
	v_and_b32_e32 v87, v113, v87
	s_delay_alu instid0(VALU_DEP_4) | instskip(NEXT) | instid1(VALU_DEP_2)
	v_bfe_u32 v119, v118, 20, 1
	v_cmp_eq_u32_e64 s7, v87, v128
	s_delay_alu instid0(VALU_DEP_2) | instskip(NEXT) | instid1(VALU_DEP_1)
	v_add_nc_u32_e32 v113, -1, v119
	v_cndmask_b32_e64 v87, 0, v113, s7
	v_lshrrev_b32_e32 v113, 23, v118
	s_mov_b32 s7, exec_lo
	s_delay_alu instid0(VALU_DEP_2) | instskip(NEXT) | instid1(VALU_DEP_2)
	v_add_nc_u32_e32 v87, v87, v118
	v_xor_b32_e32 v113, 1, v113
	s_delay_alu instid0(VALU_DEP_2) | instskip(NEXT) | instid1(VALU_DEP_1)
	v_and_b32_e32 v16, 0xfffff, v87
	v_add_nc_u32_e32 v87, v16, v118
                                        ; implicit-def: $vgpr16
	s_delay_alu instid0(VALU_DEP_3)
	v_cmpx_ne_u32_e64 v100, v113
	s_xor_b32 s7, exec_lo, s7
; %bb.5387:                             ;   in Loop: Header=BB4_4934 Depth=2
	s_delay_alu instid0(VALU_DEP_2) | instskip(SKIP_2) | instid1(VALU_DEP_2)
	v_cmp_lt_u32_e32 vcc_lo, 0xffffff, v87
	v_sub_nc_u32_e32 v16, v100, v113
	v_cndmask_b32_e64 v100, 0, 1, vcc_lo
	v_add_co_ci_u32_e32 v16, vcc_lo, 0, v16, vcc_lo
	s_delay_alu instid0(VALU_DEP_2)
	v_lshrrev_b32_e32 v87, v100, v87
; %bb.5388:                             ;   in Loop: Header=BB4_4934 Depth=2
	s_and_not1_saveexec_b32 s7, s7
; %bb.5389:                             ;   in Loop: Header=BB4_4934 Depth=2
	s_delay_alu instid0(VALU_DEP_1)
	v_bfe_u32 v16, v87, 23, 1
; %bb.5390:                             ;   in Loop: Header=BB4_4934 Depth=2
	s_or_b32 exec_lo, exec_lo, s7
	v_lshrrev_b32_e32 v87, 20, v87
	s_delay_alu instid0(VALU_DEP_2) | instskip(SKIP_2) | instid1(VALU_DEP_2)
	v_cmp_gt_i32_e32 vcc_lo, 16, v16
	v_min_i32_e32 v100, 15, v16
	v_lshrrev_b32_e32 v17, 24, v17
	v_dual_cndmask_b32 v87, 7, v87 :: v_dual_lshlrev_b32 v100, 3, v100
	s_delay_alu instid0(VALU_DEP_2) | instskip(NEXT) | instid1(VALU_DEP_2)
	v_and_b32_e32 v17, 0x80, v17
	v_or_b32_e32 v16, v16, v87
	s_delay_alu instid0(VALU_DEP_1) | instskip(SKIP_1) | instid1(VALU_DEP_1)
	v_cmp_ne_u32_e32 vcc_lo, 0, v16
	v_and_b32_e32 v113, 7, v87
	v_or3_b32 v17, v100, v17, v113
	s_delay_alu instid0(VALU_DEP_1)
	v_cndmask_b32_e32 v16, 0, v17, vcc_lo
.LBB4_5391:                             ;   in Loop: Header=BB4_4934 Depth=2
	s_or_b32 exec_lo, exec_lo, s24
.LBB4_5392:                             ;   in Loop: Header=BB4_4934 Depth=2
	s_delay_alu instid0(SALU_CYCLE_1)
	s_or_b32 exec_lo, exec_lo, s23
	v_add_co_u32 v118, vcc_lo, 0xfffffe20, v14
	v_add_co_ci_u32_e32 v119, vcc_lo, -1, v15, vcc_lo
	v_add_co_u32 v128, vcc_lo, 0xfffffe40, v14
	v_add_co_ci_u32_e32 v129, vcc_lo, -1, v15, vcc_lo
	;; [unrolled: 2-line block ×5, first 2 shown]
	flat_store_b8 v[118:119], v53 glc slc dlc
	flat_store_b8 v[128:129], v97 glc slc dlc
	;; [unrolled: 1-line block ×5, first 2 shown]
	v_add_co_u32 v116, vcc_lo, 0xfffffec0, v14
	v_add_co_ci_u32_e32 v117, vcc_lo, -1, v15, vcc_lo
	v_add_co_u32 v118, vcc_lo, 0xfffffee0, v14
	v_add_co_ci_u32_e32 v119, vcc_lo, -1, v15, vcc_lo
	;; [unrolled: 2-line block ×5, first 2 shown]
	v_add_co_u32 v100, vcc_lo, 0xffffff60, v14
	flat_store_b8 v[116:117], v115 glc slc dlc
	flat_store_b8 v[118:119], v114 glc slc dlc
	;; [unrolled: 1-line block ×5, first 2 shown]
	v_add_co_ci_u32_e32 v101, vcc_lo, -1, v15, vcc_lo
	v_add_co_u32 v102, vcc_lo, 0xffffff80, v14
	v_add_co_ci_u32_e32 v103, vcc_lo, -1, v15, vcc_lo
	v_add_co_u32 v112, vcc_lo, 0xffffffa0, v14
	;; [unrolled: 2-line block ×5, first 2 shown]
	v_sub_nc_u32_e32 v51, v51, v54
	v_add_co_ci_u32_e32 v11, vcc_lo, v11, v82, vcc_lo
	v_add_co_u32 v12, vcc_lo, v12, v81
	v_add_co_ci_u32_e32 v13, vcc_lo, v13, v82, vcc_lo
	flat_store_b8 v[100:101], v99 glc slc dlc
	flat_store_b8 v[102:103], v98 glc slc dlc
	;; [unrolled: 1-line block ×6, first 2 shown]
	v_cmp_gt_i32_e32 vcc_lo, 1, v51
	v_add_co_u32 v14, s7, v14, v81
	s_delay_alu instid0(VALU_DEP_1) | instskip(SKIP_1) | instid1(SALU_CYCLE_1)
	v_add_co_ci_u32_e64 v15, s7, v15, v82, s7
	s_or_b32 s22, vcc_lo, s22
	s_and_not1_b32 exec_lo, exec_lo, s22
	s_cbranch_execnz .LBB4_4934
	s_branch .LBB4_5585
.LBB4_5393:                             ;   in Loop: Header=BB4_4934 Depth=2
	s_mov_b32 s7, -1
	s_mov_b32 s25, exec_lo
                                        ; implicit-def: $sgpr23
	v_cmpx_eq_u16_e32 0x80, v16
; %bb.5394:                             ;   in Loop: Header=BB4_4934 Depth=2
	s_mov_b32 s23, 0x7f800001
	s_xor_b32 s7, exec_lo, -1
; %bb.5395:                             ;   in Loop: Header=BB4_4934 Depth=2
	s_or_b32 exec_lo, exec_lo, s25
	s_delay_alu instid0(SALU_CYCLE_1)
	s_and_b32 s7, s7, exec_lo
	s_or_saveexec_b32 s24, s24
	v_mov_b32_e32 v53, s23
	s_xor_b32 exec_lo, exec_lo, s24
	s_cbranch_execz .LBB4_4946
.LBB4_5396:                             ;   in Loop: Header=BB4_4934 Depth=2
	v_cmp_ne_u16_e32 vcc_lo, 0, v16
	v_mov_b32_e32 v53, 0
	s_and_not1_b32 s7, s7, exec_lo
	s_and_b32 s23, vcc_lo, exec_lo
	s_delay_alu instid0(SALU_CYCLE_1)
	s_or_b32 s7, s7, s23
	s_or_b32 exec_lo, exec_lo, s24
	s_and_saveexec_b32 s23, s7
	s_cbranch_execnz .LBB4_4947
	s_branch .LBB4_4948
.LBB4_5397:                             ;   in Loop: Header=BB4_4934 Depth=2
	s_mov_b32 s7, -1
	s_mov_b32 s25, exec_lo
                                        ; implicit-def: $sgpr23
	v_cmpx_eq_u16_e32 0x80, v16
; %bb.5398:                             ;   in Loop: Header=BB4_4934 Depth=2
	s_mov_b32 s23, 0x7f800001
	s_xor_b32 s7, exec_lo, -1
; %bb.5399:                             ;   in Loop: Header=BB4_4934 Depth=2
	s_or_b32 exec_lo, exec_lo, s25
	s_delay_alu instid0(SALU_CYCLE_1)
	s_and_b32 s7, s7, exec_lo
	s_or_saveexec_b32 s24, s24
	v_mov_b32_e32 v85, s23
	s_xor_b32 exec_lo, exec_lo, s24
	s_cbranch_execz .LBB4_4958
.LBB4_5400:                             ;   in Loop: Header=BB4_4934 Depth=2
	v_cmp_ne_u16_e32 vcc_lo, 0, v16
	v_mov_b32_e32 v85, 0
	s_and_not1_b32 s7, s7, exec_lo
	s_and_b32 s23, vcc_lo, exec_lo
	s_delay_alu instid0(SALU_CYCLE_1)
	s_or_b32 s7, s7, s23
	s_or_b32 exec_lo, exec_lo, s24
	s_and_saveexec_b32 s23, s7
	s_cbranch_execnz .LBB4_4959
	s_branch .LBB4_4960
.LBB4_5401:                             ;   in Loop: Header=BB4_4934 Depth=2
	s_mov_b32 s7, -1
	s_mov_b32 s25, exec_lo
                                        ; implicit-def: $sgpr23
	v_cmpx_eq_u16_e32 0x80, v16
; %bb.5402:                             ;   in Loop: Header=BB4_4934 Depth=2
	s_mov_b32 s23, 0x7f800001
	s_xor_b32 s7, exec_lo, -1
; %bb.5403:                             ;   in Loop: Header=BB4_4934 Depth=2
	s_or_b32 exec_lo, exec_lo, s25
	s_delay_alu instid0(SALU_CYCLE_1)
	s_and_b32 s7, s7, exec_lo
	s_or_saveexec_b32 s24, s24
	v_mov_b32_e32 v85, s23
	s_xor_b32 exec_lo, exec_lo, s24
	s_cbranch_execz .LBB4_4970
.LBB4_5404:                             ;   in Loop: Header=BB4_4934 Depth=2
	v_cmp_ne_u16_e32 vcc_lo, 0, v16
	v_mov_b32_e32 v85, 0
	s_and_not1_b32 s7, s7, exec_lo
	s_and_b32 s23, vcc_lo, exec_lo
	s_delay_alu instid0(SALU_CYCLE_1)
	s_or_b32 s7, s7, s23
	s_or_b32 exec_lo, exec_lo, s24
	s_and_saveexec_b32 s23, s7
	s_cbranch_execnz .LBB4_4971
	s_branch .LBB4_4972
.LBB4_5405:                             ;   in Loop: Header=BB4_4934 Depth=2
	s_mov_b32 s7, -1
	s_mov_b32 s25, exec_lo
                                        ; implicit-def: $sgpr23
	v_cmpx_eq_u16_e32 0x80, v16
; %bb.5406:                             ;   in Loop: Header=BB4_4934 Depth=2
	s_mov_b32 s23, 0x7f800001
	s_xor_b32 s7, exec_lo, -1
; %bb.5407:                             ;   in Loop: Header=BB4_4934 Depth=2
	s_or_b32 exec_lo, exec_lo, s25
	s_delay_alu instid0(SALU_CYCLE_1)
	s_and_b32 s7, s7, exec_lo
	s_or_saveexec_b32 s24, s24
	v_mov_b32_e32 v85, s23
	s_xor_b32 exec_lo, exec_lo, s24
	s_cbranch_execz .LBB4_4982
.LBB4_5408:                             ;   in Loop: Header=BB4_4934 Depth=2
	v_cmp_ne_u16_e32 vcc_lo, 0, v16
	v_mov_b32_e32 v85, 0
	s_and_not1_b32 s7, s7, exec_lo
	s_and_b32 s23, vcc_lo, exec_lo
	s_delay_alu instid0(SALU_CYCLE_1)
	s_or_b32 s7, s7, s23
	s_or_b32 exec_lo, exec_lo, s24
	s_and_saveexec_b32 s23, s7
	s_cbranch_execnz .LBB4_4983
	s_branch .LBB4_4984
.LBB4_5409:                             ;   in Loop: Header=BB4_4934 Depth=2
	s_mov_b32 s7, -1
	s_mov_b32 s25, exec_lo
                                        ; implicit-def: $sgpr23
	v_cmpx_eq_u16_e32 0x80, v16
; %bb.5410:                             ;   in Loop: Header=BB4_4934 Depth=2
	s_mov_b32 s23, 0x7f800001
	s_xor_b32 s7, exec_lo, -1
; %bb.5411:                             ;   in Loop: Header=BB4_4934 Depth=2
	s_or_b32 exec_lo, exec_lo, s25
	s_delay_alu instid0(SALU_CYCLE_1)
	s_and_b32 s7, s7, exec_lo
	s_or_saveexec_b32 s24, s24
	v_mov_b32_e32 v85, s23
	s_xor_b32 exec_lo, exec_lo, s24
	s_cbranch_execz .LBB4_4994
.LBB4_5412:                             ;   in Loop: Header=BB4_4934 Depth=2
	v_cmp_ne_u16_e32 vcc_lo, 0, v16
	v_mov_b32_e32 v85, 0
	s_and_not1_b32 s7, s7, exec_lo
	s_and_b32 s23, vcc_lo, exec_lo
	s_delay_alu instid0(SALU_CYCLE_1)
	s_or_b32 s7, s7, s23
	s_or_b32 exec_lo, exec_lo, s24
	s_and_saveexec_b32 s23, s7
	s_cbranch_execnz .LBB4_4995
	s_branch .LBB4_4996
.LBB4_5413:                             ;   in Loop: Header=BB4_4934 Depth=2
	s_mov_b32 s7, -1
	s_mov_b32 s25, exec_lo
                                        ; implicit-def: $sgpr23
	v_cmpx_eq_u16_e32 0x80, v16
; %bb.5414:                             ;   in Loop: Header=BB4_4934 Depth=2
	s_mov_b32 s23, 0x7f800001
	s_xor_b32 s7, exec_lo, -1
; %bb.5415:                             ;   in Loop: Header=BB4_4934 Depth=2
	s_or_b32 exec_lo, exec_lo, s25
	s_delay_alu instid0(SALU_CYCLE_1)
	s_and_b32 s7, s7, exec_lo
	s_or_saveexec_b32 s24, s24
	v_mov_b32_e32 v85, s23
	s_xor_b32 exec_lo, exec_lo, s24
	s_cbranch_execz .LBB4_5006
.LBB4_5416:                             ;   in Loop: Header=BB4_4934 Depth=2
	v_cmp_ne_u16_e32 vcc_lo, 0, v16
	v_mov_b32_e32 v85, 0
	s_and_not1_b32 s7, s7, exec_lo
	s_and_b32 s23, vcc_lo, exec_lo
	s_delay_alu instid0(SALU_CYCLE_1)
	s_or_b32 s7, s7, s23
	s_or_b32 exec_lo, exec_lo, s24
	s_and_saveexec_b32 s23, s7
	s_cbranch_execnz .LBB4_5007
	s_branch .LBB4_5008
.LBB4_5417:                             ;   in Loop: Header=BB4_4934 Depth=2
	s_mov_b32 s7, -1
	s_mov_b32 s25, exec_lo
                                        ; implicit-def: $sgpr23
	v_cmpx_eq_u16_e32 0x80, v16
; %bb.5418:                             ;   in Loop: Header=BB4_4934 Depth=2
	s_mov_b32 s23, 0x7f800001
	s_xor_b32 s7, exec_lo, -1
; %bb.5419:                             ;   in Loop: Header=BB4_4934 Depth=2
	s_or_b32 exec_lo, exec_lo, s25
	s_delay_alu instid0(SALU_CYCLE_1)
	s_and_b32 s7, s7, exec_lo
	s_or_saveexec_b32 s24, s24
	v_mov_b32_e32 v85, s23
	s_xor_b32 exec_lo, exec_lo, s24
	s_cbranch_execz .LBB4_5018
.LBB4_5420:                             ;   in Loop: Header=BB4_4934 Depth=2
	v_cmp_ne_u16_e32 vcc_lo, 0, v16
	v_mov_b32_e32 v85, 0
	s_and_not1_b32 s7, s7, exec_lo
	s_and_b32 s23, vcc_lo, exec_lo
	s_delay_alu instid0(SALU_CYCLE_1)
	s_or_b32 s7, s7, s23
	s_or_b32 exec_lo, exec_lo, s24
	s_and_saveexec_b32 s23, s7
	s_cbranch_execnz .LBB4_5019
	s_branch .LBB4_5020
.LBB4_5421:                             ;   in Loop: Header=BB4_4934 Depth=2
	s_mov_b32 s7, -1
	s_mov_b32 s25, exec_lo
                                        ; implicit-def: $sgpr23
	v_cmpx_eq_u16_e32 0x80, v16
; %bb.5422:                             ;   in Loop: Header=BB4_4934 Depth=2
	s_mov_b32 s23, 0x7f800001
	s_xor_b32 s7, exec_lo, -1
; %bb.5423:                             ;   in Loop: Header=BB4_4934 Depth=2
	s_or_b32 exec_lo, exec_lo, s25
	s_delay_alu instid0(SALU_CYCLE_1)
	s_and_b32 s7, s7, exec_lo
	s_or_saveexec_b32 s24, s24
	v_mov_b32_e32 v85, s23
	s_xor_b32 exec_lo, exec_lo, s24
	s_cbranch_execz .LBB4_5030
.LBB4_5424:                             ;   in Loop: Header=BB4_4934 Depth=2
	v_cmp_ne_u16_e32 vcc_lo, 0, v16
	v_mov_b32_e32 v85, 0
	s_and_not1_b32 s7, s7, exec_lo
	s_and_b32 s23, vcc_lo, exec_lo
	s_delay_alu instid0(SALU_CYCLE_1)
	s_or_b32 s7, s7, s23
	s_or_b32 exec_lo, exec_lo, s24
	s_and_saveexec_b32 s23, s7
	s_cbranch_execnz .LBB4_5031
	s_branch .LBB4_5032
.LBB4_5425:                             ;   in Loop: Header=BB4_4934 Depth=2
	s_mov_b32 s7, -1
	s_mov_b32 s25, exec_lo
                                        ; implicit-def: $sgpr23
	v_cmpx_eq_u16_e32 0x80, v16
; %bb.5426:                             ;   in Loop: Header=BB4_4934 Depth=2
	s_mov_b32 s23, 0x7f800001
	s_xor_b32 s7, exec_lo, -1
; %bb.5427:                             ;   in Loop: Header=BB4_4934 Depth=2
	s_or_b32 exec_lo, exec_lo, s25
	s_delay_alu instid0(SALU_CYCLE_1)
	s_and_b32 s7, s7, exec_lo
	s_or_saveexec_b32 s24, s24
	v_mov_b32_e32 v85, s23
	s_xor_b32 exec_lo, exec_lo, s24
	s_cbranch_execz .LBB4_5042
.LBB4_5428:                             ;   in Loop: Header=BB4_4934 Depth=2
	v_cmp_ne_u16_e32 vcc_lo, 0, v16
	v_mov_b32_e32 v85, 0
	s_and_not1_b32 s7, s7, exec_lo
	s_and_b32 s23, vcc_lo, exec_lo
	s_delay_alu instid0(SALU_CYCLE_1)
	s_or_b32 s7, s7, s23
	s_or_b32 exec_lo, exec_lo, s24
	s_and_saveexec_b32 s23, s7
	s_cbranch_execnz .LBB4_5043
	s_branch .LBB4_5044
.LBB4_5429:                             ;   in Loop: Header=BB4_4934 Depth=2
	s_mov_b32 s7, -1
	s_mov_b32 s25, exec_lo
                                        ; implicit-def: $sgpr23
	v_cmpx_eq_u16_e32 0x80, v16
; %bb.5430:                             ;   in Loop: Header=BB4_4934 Depth=2
	s_mov_b32 s23, 0x7f800001
	s_xor_b32 s7, exec_lo, -1
; %bb.5431:                             ;   in Loop: Header=BB4_4934 Depth=2
	s_or_b32 exec_lo, exec_lo, s25
	s_delay_alu instid0(SALU_CYCLE_1)
	s_and_b32 s7, s7, exec_lo
	s_or_saveexec_b32 s24, s24
	v_mov_b32_e32 v85, s23
	s_xor_b32 exec_lo, exec_lo, s24
	s_cbranch_execz .LBB4_5054
.LBB4_5432:                             ;   in Loop: Header=BB4_4934 Depth=2
	v_cmp_ne_u16_e32 vcc_lo, 0, v16
	v_mov_b32_e32 v85, 0
	s_and_not1_b32 s7, s7, exec_lo
	s_and_b32 s23, vcc_lo, exec_lo
	s_delay_alu instid0(SALU_CYCLE_1)
	s_or_b32 s7, s7, s23
	s_or_b32 exec_lo, exec_lo, s24
	s_and_saveexec_b32 s23, s7
	s_cbranch_execnz .LBB4_5055
	s_branch .LBB4_5056
.LBB4_5433:                             ;   in Loop: Header=BB4_4934 Depth=2
	s_mov_b32 s7, -1
	s_mov_b32 s25, exec_lo
                                        ; implicit-def: $sgpr23
	v_cmpx_eq_u16_e32 0x80, v16
; %bb.5434:                             ;   in Loop: Header=BB4_4934 Depth=2
	s_mov_b32 s23, 0x7f800001
	s_xor_b32 s7, exec_lo, -1
; %bb.5435:                             ;   in Loop: Header=BB4_4934 Depth=2
	s_or_b32 exec_lo, exec_lo, s25
	s_delay_alu instid0(SALU_CYCLE_1)
	s_and_b32 s7, s7, exec_lo
	s_or_saveexec_b32 s24, s24
	v_mov_b32_e32 v85, s23
	s_xor_b32 exec_lo, exec_lo, s24
	s_cbranch_execz .LBB4_5066
.LBB4_5436:                             ;   in Loop: Header=BB4_4934 Depth=2
	v_cmp_ne_u16_e32 vcc_lo, 0, v16
	v_mov_b32_e32 v85, 0
	s_and_not1_b32 s7, s7, exec_lo
	s_and_b32 s23, vcc_lo, exec_lo
	s_delay_alu instid0(SALU_CYCLE_1)
	s_or_b32 s7, s7, s23
	s_or_b32 exec_lo, exec_lo, s24
	s_and_saveexec_b32 s23, s7
	s_cbranch_execnz .LBB4_5067
	s_branch .LBB4_5068
.LBB4_5437:                             ;   in Loop: Header=BB4_4934 Depth=2
	s_mov_b32 s7, -1
	s_mov_b32 s25, exec_lo
                                        ; implicit-def: $sgpr23
	v_cmpx_eq_u16_e32 0x80, v16
; %bb.5438:                             ;   in Loop: Header=BB4_4934 Depth=2
	s_mov_b32 s23, 0x7f800001
	s_xor_b32 s7, exec_lo, -1
; %bb.5439:                             ;   in Loop: Header=BB4_4934 Depth=2
	s_or_b32 exec_lo, exec_lo, s25
	s_delay_alu instid0(SALU_CYCLE_1)
	s_and_b32 s7, s7, exec_lo
	s_or_saveexec_b32 s24, s24
	v_mov_b32_e32 v85, s23
	s_xor_b32 exec_lo, exec_lo, s24
	s_cbranch_execz .LBB4_5078
.LBB4_5440:                             ;   in Loop: Header=BB4_4934 Depth=2
	v_cmp_ne_u16_e32 vcc_lo, 0, v16
	v_mov_b32_e32 v85, 0
	s_and_not1_b32 s7, s7, exec_lo
	s_and_b32 s23, vcc_lo, exec_lo
	s_delay_alu instid0(SALU_CYCLE_1)
	s_or_b32 s7, s7, s23
	s_or_b32 exec_lo, exec_lo, s24
	s_and_saveexec_b32 s23, s7
	s_cbranch_execnz .LBB4_5079
	s_branch .LBB4_5080
.LBB4_5441:                             ;   in Loop: Header=BB4_4934 Depth=2
	s_mov_b32 s7, -1
	s_mov_b32 s25, exec_lo
                                        ; implicit-def: $sgpr23
	v_cmpx_eq_u16_e32 0x80, v16
; %bb.5442:                             ;   in Loop: Header=BB4_4934 Depth=2
	s_mov_b32 s23, 0x7f800001
	s_xor_b32 s7, exec_lo, -1
; %bb.5443:                             ;   in Loop: Header=BB4_4934 Depth=2
	s_or_b32 exec_lo, exec_lo, s25
	s_delay_alu instid0(SALU_CYCLE_1)
	s_and_b32 s7, s7, exec_lo
	s_or_saveexec_b32 s24, s24
	v_mov_b32_e32 v85, s23
	s_xor_b32 exec_lo, exec_lo, s24
	s_cbranch_execz .LBB4_5090
.LBB4_5444:                             ;   in Loop: Header=BB4_4934 Depth=2
	v_cmp_ne_u16_e32 vcc_lo, 0, v16
	v_mov_b32_e32 v85, 0
	s_and_not1_b32 s7, s7, exec_lo
	s_and_b32 s23, vcc_lo, exec_lo
	s_delay_alu instid0(SALU_CYCLE_1)
	s_or_b32 s7, s7, s23
	s_or_b32 exec_lo, exec_lo, s24
	s_and_saveexec_b32 s23, s7
	s_cbranch_execnz .LBB4_5091
	s_branch .LBB4_5092
.LBB4_5445:                             ;   in Loop: Header=BB4_4934 Depth=2
	s_mov_b32 s7, -1
	s_mov_b32 s25, exec_lo
                                        ; implicit-def: $sgpr23
	v_cmpx_eq_u16_e32 0x80, v16
; %bb.5446:                             ;   in Loop: Header=BB4_4934 Depth=2
	s_mov_b32 s23, 0x7f800001
	s_xor_b32 s7, exec_lo, -1
; %bb.5447:                             ;   in Loop: Header=BB4_4934 Depth=2
	s_or_b32 exec_lo, exec_lo, s25
	s_delay_alu instid0(SALU_CYCLE_1)
	s_and_b32 s7, s7, exec_lo
	s_or_saveexec_b32 s24, s24
	v_mov_b32_e32 v85, s23
	s_xor_b32 exec_lo, exec_lo, s24
	s_cbranch_execz .LBB4_5102
.LBB4_5448:                             ;   in Loop: Header=BB4_4934 Depth=2
	v_cmp_ne_u16_e32 vcc_lo, 0, v16
	v_mov_b32_e32 v85, 0
	s_and_not1_b32 s7, s7, exec_lo
	s_and_b32 s23, vcc_lo, exec_lo
	s_delay_alu instid0(SALU_CYCLE_1)
	s_or_b32 s7, s7, s23
	s_or_b32 exec_lo, exec_lo, s24
	s_and_saveexec_b32 s23, s7
	s_cbranch_execnz .LBB4_5103
	s_branch .LBB4_5104
.LBB4_5449:                             ;   in Loop: Header=BB4_4934 Depth=2
	s_mov_b32 s7, -1
	s_mov_b32 s25, exec_lo
                                        ; implicit-def: $sgpr23
	v_cmpx_eq_u16_e32 0x80, v16
; %bb.5450:                             ;   in Loop: Header=BB4_4934 Depth=2
	s_mov_b32 s23, 0x7f800001
	s_xor_b32 s7, exec_lo, -1
; %bb.5451:                             ;   in Loop: Header=BB4_4934 Depth=2
	s_or_b32 exec_lo, exec_lo, s25
	s_delay_alu instid0(SALU_CYCLE_1)
	s_and_b32 s7, s7, exec_lo
	s_or_saveexec_b32 s24, s24
	v_mov_b32_e32 v85, s23
	s_xor_b32 exec_lo, exec_lo, s24
	s_cbranch_execz .LBB4_5114
.LBB4_5452:                             ;   in Loop: Header=BB4_4934 Depth=2
	v_cmp_ne_u16_e32 vcc_lo, 0, v16
	v_mov_b32_e32 v85, 0
	s_and_not1_b32 s7, s7, exec_lo
	s_and_b32 s23, vcc_lo, exec_lo
	s_delay_alu instid0(SALU_CYCLE_1)
	s_or_b32 s7, s7, s23
	s_or_b32 exec_lo, exec_lo, s24
	s_and_saveexec_b32 s23, s7
	s_cbranch_execnz .LBB4_5115
	s_branch .LBB4_5116
.LBB4_5453:                             ;   in Loop: Header=BB4_4934 Depth=2
	s_mov_b32 s7, -1
	s_mov_b32 s25, exec_lo
                                        ; implicit-def: $sgpr23
	v_cmpx_eq_u16_e32 0x80, v16
; %bb.5454:                             ;   in Loop: Header=BB4_4934 Depth=2
	s_mov_b32 s23, 0x7f800001
	s_xor_b32 s7, exec_lo, -1
; %bb.5455:                             ;   in Loop: Header=BB4_4934 Depth=2
	s_or_b32 exec_lo, exec_lo, s25
	s_delay_alu instid0(SALU_CYCLE_1)
	s_and_b32 s7, s7, exec_lo
	s_or_saveexec_b32 s24, s24
	v_mov_b32_e32 v87, s23
	s_xor_b32 exec_lo, exec_lo, s24
	s_cbranch_execz .LBB4_5126
.LBB4_5456:                             ;   in Loop: Header=BB4_4934 Depth=2
	v_cmp_ne_u16_e32 vcc_lo, 0, v16
	v_mov_b32_e32 v87, 0
	s_and_not1_b32 s7, s7, exec_lo
	s_and_b32 s23, vcc_lo, exec_lo
	s_delay_alu instid0(SALU_CYCLE_1)
	s_or_b32 s7, s7, s23
	s_or_b32 exec_lo, exec_lo, s24
	s_and_saveexec_b32 s23, s7
	s_cbranch_execnz .LBB4_5127
	s_branch .LBB4_5128
.LBB4_5457:                             ;   in Loop: Header=BB4_4934 Depth=2
	s_mov_b32 s7, -1
	s_mov_b32 s25, exec_lo
                                        ; implicit-def: $sgpr23
	v_cmpx_eq_u16_e64 0x80, v147
; %bb.5458:                             ;   in Loop: Header=BB4_4934 Depth=2
	s_mov_b32 s23, 0x7f800001
	s_xor_b32 s7, exec_lo, -1
; %bb.5459:                             ;   in Loop: Header=BB4_4934 Depth=2
	s_or_b32 exec_lo, exec_lo, s25
	s_delay_alu instid0(SALU_CYCLE_1)
	s_and_b32 s7, s7, exec_lo
                                        ; implicit-def: $vgpr147
	s_or_saveexec_b32 s24, s24
	v_mov_b32_e32 v146, s23
	s_xor_b32 exec_lo, exec_lo, s24
	s_cbranch_execz .LBB4_5138
.LBB4_5460:                             ;   in Loop: Header=BB4_4934 Depth=2
	v_cmp_ne_u16_e64 vcc_lo, 0, v147
	v_mov_b32_e32 v146, 0
	s_and_not1_b32 s7, s7, exec_lo
	s_delay_alu instid0(VALU_DEP_2) | instskip(NEXT) | instid1(SALU_CYCLE_1)
	s_and_b32 s23, vcc_lo, exec_lo
	s_or_b32 s7, s7, s23
	s_or_b32 exec_lo, exec_lo, s24
	s_and_saveexec_b32 s23, s7
	s_cbranch_execnz .LBB4_5139
	s_branch .LBB4_5140
.LBB4_5461:                             ;   in Loop: Header=BB4_4934 Depth=2
	s_mov_b32 s7, -1
	s_mov_b32 s25, exec_lo
                                        ; implicit-def: $sgpr23
	v_cmpx_eq_u16_e64 0x80, v147
; %bb.5462:                             ;   in Loop: Header=BB4_4934 Depth=2
	s_mov_b32 s23, 0x7f800001
	s_xor_b32 s7, exec_lo, -1
; %bb.5463:                             ;   in Loop: Header=BB4_4934 Depth=2
	s_or_b32 exec_lo, exec_lo, s25
	s_delay_alu instid0(SALU_CYCLE_1)
	s_and_b32 s7, s7, exec_lo
                                        ; implicit-def: $vgpr147
	s_or_saveexec_b32 s24, s24
	v_mov_b32_e32 v53, s23
	s_xor_b32 exec_lo, exec_lo, s24
	s_cbranch_execz .LBB4_5142
.LBB4_5464:                             ;   in Loop: Header=BB4_4934 Depth=2
	v_cmp_ne_u16_e64 vcc_lo, 0, v147
	v_mov_b32_e32 v53, 0
	s_and_not1_b32 s7, s7, exec_lo
	s_delay_alu instid0(VALU_DEP_2) | instskip(NEXT) | instid1(SALU_CYCLE_1)
	s_and_b32 s23, vcc_lo, exec_lo
	s_or_b32 s7, s7, s23
	s_or_b32 exec_lo, exec_lo, s24
	s_and_saveexec_b32 s23, s7
	s_cbranch_execnz .LBB4_5143
	s_branch .LBB4_5144
.LBB4_5465:                             ;   in Loop: Header=BB4_4934 Depth=2
	s_mov_b32 s7, -1
	s_mov_b32 s25, exec_lo
                                        ; implicit-def: $sgpr23
	v_cmpx_eq_u16_e64 0x80, v146
; %bb.5466:                             ;   in Loop: Header=BB4_4934 Depth=2
	s_mov_b32 s23, 0x7f800001
	s_xor_b32 s7, exec_lo, -1
; %bb.5467:                             ;   in Loop: Header=BB4_4934 Depth=2
	s_or_b32 exec_lo, exec_lo, s25
	s_delay_alu instid0(SALU_CYCLE_1)
	s_and_b32 s7, s7, exec_lo
                                        ; implicit-def: $vgpr146
	s_or_saveexec_b32 s24, s24
	v_mov_b32_e32 v145, s23
	s_xor_b32 exec_lo, exec_lo, s24
	s_cbranch_execz .LBB4_5154
.LBB4_5468:                             ;   in Loop: Header=BB4_4934 Depth=2
	v_cmp_ne_u16_e64 vcc_lo, 0, v146
	v_mov_b32_e32 v145, 0
	s_and_not1_b32 s7, s7, exec_lo
	s_delay_alu instid0(VALU_DEP_2) | instskip(NEXT) | instid1(SALU_CYCLE_1)
	s_and_b32 s23, vcc_lo, exec_lo
	s_or_b32 s7, s7, s23
	s_or_b32 exec_lo, exec_lo, s24
	s_and_saveexec_b32 s23, s7
	s_cbranch_execnz .LBB4_5155
	s_branch .LBB4_5156
.LBB4_5469:                             ;   in Loop: Header=BB4_4934 Depth=2
	s_mov_b32 s7, -1
	s_mov_b32 s25, exec_lo
                                        ; implicit-def: $sgpr23
	v_cmpx_eq_u16_e64 0x80, v146
; %bb.5470:                             ;   in Loop: Header=BB4_4934 Depth=2
	s_mov_b32 s23, 0x7f800001
	s_xor_b32 s7, exec_lo, -1
; %bb.5471:                             ;   in Loop: Header=BB4_4934 Depth=2
	s_or_b32 exec_lo, exec_lo, s25
	s_delay_alu instid0(SALU_CYCLE_1)
	s_and_b32 s7, s7, exec_lo
                                        ; implicit-def: $vgpr146
	s_or_saveexec_b32 s24, s24
	v_mov_b32_e32 v97, s23
	s_xor_b32 exec_lo, exec_lo, s24
	s_cbranch_execz .LBB4_5158
.LBB4_5472:                             ;   in Loop: Header=BB4_4934 Depth=2
	v_cmp_ne_u16_e64 vcc_lo, 0, v146
	v_mov_b32_e32 v97, 0
	s_and_not1_b32 s7, s7, exec_lo
	s_delay_alu instid0(VALU_DEP_2) | instskip(NEXT) | instid1(SALU_CYCLE_1)
	s_and_b32 s23, vcc_lo, exec_lo
	s_or_b32 s7, s7, s23
	s_or_b32 exec_lo, exec_lo, s24
	s_and_saveexec_b32 s23, s7
	s_cbranch_execnz .LBB4_5159
	s_branch .LBB4_5160
.LBB4_5473:                             ;   in Loop: Header=BB4_4934 Depth=2
	s_mov_b32 s7, -1
	s_mov_b32 s25, exec_lo
                                        ; implicit-def: $sgpr23
	v_cmpx_eq_u16_e64 0x80, v145
; %bb.5474:                             ;   in Loop: Header=BB4_4934 Depth=2
	s_mov_b32 s23, 0x7f800001
	s_xor_b32 s7, exec_lo, -1
; %bb.5475:                             ;   in Loop: Header=BB4_4934 Depth=2
	s_or_b32 exec_lo, exec_lo, s25
	s_delay_alu instid0(SALU_CYCLE_1)
	s_and_b32 s7, s7, exec_lo
                                        ; implicit-def: $vgpr145
	s_or_saveexec_b32 s24, s24
	v_mov_b32_e32 v144, s23
	s_xor_b32 exec_lo, exec_lo, s24
	s_cbranch_execz .LBB4_5170
.LBB4_5476:                             ;   in Loop: Header=BB4_4934 Depth=2
	v_cmp_ne_u16_e64 vcc_lo, 0, v145
	v_mov_b32_e32 v144, 0
	s_and_not1_b32 s7, s7, exec_lo
	s_delay_alu instid0(VALU_DEP_2) | instskip(NEXT) | instid1(SALU_CYCLE_1)
	s_and_b32 s23, vcc_lo, exec_lo
	s_or_b32 s7, s7, s23
	s_or_b32 exec_lo, exec_lo, s24
	s_and_saveexec_b32 s23, s7
	s_cbranch_execnz .LBB4_5171
	s_branch .LBB4_5172
.LBB4_5477:                             ;   in Loop: Header=BB4_4934 Depth=2
	s_mov_b32 s7, -1
	s_mov_b32 s25, exec_lo
                                        ; implicit-def: $sgpr23
	v_cmpx_eq_u16_e64 0x80, v145
; %bb.5478:                             ;   in Loop: Header=BB4_4934 Depth=2
	s_mov_b32 s23, 0x7f800001
	s_xor_b32 s7, exec_lo, -1
; %bb.5479:                             ;   in Loop: Header=BB4_4934 Depth=2
	s_or_b32 exec_lo, exec_lo, s25
	s_delay_alu instid0(SALU_CYCLE_1)
	s_and_b32 s7, s7, exec_lo
                                        ; implicit-def: $vgpr145
	s_or_saveexec_b32 s24, s24
	v_mov_b32_e32 v103, s23
	s_xor_b32 exec_lo, exec_lo, s24
	s_cbranch_execz .LBB4_5174
.LBB4_5480:                             ;   in Loop: Header=BB4_4934 Depth=2
	v_cmp_ne_u16_e64 vcc_lo, 0, v145
	v_mov_b32_e32 v103, 0
	s_and_not1_b32 s7, s7, exec_lo
	s_delay_alu instid0(VALU_DEP_2) | instskip(NEXT) | instid1(SALU_CYCLE_1)
	s_and_b32 s23, vcc_lo, exec_lo
	s_or_b32 s7, s7, s23
	s_or_b32 exec_lo, exec_lo, s24
	s_and_saveexec_b32 s23, s7
	s_cbranch_execnz .LBB4_5175
	s_branch .LBB4_5176
.LBB4_5481:                             ;   in Loop: Header=BB4_4934 Depth=2
	s_mov_b32 s7, -1
	s_mov_b32 s25, exec_lo
                                        ; implicit-def: $sgpr23
	v_cmpx_eq_u16_e64 0x80, v144
; %bb.5482:                             ;   in Loop: Header=BB4_4934 Depth=2
	s_mov_b32 s23, 0x7f800001
	s_xor_b32 s7, exec_lo, -1
; %bb.5483:                             ;   in Loop: Header=BB4_4934 Depth=2
	s_or_b32 exec_lo, exec_lo, s25
	s_delay_alu instid0(SALU_CYCLE_1)
	s_and_b32 s7, s7, exec_lo
                                        ; implicit-def: $vgpr144
	s_or_saveexec_b32 s24, s24
	v_mov_b32_e32 v135, s23
	s_xor_b32 exec_lo, exec_lo, s24
	s_cbranch_execz .LBB4_5186
.LBB4_5484:                             ;   in Loop: Header=BB4_4934 Depth=2
	v_cmp_ne_u16_e64 vcc_lo, 0, v144
	v_mov_b32_e32 v135, 0
	s_and_not1_b32 s7, s7, exec_lo
	s_delay_alu instid0(VALU_DEP_2) | instskip(NEXT) | instid1(SALU_CYCLE_1)
	s_and_b32 s23, vcc_lo, exec_lo
	s_or_b32 s7, s7, s23
	s_or_b32 exec_lo, exec_lo, s24
	s_and_saveexec_b32 s23, s7
	s_cbranch_execnz .LBB4_5187
	s_branch .LBB4_5188
.LBB4_5485:                             ;   in Loop: Header=BB4_4934 Depth=2
	s_mov_b32 s7, -1
	s_mov_b32 s25, exec_lo
                                        ; implicit-def: $sgpr23
	v_cmpx_eq_u16_e64 0x80, v144
; %bb.5486:                             ;   in Loop: Header=BB4_4934 Depth=2
	s_mov_b32 s23, 0x7f800001
	s_xor_b32 s7, exec_lo, -1
; %bb.5487:                             ;   in Loop: Header=BB4_4934 Depth=2
	s_or_b32 exec_lo, exec_lo, s25
	s_delay_alu instid0(SALU_CYCLE_1)
	s_and_b32 s7, s7, exec_lo
                                        ; implicit-def: $vgpr144
	s_or_saveexec_b32 s24, s24
	v_mov_b32_e32 v116, s23
	s_xor_b32 exec_lo, exec_lo, s24
	s_cbranch_execz .LBB4_5190
.LBB4_5488:                             ;   in Loop: Header=BB4_4934 Depth=2
	v_cmp_ne_u16_e64 vcc_lo, 0, v144
	v_mov_b32_e32 v116, 0
	s_and_not1_b32 s7, s7, exec_lo
	s_delay_alu instid0(VALU_DEP_2) | instskip(NEXT) | instid1(SALU_CYCLE_1)
	s_and_b32 s23, vcc_lo, exec_lo
	s_or_b32 s7, s7, s23
	s_or_b32 exec_lo, exec_lo, s24
	s_and_saveexec_b32 s23, s7
	s_cbranch_execnz .LBB4_5191
	s_branch .LBB4_5192
.LBB4_5489:                             ;   in Loop: Header=BB4_4934 Depth=2
	s_mov_b32 s7, -1
	s_mov_b32 s25, exec_lo
                                        ; implicit-def: $sgpr23
	v_cmpx_eq_u16_e64 0x80, v135
; %bb.5490:                             ;   in Loop: Header=BB4_4934 Depth=2
	s_mov_b32 s23, 0x7f800001
	s_xor_b32 s7, exec_lo, -1
; %bb.5491:                             ;   in Loop: Header=BB4_4934 Depth=2
	s_or_b32 exec_lo, exec_lo, s25
	s_delay_alu instid0(SALU_CYCLE_1)
	s_and_b32 s7, s7, exec_lo
                                        ; implicit-def: $vgpr135
	s_or_saveexec_b32 s24, s24
	v_mov_b32_e32 v134, s23
	s_xor_b32 exec_lo, exec_lo, s24
	s_cbranch_execz .LBB4_5202
.LBB4_5492:                             ;   in Loop: Header=BB4_4934 Depth=2
	v_cmp_ne_u16_e64 vcc_lo, 0, v135
	v_mov_b32_e32 v134, 0
	s_and_not1_b32 s7, s7, exec_lo
	s_delay_alu instid0(VALU_DEP_2) | instskip(NEXT) | instid1(SALU_CYCLE_1)
	s_and_b32 s23, vcc_lo, exec_lo
	s_or_b32 s7, s7, s23
	s_or_b32 exec_lo, exec_lo, s24
	s_and_saveexec_b32 s23, s7
	s_cbranch_execnz .LBB4_5203
	s_branch .LBB4_5204
.LBB4_5493:                             ;   in Loop: Header=BB4_4934 Depth=2
	s_mov_b32 s7, -1
	s_mov_b32 s25, exec_lo
                                        ; implicit-def: $sgpr23
	v_cmpx_eq_u16_e64 0x80, v135
; %bb.5494:                             ;   in Loop: Header=BB4_4934 Depth=2
	s_mov_b32 s23, 0x7f800001
	s_xor_b32 s7, exec_lo, -1
; %bb.5495:                             ;   in Loop: Header=BB4_4934 Depth=2
	s_or_b32 exec_lo, exec_lo, s25
	s_delay_alu instid0(SALU_CYCLE_1)
	s_and_b32 s7, s7, exec_lo
                                        ; implicit-def: $vgpr135
	s_or_saveexec_b32 s24, s24
	v_mov_b32_e32 v117, s23
	s_xor_b32 exec_lo, exec_lo, s24
	s_cbranch_execz .LBB4_5206
.LBB4_5496:                             ;   in Loop: Header=BB4_4934 Depth=2
	v_cmp_ne_u16_e64 vcc_lo, 0, v135
	v_mov_b32_e32 v117, 0
	s_and_not1_b32 s7, s7, exec_lo
	s_delay_alu instid0(VALU_DEP_2) | instskip(NEXT) | instid1(SALU_CYCLE_1)
	s_and_b32 s23, vcc_lo, exec_lo
	s_or_b32 s7, s7, s23
	s_or_b32 exec_lo, exec_lo, s24
	s_and_saveexec_b32 s23, s7
	s_cbranch_execnz .LBB4_5207
	s_branch .LBB4_5208
.LBB4_5497:                             ;   in Loop: Header=BB4_4934 Depth=2
	s_mov_b32 s7, -1
	s_mov_b32 s25, exec_lo
                                        ; implicit-def: $sgpr23
	v_cmpx_eq_u16_e64 0x80, v134
; %bb.5498:                             ;   in Loop: Header=BB4_4934 Depth=2
	s_mov_b32 s23, 0x7f800001
	s_xor_b32 s7, exec_lo, -1
; %bb.5499:                             ;   in Loop: Header=BB4_4934 Depth=2
	s_or_b32 exec_lo, exec_lo, s25
	s_delay_alu instid0(SALU_CYCLE_1)
	s_and_b32 s7, s7, exec_lo
                                        ; implicit-def: $vgpr134
	s_or_saveexec_b32 s24, s24
	v_mov_b32_e32 v133, s23
	s_xor_b32 exec_lo, exec_lo, s24
	s_cbranch_execz .LBB4_5218
.LBB4_5500:                             ;   in Loop: Header=BB4_4934 Depth=2
	v_cmp_ne_u16_e64 vcc_lo, 0, v134
	v_mov_b32_e32 v133, 0
	s_and_not1_b32 s7, s7, exec_lo
	s_delay_alu instid0(VALU_DEP_2) | instskip(NEXT) | instid1(SALU_CYCLE_1)
	s_and_b32 s23, vcc_lo, exec_lo
	s_or_b32 s7, s7, s23
	s_or_b32 exec_lo, exec_lo, s24
	s_and_saveexec_b32 s23, s7
	s_cbranch_execnz .LBB4_5219
	s_branch .LBB4_5220
.LBB4_5501:                             ;   in Loop: Header=BB4_4934 Depth=2
	s_mov_b32 s7, -1
	s_mov_b32 s25, exec_lo
                                        ; implicit-def: $sgpr23
	v_cmpx_eq_u16_e64 0x80, v134
; %bb.5502:                             ;   in Loop: Header=BB4_4934 Depth=2
	s_mov_b32 s23, 0x7f800001
	s_xor_b32 s7, exec_lo, -1
; %bb.5503:                             ;   in Loop: Header=BB4_4934 Depth=2
	s_or_b32 exec_lo, exec_lo, s25
	s_delay_alu instid0(SALU_CYCLE_1)
	s_and_b32 s7, s7, exec_lo
                                        ; implicit-def: $vgpr134
	s_or_saveexec_b32 s24, s24
	v_mov_b32_e32 v115, s23
	s_xor_b32 exec_lo, exec_lo, s24
	s_cbranch_execz .LBB4_5222
.LBB4_5504:                             ;   in Loop: Header=BB4_4934 Depth=2
	v_cmp_ne_u16_e64 vcc_lo, 0, v134
	v_mov_b32_e32 v115, 0
	s_and_not1_b32 s7, s7, exec_lo
	s_delay_alu instid0(VALU_DEP_2) | instskip(NEXT) | instid1(SALU_CYCLE_1)
	s_and_b32 s23, vcc_lo, exec_lo
	s_or_b32 s7, s7, s23
	s_or_b32 exec_lo, exec_lo, s24
	s_and_saveexec_b32 s23, s7
	s_cbranch_execnz .LBB4_5223
	s_branch .LBB4_5224
.LBB4_5505:                             ;   in Loop: Header=BB4_4934 Depth=2
	s_mov_b32 s7, -1
	s_mov_b32 s25, exec_lo
                                        ; implicit-def: $sgpr23
	v_cmpx_eq_u16_e64 0x80, v133
; %bb.5506:                             ;   in Loop: Header=BB4_4934 Depth=2
	s_mov_b32 s23, 0x7f800001
	s_xor_b32 s7, exec_lo, -1
; %bb.5507:                             ;   in Loop: Header=BB4_4934 Depth=2
	s_or_b32 exec_lo, exec_lo, s25
	s_delay_alu instid0(SALU_CYCLE_1)
	s_and_b32 s7, s7, exec_lo
                                        ; implicit-def: $vgpr133
	s_or_saveexec_b32 s24, s24
	v_mov_b32_e32 v132, s23
	s_xor_b32 exec_lo, exec_lo, s24
	s_cbranch_execz .LBB4_5234
.LBB4_5508:                             ;   in Loop: Header=BB4_4934 Depth=2
	v_cmp_ne_u16_e64 vcc_lo, 0, v133
	v_mov_b32_e32 v132, 0
	s_and_not1_b32 s7, s7, exec_lo
	s_delay_alu instid0(VALU_DEP_2) | instskip(NEXT) | instid1(SALU_CYCLE_1)
	s_and_b32 s23, vcc_lo, exec_lo
	s_or_b32 s7, s7, s23
	s_or_b32 exec_lo, exec_lo, s24
	s_and_saveexec_b32 s23, s7
	s_cbranch_execnz .LBB4_5235
	s_branch .LBB4_5236
.LBB4_5509:                             ;   in Loop: Header=BB4_4934 Depth=2
	s_mov_b32 s7, -1
	s_mov_b32 s25, exec_lo
                                        ; implicit-def: $sgpr23
	v_cmpx_eq_u16_e64 0x80, v133
; %bb.5510:                             ;   in Loop: Header=BB4_4934 Depth=2
	s_mov_b32 s23, 0x7f800001
	s_xor_b32 s7, exec_lo, -1
; %bb.5511:                             ;   in Loop: Header=BB4_4934 Depth=2
	s_or_b32 exec_lo, exec_lo, s25
	s_delay_alu instid0(SALU_CYCLE_1)
	s_and_b32 s7, s7, exec_lo
                                        ; implicit-def: $vgpr133
	s_or_saveexec_b32 s24, s24
	v_mov_b32_e32 v114, s23
	s_xor_b32 exec_lo, exec_lo, s24
	s_cbranch_execz .LBB4_5238
.LBB4_5512:                             ;   in Loop: Header=BB4_4934 Depth=2
	v_cmp_ne_u16_e64 vcc_lo, 0, v133
	v_mov_b32_e32 v114, 0
	s_and_not1_b32 s7, s7, exec_lo
	s_delay_alu instid0(VALU_DEP_2) | instskip(NEXT) | instid1(SALU_CYCLE_1)
	s_and_b32 s23, vcc_lo, exec_lo
	s_or_b32 s7, s7, s23
	s_or_b32 exec_lo, exec_lo, s24
	s_and_saveexec_b32 s23, s7
	s_cbranch_execnz .LBB4_5239
	s_branch .LBB4_5240
.LBB4_5513:                             ;   in Loop: Header=BB4_4934 Depth=2
	s_mov_b32 s7, -1
	s_mov_b32 s25, exec_lo
                                        ; implicit-def: $sgpr23
	v_cmpx_eq_u16_e64 0x80, v132
; %bb.5514:                             ;   in Loop: Header=BB4_4934 Depth=2
	s_mov_b32 s23, 0x7f800001
	s_xor_b32 s7, exec_lo, -1
; %bb.5515:                             ;   in Loop: Header=BB4_4934 Depth=2
	s_or_b32 exec_lo, exec_lo, s25
	s_delay_alu instid0(SALU_CYCLE_1)
	s_and_b32 s7, s7, exec_lo
                                        ; implicit-def: $vgpr132
	s_or_saveexec_b32 s24, s24
	v_mov_b32_e32 v131, s23
	s_xor_b32 exec_lo, exec_lo, s24
	s_cbranch_execz .LBB4_5250
.LBB4_5516:                             ;   in Loop: Header=BB4_4934 Depth=2
	v_cmp_ne_u16_e64 vcc_lo, 0, v132
	v_mov_b32_e32 v131, 0
	s_and_not1_b32 s7, s7, exec_lo
	s_delay_alu instid0(VALU_DEP_2) | instskip(NEXT) | instid1(SALU_CYCLE_1)
	s_and_b32 s23, vcc_lo, exec_lo
	s_or_b32 s7, s7, s23
	s_or_b32 exec_lo, exec_lo, s24
	s_and_saveexec_b32 s23, s7
	s_cbranch_execnz .LBB4_5251
	s_branch .LBB4_5252
.LBB4_5517:                             ;   in Loop: Header=BB4_4934 Depth=2
	s_mov_b32 s7, -1
	s_mov_b32 s25, exec_lo
                                        ; implicit-def: $sgpr23
	v_cmpx_eq_u16_e64 0x80, v132
; %bb.5518:                             ;   in Loop: Header=BB4_4934 Depth=2
	s_mov_b32 s23, 0x7f800001
	s_xor_b32 s7, exec_lo, -1
; %bb.5519:                             ;   in Loop: Header=BB4_4934 Depth=2
	s_or_b32 exec_lo, exec_lo, s25
	s_delay_alu instid0(SALU_CYCLE_1)
	s_and_b32 s7, s7, exec_lo
                                        ; implicit-def: $vgpr132
	s_or_saveexec_b32 s24, s24
	v_mov_b32_e32 v112, s23
	s_xor_b32 exec_lo, exec_lo, s24
	s_cbranch_execz .LBB4_5254
.LBB4_5520:                             ;   in Loop: Header=BB4_4934 Depth=2
	v_cmp_ne_u16_e64 vcc_lo, 0, v132
	v_mov_b32_e32 v112, 0
	s_and_not1_b32 s7, s7, exec_lo
	s_delay_alu instid0(VALU_DEP_2) | instskip(NEXT) | instid1(SALU_CYCLE_1)
	s_and_b32 s23, vcc_lo, exec_lo
	s_or_b32 s7, s7, s23
	s_or_b32 exec_lo, exec_lo, s24
	s_and_saveexec_b32 s23, s7
	s_cbranch_execnz .LBB4_5255
	s_branch .LBB4_5256
.LBB4_5521:                             ;   in Loop: Header=BB4_4934 Depth=2
	s_mov_b32 s7, -1
	s_mov_b32 s25, exec_lo
                                        ; implicit-def: $sgpr23
	v_cmpx_eq_u16_e64 0x80, v131
; %bb.5522:                             ;   in Loop: Header=BB4_4934 Depth=2
	s_mov_b32 s23, 0x7f800001
	s_xor_b32 s7, exec_lo, -1
; %bb.5523:                             ;   in Loop: Header=BB4_4934 Depth=2
	s_or_b32 exec_lo, exec_lo, s25
	s_delay_alu instid0(SALU_CYCLE_1)
	s_and_b32 s7, s7, exec_lo
                                        ; implicit-def: $vgpr131
	s_or_saveexec_b32 s24, s24
	v_mov_b32_e32 v130, s23
	s_xor_b32 exec_lo, exec_lo, s24
	s_cbranch_execz .LBB4_5266
.LBB4_5524:                             ;   in Loop: Header=BB4_4934 Depth=2
	v_cmp_ne_u16_e64 vcc_lo, 0, v131
	v_mov_b32_e32 v130, 0
	s_and_not1_b32 s7, s7, exec_lo
	s_delay_alu instid0(VALU_DEP_2) | instskip(NEXT) | instid1(SALU_CYCLE_1)
	s_and_b32 s23, vcc_lo, exec_lo
	s_or_b32 s7, s7, s23
	s_or_b32 exec_lo, exec_lo, s24
	s_and_saveexec_b32 s23, s7
	s_cbranch_execnz .LBB4_5267
	s_branch .LBB4_5268
.LBB4_5525:                             ;   in Loop: Header=BB4_4934 Depth=2
	s_mov_b32 s7, -1
	s_mov_b32 s25, exec_lo
                                        ; implicit-def: $sgpr23
	v_cmpx_eq_u16_e64 0x80, v131
; %bb.5526:                             ;   in Loop: Header=BB4_4934 Depth=2
	s_mov_b32 s23, 0x7f800001
	s_xor_b32 s7, exec_lo, -1
; %bb.5527:                             ;   in Loop: Header=BB4_4934 Depth=2
	s_or_b32 exec_lo, exec_lo, s25
	s_delay_alu instid0(SALU_CYCLE_1)
	s_and_b32 s7, s7, exec_lo
                                        ; implicit-def: $vgpr131
	s_or_saveexec_b32 s24, s24
	v_mov_b32_e32 v102, s23
	s_xor_b32 exec_lo, exec_lo, s24
	s_cbranch_execz .LBB4_5270
.LBB4_5528:                             ;   in Loop: Header=BB4_4934 Depth=2
	v_cmp_ne_u16_e64 vcc_lo, 0, v131
	v_mov_b32_e32 v102, 0
	s_and_not1_b32 s7, s7, exec_lo
	s_delay_alu instid0(VALU_DEP_2) | instskip(NEXT) | instid1(SALU_CYCLE_1)
	s_and_b32 s23, vcc_lo, exec_lo
	s_or_b32 s7, s7, s23
	s_or_b32 exec_lo, exec_lo, s24
	s_and_saveexec_b32 s23, s7
	s_cbranch_execnz .LBB4_5271
	s_branch .LBB4_5272
.LBB4_5529:                             ;   in Loop: Header=BB4_4934 Depth=2
	s_mov_b32 s7, -1
	s_mov_b32 s25, exec_lo
                                        ; implicit-def: $sgpr23
	v_cmpx_eq_u16_e64 0x80, v130
; %bb.5530:                             ;   in Loop: Header=BB4_4934 Depth=2
	s_mov_b32 s23, 0x7f800001
	s_xor_b32 s7, exec_lo, -1
; %bb.5531:                             ;   in Loop: Header=BB4_4934 Depth=2
	s_or_b32 exec_lo, exec_lo, s25
	s_delay_alu instid0(SALU_CYCLE_1)
	s_and_b32 s7, s7, exec_lo
                                        ; implicit-def: $vgpr130
	s_or_saveexec_b32 s24, s24
	v_mov_b32_e32 v129, s23
	s_xor_b32 exec_lo, exec_lo, s24
	s_cbranch_execz .LBB4_5282
.LBB4_5532:                             ;   in Loop: Header=BB4_4934 Depth=2
	v_cmp_ne_u16_e64 vcc_lo, 0, v130
	v_mov_b32_e32 v129, 0
	s_and_not1_b32 s7, s7, exec_lo
	s_delay_alu instid0(VALU_DEP_2) | instskip(NEXT) | instid1(SALU_CYCLE_1)
	s_and_b32 s23, vcc_lo, exec_lo
	s_or_b32 s7, s7, s23
	s_or_b32 exec_lo, exec_lo, s24
	s_and_saveexec_b32 s23, s7
	s_cbranch_execnz .LBB4_5283
	s_branch .LBB4_5284
.LBB4_5533:                             ;   in Loop: Header=BB4_4934 Depth=2
	s_mov_b32 s7, -1
	s_mov_b32 s25, exec_lo
                                        ; implicit-def: $sgpr23
	v_cmpx_eq_u16_e64 0x80, v130
; %bb.5534:                             ;   in Loop: Header=BB4_4934 Depth=2
	s_mov_b32 s23, 0x7f800001
	s_xor_b32 s7, exec_lo, -1
; %bb.5535:                             ;   in Loop: Header=BB4_4934 Depth=2
	s_or_b32 exec_lo, exec_lo, s25
	s_delay_alu instid0(SALU_CYCLE_1)
	s_and_b32 s7, s7, exec_lo
                                        ; implicit-def: $vgpr130
	s_or_saveexec_b32 s24, s24
	v_mov_b32_e32 v101, s23
	s_xor_b32 exec_lo, exec_lo, s24
	s_cbranch_execz .LBB4_5286
.LBB4_5536:                             ;   in Loop: Header=BB4_4934 Depth=2
	v_cmp_ne_u16_e64 vcc_lo, 0, v130
	v_mov_b32_e32 v101, 0
	s_and_not1_b32 s7, s7, exec_lo
	s_delay_alu instid0(VALU_DEP_2) | instskip(NEXT) | instid1(SALU_CYCLE_1)
	s_and_b32 s23, vcc_lo, exec_lo
	s_or_b32 s7, s7, s23
	s_or_b32 exec_lo, exec_lo, s24
	s_and_saveexec_b32 s23, s7
	s_cbranch_execnz .LBB4_5287
	s_branch .LBB4_5288
.LBB4_5537:                             ;   in Loop: Header=BB4_4934 Depth=2
	s_mov_b32 s7, -1
	s_mov_b32 s25, exec_lo
                                        ; implicit-def: $sgpr23
	v_cmpx_eq_u16_e64 0x80, v129
; %bb.5538:                             ;   in Loop: Header=BB4_4934 Depth=2
	s_mov_b32 s23, 0x7f800001
	s_xor_b32 s7, exec_lo, -1
; %bb.5539:                             ;   in Loop: Header=BB4_4934 Depth=2
	s_or_b32 exec_lo, exec_lo, s25
	s_delay_alu instid0(SALU_CYCLE_1)
	s_and_b32 s7, s7, exec_lo
                                        ; implicit-def: $vgpr129
	s_or_saveexec_b32 s24, s24
	v_mov_b32_e32 v128, s23
	s_xor_b32 exec_lo, exec_lo, s24
	s_cbranch_execz .LBB4_5298
.LBB4_5540:                             ;   in Loop: Header=BB4_4934 Depth=2
	v_cmp_ne_u16_e64 vcc_lo, 0, v129
	v_mov_b32_e32 v128, 0
	s_and_not1_b32 s7, s7, exec_lo
	s_delay_alu instid0(VALU_DEP_2) | instskip(NEXT) | instid1(SALU_CYCLE_1)
	s_and_b32 s23, vcc_lo, exec_lo
	s_or_b32 s7, s7, s23
	s_or_b32 exec_lo, exec_lo, s24
	s_and_saveexec_b32 s23, s7
	s_cbranch_execnz .LBB4_5299
	s_branch .LBB4_5300
.LBB4_5541:                             ;   in Loop: Header=BB4_4934 Depth=2
	s_mov_b32 s7, -1
	s_mov_b32 s25, exec_lo
                                        ; implicit-def: $sgpr23
	v_cmpx_eq_u16_e64 0x80, v129
; %bb.5542:                             ;   in Loop: Header=BB4_4934 Depth=2
	s_mov_b32 s23, 0x7f800001
	s_xor_b32 s7, exec_lo, -1
; %bb.5543:                             ;   in Loop: Header=BB4_4934 Depth=2
	s_or_b32 exec_lo, exec_lo, s25
	s_delay_alu instid0(SALU_CYCLE_1)
	s_and_b32 s7, s7, exec_lo
                                        ; implicit-def: $vgpr129
	s_or_saveexec_b32 s24, s24
	v_mov_b32_e32 v99, s23
	s_xor_b32 exec_lo, exec_lo, s24
	s_cbranch_execz .LBB4_5302
.LBB4_5544:                             ;   in Loop: Header=BB4_4934 Depth=2
	v_cmp_ne_u16_e64 vcc_lo, 0, v129
	v_mov_b32_e32 v99, 0
	s_and_not1_b32 s7, s7, exec_lo
	s_delay_alu instid0(VALU_DEP_2) | instskip(NEXT) | instid1(SALU_CYCLE_1)
	s_and_b32 s23, vcc_lo, exec_lo
	s_or_b32 s7, s7, s23
	s_or_b32 exec_lo, exec_lo, s24
	s_and_saveexec_b32 s23, s7
	s_cbranch_execnz .LBB4_5303
	s_branch .LBB4_5304
.LBB4_5545:                             ;   in Loop: Header=BB4_4934 Depth=2
	s_mov_b32 s7, -1
	s_mov_b32 s25, exec_lo
                                        ; implicit-def: $sgpr23
	v_cmpx_eq_u16_e64 0x80, v128
; %bb.5546:                             ;   in Loop: Header=BB4_4934 Depth=2
	s_mov_b32 s23, 0x7f800001
	s_xor_b32 s7, exec_lo, -1
; %bb.5547:                             ;   in Loop: Header=BB4_4934 Depth=2
	s_or_b32 exec_lo, exec_lo, s25
	s_delay_alu instid0(SALU_CYCLE_1)
	s_and_b32 s7, s7, exec_lo
                                        ; implicit-def: $vgpr128
	s_or_saveexec_b32 s24, s24
	v_mov_b32_e32 v119, s23
	s_xor_b32 exec_lo, exec_lo, s24
	s_cbranch_execz .LBB4_5314
.LBB4_5548:                             ;   in Loop: Header=BB4_4934 Depth=2
	v_cmp_ne_u16_e64 vcc_lo, 0, v128
	v_mov_b32_e32 v119, 0
	s_and_not1_b32 s7, s7, exec_lo
	s_delay_alu instid0(VALU_DEP_2) | instskip(NEXT) | instid1(SALU_CYCLE_1)
	s_and_b32 s23, vcc_lo, exec_lo
	s_or_b32 s7, s7, s23
	s_or_b32 exec_lo, exec_lo, s24
	s_and_saveexec_b32 s23, s7
	s_cbranch_execnz .LBB4_5315
	s_branch .LBB4_5316
.LBB4_5549:                             ;   in Loop: Header=BB4_4934 Depth=2
	s_mov_b32 s7, -1
	s_mov_b32 s25, exec_lo
                                        ; implicit-def: $sgpr23
	v_cmpx_eq_u16_e64 0x80, v128
; %bb.5550:                             ;   in Loop: Header=BB4_4934 Depth=2
	s_mov_b32 s23, 0x7f800001
	s_xor_b32 s7, exec_lo, -1
; %bb.5551:                             ;   in Loop: Header=BB4_4934 Depth=2
	s_or_b32 exec_lo, exec_lo, s25
	s_delay_alu instid0(SALU_CYCLE_1)
	s_and_b32 s7, s7, exec_lo
                                        ; implicit-def: $vgpr128
	s_or_saveexec_b32 s24, s24
	v_mov_b32_e32 v98, s23
	s_xor_b32 exec_lo, exec_lo, s24
	s_cbranch_execz .LBB4_5318
.LBB4_5552:                             ;   in Loop: Header=BB4_4934 Depth=2
	v_cmp_ne_u16_e64 vcc_lo, 0, v128
	v_mov_b32_e32 v98, 0
	s_and_not1_b32 s7, s7, exec_lo
	s_delay_alu instid0(VALU_DEP_2) | instskip(NEXT) | instid1(SALU_CYCLE_1)
	s_and_b32 s23, vcc_lo, exec_lo
	s_or_b32 s7, s7, s23
	s_or_b32 exec_lo, exec_lo, s24
	s_and_saveexec_b32 s23, s7
	s_cbranch_execnz .LBB4_5319
	s_branch .LBB4_5320
.LBB4_5553:                             ;   in Loop: Header=BB4_4934 Depth=2
	s_mov_b32 s7, -1
	s_mov_b32 s25, exec_lo
                                        ; implicit-def: $sgpr23
	v_cmpx_eq_u16_e32 0x80, v119
; %bb.5554:                             ;   in Loop: Header=BB4_4934 Depth=2
	s_mov_b32 s23, 0x7f800001
	s_xor_b32 s7, exec_lo, -1
; %bb.5555:                             ;   in Loop: Header=BB4_4934 Depth=2
	s_or_b32 exec_lo, exec_lo, s25
	s_delay_alu instid0(SALU_CYCLE_1)
	s_and_b32 s7, s7, exec_lo
                                        ; implicit-def: $vgpr119
	s_or_saveexec_b32 s24, s24
	v_mov_b32_e32 v118, s23
	s_xor_b32 exec_lo, exec_lo, s24
	s_cbranch_execz .LBB4_5330
.LBB4_5556:                             ;   in Loop: Header=BB4_4934 Depth=2
	v_cmp_ne_u16_e32 vcc_lo, 0, v119
	v_mov_b32_e32 v118, 0
	s_and_not1_b32 s7, s7, exec_lo
	s_and_b32 s23, vcc_lo, exec_lo
	s_delay_alu instid0(SALU_CYCLE_1)
	s_or_b32 s7, s7, s23
	s_or_b32 exec_lo, exec_lo, s24
	s_and_saveexec_b32 s23, s7
	s_cbranch_execnz .LBB4_5331
	s_branch .LBB4_5332
.LBB4_5557:                             ;   in Loop: Header=BB4_4934 Depth=2
	s_mov_b32 s7, -1
	s_mov_b32 s25, exec_lo
                                        ; implicit-def: $sgpr23
	v_cmpx_eq_u16_e32 0x80, v119
; %bb.5558:                             ;   in Loop: Header=BB4_4934 Depth=2
	s_mov_b32 s23, 0x7f800001
	s_xor_b32 s7, exec_lo, -1
; %bb.5559:                             ;   in Loop: Header=BB4_4934 Depth=2
	s_or_b32 exec_lo, exec_lo, s25
	s_delay_alu instid0(SALU_CYCLE_1)
	s_and_b32 s7, s7, exec_lo
                                        ; implicit-def: $vgpr119
	s_or_saveexec_b32 s24, s24
	v_mov_b32_e32 v96, s23
	s_xor_b32 exec_lo, exec_lo, s24
	s_cbranch_execz .LBB4_5334
.LBB4_5560:                             ;   in Loop: Header=BB4_4934 Depth=2
	v_cmp_ne_u16_e32 vcc_lo, 0, v119
	v_mov_b32_e32 v96, 0
	s_and_not1_b32 s7, s7, exec_lo
	s_and_b32 s23, vcc_lo, exec_lo
	s_delay_alu instid0(SALU_CYCLE_1)
	s_or_b32 s7, s7, s23
	s_or_b32 exec_lo, exec_lo, s24
	s_and_saveexec_b32 s23, s7
	s_cbranch_execnz .LBB4_5335
	s_branch .LBB4_5336
.LBB4_5561:                             ;   in Loop: Header=BB4_4934 Depth=2
	s_mov_b32 s7, -1
	s_mov_b32 s25, exec_lo
                                        ; implicit-def: $sgpr23
	v_cmpx_eq_u16_e32 0x80, v118
; %bb.5562:                             ;   in Loop: Header=BB4_4934 Depth=2
	s_mov_b32 s23, 0x7f800001
	s_xor_b32 s7, exec_lo, -1
; %bb.5563:                             ;   in Loop: Header=BB4_4934 Depth=2
	s_or_b32 exec_lo, exec_lo, s25
	s_delay_alu instid0(SALU_CYCLE_1)
	s_and_b32 s7, s7, exec_lo
                                        ; implicit-def: $vgpr118
	s_or_saveexec_b32 s24, s24
	v_mov_b32_e32 v113, s23
	s_xor_b32 exec_lo, exec_lo, s24
	s_cbranch_execz .LBB4_5346
.LBB4_5564:                             ;   in Loop: Header=BB4_4934 Depth=2
	v_cmp_ne_u16_e32 vcc_lo, 0, v118
	v_mov_b32_e32 v113, 0
	s_and_not1_b32 s7, s7, exec_lo
	s_and_b32 s23, vcc_lo, exec_lo
	s_delay_alu instid0(SALU_CYCLE_1)
	s_or_b32 s7, s7, s23
	s_or_b32 exec_lo, exec_lo, s24
	s_and_saveexec_b32 s23, s7
	s_cbranch_execnz .LBB4_5347
	s_branch .LBB4_5348
.LBB4_5565:                             ;   in Loop: Header=BB4_4934 Depth=2
	s_mov_b32 s7, -1
	s_mov_b32 s25, exec_lo
                                        ; implicit-def: $sgpr23
	v_cmpx_eq_u16_e32 0x80, v118
; %bb.5566:                             ;   in Loop: Header=BB4_4934 Depth=2
	s_mov_b32 s23, 0x7f800001
	s_xor_b32 s7, exec_lo, -1
; %bb.5567:                             ;   in Loop: Header=BB4_4934 Depth=2
	s_or_b32 exec_lo, exec_lo, s25
	s_delay_alu instid0(SALU_CYCLE_1)
	s_and_b32 s7, s7, exec_lo
                                        ; implicit-def: $vgpr118
	s_or_saveexec_b32 s24, s24
	v_mov_b32_e32 v86, s23
	s_xor_b32 exec_lo, exec_lo, s24
	s_cbranch_execz .LBB4_5350
.LBB4_5568:                             ;   in Loop: Header=BB4_4934 Depth=2
	v_cmp_ne_u16_e32 vcc_lo, 0, v118
	v_mov_b32_e32 v86, 0
	s_and_not1_b32 s7, s7, exec_lo
	s_and_b32 s23, vcc_lo, exec_lo
	s_delay_alu instid0(SALU_CYCLE_1)
	s_or_b32 s7, s7, s23
	s_or_b32 exec_lo, exec_lo, s24
	s_and_saveexec_b32 s23, s7
	s_cbranch_execnz .LBB4_5351
	s_branch .LBB4_5352
.LBB4_5569:                             ;   in Loop: Header=BB4_4934 Depth=2
	s_mov_b32 s7, -1
	s_mov_b32 s25, exec_lo
                                        ; implicit-def: $sgpr23
	v_cmpx_eq_u16_e32 0x80, v113
; %bb.5570:                             ;   in Loop: Header=BB4_4934 Depth=2
	s_mov_b32 s23, 0x7f800001
	s_xor_b32 s7, exec_lo, -1
; %bb.5571:                             ;   in Loop: Header=BB4_4934 Depth=2
	s_or_b32 exec_lo, exec_lo, s25
	s_delay_alu instid0(SALU_CYCLE_1)
	s_and_b32 s7, s7, exec_lo
                                        ; implicit-def: $vgpr113
	s_or_saveexec_b32 s24, s24
	v_mov_b32_e32 v100, s23
	s_xor_b32 exec_lo, exec_lo, s24
	s_cbranch_execz .LBB4_5362
.LBB4_5572:                             ;   in Loop: Header=BB4_4934 Depth=2
	v_cmp_ne_u16_e32 vcc_lo, 0, v113
	v_mov_b32_e32 v100, 0
	s_and_not1_b32 s7, s7, exec_lo
	s_and_b32 s23, vcc_lo, exec_lo
	s_delay_alu instid0(SALU_CYCLE_1)
	s_or_b32 s7, s7, s23
	s_or_b32 exec_lo, exec_lo, s24
	s_and_saveexec_b32 s23, s7
	s_cbranch_execnz .LBB4_5363
	s_branch .LBB4_5364
.LBB4_5573:                             ;   in Loop: Header=BB4_4934 Depth=2
	s_mov_b32 s7, -1
	s_mov_b32 s25, exec_lo
                                        ; implicit-def: $sgpr23
	v_cmpx_eq_u16_e32 0x80, v113
; %bb.5574:                             ;   in Loop: Header=BB4_4934 Depth=2
	s_mov_b32 s23, 0x7f800001
	s_xor_b32 s7, exec_lo, -1
; %bb.5575:                             ;   in Loop: Header=BB4_4934 Depth=2
	s_or_b32 exec_lo, exec_lo, s25
	s_delay_alu instid0(SALU_CYCLE_1)
	s_and_b32 s7, s7, exec_lo
                                        ; implicit-def: $vgpr113
	s_or_saveexec_b32 s24, s24
	v_mov_b32_e32 v85, s23
	s_xor_b32 exec_lo, exec_lo, s24
	s_cbranch_execz .LBB4_5366
.LBB4_5576:                             ;   in Loop: Header=BB4_4934 Depth=2
	v_cmp_ne_u16_e32 vcc_lo, 0, v113
	v_mov_b32_e32 v85, 0
	s_and_not1_b32 s7, s7, exec_lo
	s_and_b32 s23, vcc_lo, exec_lo
	s_delay_alu instid0(SALU_CYCLE_1)
	s_or_b32 s7, s7, s23
	s_or_b32 exec_lo, exec_lo, s24
	s_and_saveexec_b32 s23, s7
	s_cbranch_execnz .LBB4_5367
	s_branch .LBB4_5368
.LBB4_5577:                             ;   in Loop: Header=BB4_4934 Depth=2
	s_mov_b32 s7, -1
	s_mov_b32 s25, exec_lo
                                        ; implicit-def: $sgpr23
	v_cmpx_eq_u16_e32 0x80, v100
; %bb.5578:                             ;   in Loop: Header=BB4_4934 Depth=2
	s_mov_b32 s23, 0x7f800001
	s_xor_b32 s7, exec_lo, -1
; %bb.5579:                             ;   in Loop: Header=BB4_4934 Depth=2
	s_or_b32 exec_lo, exec_lo, s25
	s_delay_alu instid0(SALU_CYCLE_1)
	s_and_b32 s7, s7, exec_lo
                                        ; implicit-def: $vgpr100
	s_or_saveexec_b32 s24, s24
	v_mov_b32_e32 v87, s23
	s_xor_b32 exec_lo, exec_lo, s24
	s_cbranch_execz .LBB4_5378
.LBB4_5580:                             ;   in Loop: Header=BB4_4934 Depth=2
	v_cmp_ne_u16_e32 vcc_lo, 0, v100
	v_mov_b32_e32 v87, 0
	s_and_not1_b32 s7, s7, exec_lo
	s_and_b32 s23, vcc_lo, exec_lo
	s_delay_alu instid0(SALU_CYCLE_1)
	s_or_b32 s7, s7, s23
	s_or_b32 exec_lo, exec_lo, s24
	s_and_saveexec_b32 s23, s7
	s_cbranch_execnz .LBB4_5379
	s_branch .LBB4_5380
.LBB4_5581:                             ;   in Loop: Header=BB4_4934 Depth=2
	s_mov_b32 s7, -1
	s_mov_b32 s25, exec_lo
                                        ; implicit-def: $sgpr23
	v_cmpx_eq_u16_e32 0x80, v100
; %bb.5582:                             ;   in Loop: Header=BB4_4934 Depth=2
	s_mov_b32 s23, 0x7f800001
	s_xor_b32 s7, exec_lo, -1
; %bb.5583:                             ;   in Loop: Header=BB4_4934 Depth=2
	s_or_b32 exec_lo, exec_lo, s25
	s_delay_alu instid0(SALU_CYCLE_1)
	s_and_b32 s7, s7, exec_lo
                                        ; implicit-def: $vgpr100
	s_or_saveexec_b32 s24, s24
	v_mov_b32_e32 v17, s23
	s_xor_b32 exec_lo, exec_lo, s24
	s_cbranch_execz .LBB4_5382
.LBB4_5584:                             ;   in Loop: Header=BB4_4934 Depth=2
	v_cmp_ne_u16_e32 vcc_lo, 0, v100
	v_mov_b32_e32 v17, 0
	s_and_not1_b32 s7, s7, exec_lo
	s_and_b32 s23, vcc_lo, exec_lo
	s_delay_alu instid0(SALU_CYCLE_1)
	s_or_b32 s7, s7, s23
	s_or_b32 exec_lo, exec_lo, s24
	s_and_saveexec_b32 s23, s7
	s_cbranch_execnz .LBB4_5383
	s_branch .LBB4_5384
.LBB4_5585:                             ;   in Loop: Header=BB4_2897 Depth=1
	s_or_b32 exec_lo, exec_lo, s22
.LBB4_5586:                             ;   in Loop: Header=BB4_2897 Depth=1
	s_delay_alu instid0(SALU_CYCLE_1) | instskip(SKIP_1) | instid1(VALU_DEP_1)
	s_or_b32 exec_lo, exec_lo, s21
	v_lshlrev_b32_e32 v10, 9, v52
	v_cmp_ne_u32_e32 vcc_lo, v49, v10
	s_and_b32 exec_lo, exec_lo, vcc_lo
	s_cbranch_execz .LBB4_5641
; %bb.5587:                             ;   in Loop: Header=BB4_2897 Depth=1
	v_ashrrev_i32_e32 v11, 31, v50
	v_lshlrev_b32_e32 v12, 5, v51
	s_delay_alu instid0(VALU_DEP_2) | instskip(NEXT) | instid1(VALU_DEP_1)
	v_lshrrev_b32_e32 v11, 27, v11
	v_add_nc_u32_e32 v11, v50, v11
	s_delay_alu instid0(VALU_DEP_1) | instskip(NEXT) | instid1(VALU_DEP_1)
	v_and_b32_e32 v11, 0xffffffe0, v11
	v_sub_nc_u32_e32 v11, v50, v11
	s_delay_alu instid0(VALU_DEP_1) | instskip(NEXT) | instid1(VALU_DEP_1)
	v_sub_nc_u32_e32 v11, v11, v12
	v_add_nc_u32_e32 v10, v10, v11
	s_delay_alu instid0(VALU_DEP_1) | instskip(NEXT) | instid1(VALU_DEP_1)
	v_sub_nc_u32_e32 v49, v49, v10
	v_cmp_lt_i32_e32 vcc_lo, 0, v49
	s_and_b32 exec_lo, exec_lo, vcc_lo
	s_cbranch_execz .LBB4_5641
; %bb.5588:                             ;   in Loop: Header=BB4_2897 Depth=1
	s_cbranch_execnz .LBB4_7775
; %bb.5589:                             ;   in Loop: Header=BB4_2897 Depth=1
	ds_load_b128 v[11:14], v0
	ds_load_b64 v[15:16], v0
	v_add_nc_u32_e32 v17, v10, v48
	s_mov_b32 s21, 0
	s_delay_alu instid0(VALU_DEP_1) | instskip(SKIP_2) | instid1(VALU_DEP_2)
	v_ashrrev_i32_e32 v48, 31, v17
	s_waitcnt lgkmcnt(1)
	v_add_co_u32 v10, vcc_lo, v11, v17
	v_add_co_ci_u32_e32 v11, vcc_lo, v12, v48, vcc_lo
	v_add_co_u32 v12, vcc_lo, v13, v17
	v_add_co_ci_u32_e32 v13, vcc_lo, v14, v48, vcc_lo
	s_waitcnt lgkmcnt(0)
	v_add_co_u32 v14, vcc_lo, v15, v17
	v_add_co_ci_u32_e32 v15, vcc_lo, v16, v48, vcc_lo
.LBB4_5590:                             ;   Parent Loop BB4_2897 Depth=1
                                        ; =>  This Inner Loop Header: Depth=2
	s_cbranch_execnz .LBB4_7777
; %bb.5591:                             ;   in Loop: Header=BB4_5590 Depth=2
	ds_load_b64 v[16:17], v0
	s_waitcnt lgkmcnt(0)
	v_and_b32_e32 v17, 0xff, v16
	v_readfirstlane_b32 s7, v16
	s_delay_alu instid0(VALU_DEP_2)
	v_cmp_gt_i16_e32 vcc_lo, 0x80, v17
	s_cbranch_vccnz .LBB4_5595
; %bb.5592:                             ;   in Loop: Header=BB4_5590 Depth=2
	v_cmp_eq_u16_e32 vcc_lo, 0x80, v17
	s_mov_b32 s22, -1
                                        ; implicit-def: $sgpr23
	s_cbranch_vccz .LBB4_5594
; %bb.5593:                             ;   in Loop: Header=BB4_5590 Depth=2
	s_mov_b32 s22, 0
	s_mov_b32 s23, 0x7f800001
.LBB4_5594:                             ;   in Loop: Header=BB4_5590 Depth=2
	s_mov_b32 s24, 0
	s_branch .LBB4_5596
.LBB4_5595:                             ;   in Loop: Header=BB4_5590 Depth=2
	s_mov_b32 s24, -1
	s_mov_b32 s22, 0
                                        ; implicit-def: $sgpr23
.LBB4_5596:                             ;   in Loop: Header=BB4_5590 Depth=2
	s_and_b32 vcc_lo, exec_lo, s24
	s_cbranch_vccz .LBB4_5598
; %bb.5597:                             ;   in Loop: Header=BB4_5590 Depth=2
	v_cmp_ne_u16_e64 s22, 0, v17
	s_mov_b32 s23, 0
.LBB4_5598:                             ;   in Loop: Header=BB4_5590 Depth=2
	s_delay_alu instid0(SALU_CYCLE_1) | instskip(NEXT) | instid1(VALU_DEP_2)
	v_mov_b32_e32 v17, s23
	s_and_not1_b32 vcc_lo, exec_lo, s22
	s_cbranch_vccnz .LBB4_5600
; %bb.5599:                             ;   in Loop: Header=BB4_5590 Depth=2
	s_and_b32 s22, s7, 7
	s_bfe_u32 s24, s7, 0x40003
	s_clz_i32_u32 s23, s22
	v_lshlrev_b32_e32 v16, 24, v16
	s_min_u32 s23, s23, 32
	s_delay_alu instid0(SALU_CYCLE_1)
	s_sub_i32 s25, s23, 28
	s_sub_i32 s23, 29, s23
	s_lshl_b32 s7, s7, s25
	v_and_b32_e32 v16, 0x80000000, v16
	s_and_b32 s7, s7, 7
	s_cmp_eq_u32 s24, 0
	s_cselect_b32 s23, s23, s24
	s_cselect_b32 s7, s7, s22
	s_lshl_b32 s22, s23, 23
	s_lshl_b32 s7, s7, 20
	s_add_i32 s22, s22, 0x3b800000
	s_delay_alu instid0(SALU_CYCLE_1) | instskip(NEXT) | instid1(VALU_DEP_1)
	v_or_b32_e32 v16, s22, v16
	v_or_b32_e32 v17, s7, v16
.LBB4_5600:                             ;   in Loop: Header=BB4_5590 Depth=2
	flat_load_u8 v16, v[10:11] slc dlc
	s_mov_b32 s7, 0
	s_mov_b32 s23, exec_lo
                                        ; implicit-def: $sgpr22
	s_waitcnt vmcnt(0) lgkmcnt(0)
	v_cmpx_lt_i16_e32 0x7f, v16
	s_xor_b32 s23, exec_lo, s23
	s_cbranch_execnz .LBB4_5629
; %bb.5601:                             ;   in Loop: Header=BB4_5590 Depth=2
	s_or_saveexec_b32 s23, s23
	v_mov_b32_e32 v48, s22
	s_xor_b32 exec_lo, exec_lo, s23
	s_cbranch_execnz .LBB4_5632
.LBB4_5602:                             ;   in Loop: Header=BB4_5590 Depth=2
	s_or_b32 exec_lo, exec_lo, s23
	s_and_saveexec_b32 s22, s7
	s_cbranch_execz .LBB4_5604
.LBB4_5603:                             ;   in Loop: Header=BB4_5590 Depth=2
	v_and_b32_e32 v48, 0xffff, v16
	v_lshlrev_b32_e32 v16, 24, v16
	s_delay_alu instid0(VALU_DEP_2) | instskip(NEXT) | instid1(VALU_DEP_2)
	v_and_b32_e32 v50, 7, v48
	v_and_b32_e32 v16, 0x80000000, v16
	s_delay_alu instid0(VALU_DEP_2) | instskip(NEXT) | instid1(VALU_DEP_1)
	v_clz_i32_u32_e32 v51, v50
	v_min_u32_e32 v51, 32, v51
	s_delay_alu instid0(VALU_DEP_1) | instskip(SKIP_1) | instid1(VALU_DEP_2)
	v_subrev_nc_u32_e32 v52, 28, v51
	v_sub_nc_u32_e32 v51, 29, v51
	v_lshlrev_b32_e32 v52, v52, v48
	v_bfe_u32 v48, v48, 3, 4
	s_delay_alu instid0(VALU_DEP_2) | instskip(NEXT) | instid1(VALU_DEP_2)
	v_and_b32_e32 v52, 7, v52
	v_cmp_eq_u32_e32 vcc_lo, 0, v48
	v_cndmask_b32_e32 v48, v48, v51, vcc_lo
	s_delay_alu instid0(VALU_DEP_3) | instskip(NEXT) | instid1(VALU_DEP_2)
	v_cndmask_b32_e32 v50, v50, v52, vcc_lo
	v_lshl_add_u32 v48, v48, 23, 0x3b800000
	s_delay_alu instid0(VALU_DEP_2) | instskip(NEXT) | instid1(VALU_DEP_1)
	v_lshlrev_b32_e32 v50, 20, v50
	v_or3_b32 v48, v16, v48, v50
.LBB4_5604:                             ;   in Loop: Header=BB4_5590 Depth=2
	s_or_b32 exec_lo, exec_lo, s22
	s_delay_alu instid0(VALU_DEP_1) | instskip(SKIP_2) | instid1(VALU_DEP_2)
	v_mul_f32_e32 v16, v17, v48
	v_mov_b32_e32 v48, 0x80
	s_mov_b32 s22, exec_lo
	v_and_b32_e32 v17, 0x7f800000, v16
	s_delay_alu instid0(VALU_DEP_1)
	v_cmpx_ne_u32_e32 0x7f800000, v17
	s_cbranch_execz .LBB4_5612
; %bb.5605:                             ;   in Loop: Header=BB4_5590 Depth=2
	v_mov_b32_e32 v48, 0
	s_mov_b32 s23, exec_lo
	v_cmpx_ne_u32_e32 0, v16
	s_cbranch_execz .LBB4_5611
; %bb.5606:                             ;   in Loop: Header=BB4_5590 Depth=2
	v_bfe_u32 v17, v16, 23, 8
	v_and_b32_e32 v48, 0x7fffff, v16
	s_delay_alu instid0(VALU_DEP_2) | instskip(SKIP_1) | instid1(VALU_DEP_3)
	v_sub_nc_u32_e32 v50, 0x78, v17
	v_cmp_gt_u32_e32 vcc_lo, 0x79, v17
	v_or_b32_e32 v51, 0x800000, v48
	s_delay_alu instid0(VALU_DEP_3) | instskip(SKIP_2) | instid1(VALU_DEP_3)
	v_cndmask_b32_e32 v50, 0, v50, vcc_lo
	v_cmp_eq_u32_e32 vcc_lo, 0, v17
	v_add_nc_u32_e32 v17, 0xffffff89, v17
	v_cndmask_b32_e64 v50, v50, 0x77, vcc_lo
	v_cndmask_b32_e32 v48, v51, v48, vcc_lo
	s_delay_alu instid0(VALU_DEP_3) | instskip(NEXT) | instid1(VALU_DEP_3)
	v_cndmask_b32_e64 v17, v17, 0xffffff8a, vcc_lo
	v_lshl_add_u32 v51, 0x100000, v50, -1
	s_delay_alu instid0(VALU_DEP_3) | instskip(SKIP_1) | instid1(VALU_DEP_4)
	v_lshrrev_b32_e32 v52, v50, v48
	v_lshlrev_b32_e64 v85, v50, 0x80000
	v_add_nc_u32_e32 v50, v50, v17
	s_delay_alu instid0(VALU_DEP_4) | instskip(NEXT) | instid1(VALU_DEP_4)
	v_and_b32_e32 v48, v51, v48
	v_bfe_u32 v53, v52, 20, 1
	s_delay_alu instid0(VALU_DEP_2) | instskip(NEXT) | instid1(VALU_DEP_2)
	v_cmp_eq_u32_e64 s7, v48, v85
	v_add_nc_u32_e32 v51, -1, v53
	s_delay_alu instid0(VALU_DEP_1) | instskip(SKIP_2) | instid1(VALU_DEP_2)
	v_cndmask_b32_e64 v48, 0, v51, s7
	v_lshrrev_b32_e32 v51, 23, v52
	s_mov_b32 s7, exec_lo
	v_add_nc_u32_e32 v48, v48, v52
	s_delay_alu instid0(VALU_DEP_2) | instskip(NEXT) | instid1(VALU_DEP_2)
	v_xor_b32_e32 v51, 1, v51
	v_and_b32_e32 v17, 0xfffff, v48
	s_delay_alu instid0(VALU_DEP_1) | instskip(NEXT) | instid1(VALU_DEP_3)
	v_add_nc_u32_e32 v48, v17, v52
                                        ; implicit-def: $vgpr17
	v_cmpx_ne_u32_e64 v50, v51
	s_xor_b32 s7, exec_lo, s7
; %bb.5607:                             ;   in Loop: Header=BB4_5590 Depth=2
	s_delay_alu instid0(VALU_DEP_2) | instskip(SKIP_2) | instid1(VALU_DEP_2)
	v_cmp_lt_u32_e32 vcc_lo, 0xffffff, v48
	v_sub_nc_u32_e32 v17, v50, v51
	v_cndmask_b32_e64 v50, 0, 1, vcc_lo
	v_add_co_ci_u32_e32 v17, vcc_lo, 0, v17, vcc_lo
	s_delay_alu instid0(VALU_DEP_2)
	v_lshrrev_b32_e32 v48, v50, v48
; %bb.5608:                             ;   in Loop: Header=BB4_5590 Depth=2
	s_and_not1_saveexec_b32 s7, s7
; %bb.5609:                             ;   in Loop: Header=BB4_5590 Depth=2
	s_delay_alu instid0(VALU_DEP_1)
	v_bfe_u32 v17, v48, 23, 1
; %bb.5610:                             ;   in Loop: Header=BB4_5590 Depth=2
	s_or_b32 exec_lo, exec_lo, s7
	v_lshrrev_b32_e32 v48, 20, v48
	s_delay_alu instid0(VALU_DEP_2) | instskip(SKIP_2) | instid1(VALU_DEP_4)
	v_cmp_gt_i32_e32 vcc_lo, 16, v17
	v_lshrrev_b32_e32 v16, 24, v16
	v_min_i32_e32 v50, 15, v17
	v_cndmask_b32_e32 v48, 7, v48, vcc_lo
	s_delay_alu instid0(VALU_DEP_3) | instskip(NEXT) | instid1(VALU_DEP_3)
	v_and_b32_e32 v16, 0x80, v16
	v_lshlrev_b32_e32 v50, 3, v50
	s_delay_alu instid0(VALU_DEP_3) | instskip(SKIP_1) | instid1(VALU_DEP_2)
	v_and_b32_e32 v51, 7, v48
	v_or_b32_e32 v17, v17, v48
	v_or3_b32 v16, v50, v16, v51
	s_delay_alu instid0(VALU_DEP_2) | instskip(NEXT) | instid1(VALU_DEP_2)
	v_cmp_ne_u32_e32 vcc_lo, 0, v17
	v_cndmask_b32_e32 v48, 0, v16, vcc_lo
.LBB4_5611:                             ;   in Loop: Header=BB4_5590 Depth=2
	s_or_b32 exec_lo, exec_lo, s23
.LBB4_5612:                             ;   in Loop: Header=BB4_5590 Depth=2
	s_delay_alu instid0(SALU_CYCLE_1) | instskip(SKIP_4) | instid1(VALU_DEP_1)
	s_or_b32 exec_lo, exec_lo, s22
	flat_load_u8 v16, v[12:13] slc dlc
	v_and_b32_e32 v50, 0xff, v48
	s_mov_b32 s7, 0
	s_mov_b32 s23, exec_lo
                                        ; implicit-def: $sgpr22
	v_cmpx_lt_i16_e32 0x7f, v50
	s_xor_b32 s23, exec_lo, s23
	s_cbranch_execnz .LBB4_5633
; %bb.5613:                             ;   in Loop: Header=BB4_5590 Depth=2
	s_or_saveexec_b32 s23, s23
	v_mov_b32_e32 v17, s22
	s_xor_b32 exec_lo, exec_lo, s23
	s_cbranch_execnz .LBB4_5636
.LBB4_5614:                             ;   in Loop: Header=BB4_5590 Depth=2
	s_or_b32 exec_lo, exec_lo, s23
	s_and_saveexec_b32 s22, s7
	s_cbranch_execz .LBB4_5616
.LBB4_5615:                             ;   in Loop: Header=BB4_5590 Depth=2
	v_lshrrev_b16 v52, 3, v48
	s_delay_alu instid0(VALU_DEP_1) | instskip(NEXT) | instid1(VALU_DEP_1)
	v_and_b32_e32 v52, 15, v52
	v_cmp_eq_u32_e32 vcc_lo, 0, v52
	v_and_b32_e32 v17, 7, v48
	s_delay_alu instid0(VALU_DEP_1) | instskip(NEXT) | instid1(VALU_DEP_1)
	v_clz_i32_u32_e32 v50, v17
	v_min_u32_e32 v50, 32, v50
	s_delay_alu instid0(VALU_DEP_1) | instskip(SKIP_1) | instid1(VALU_DEP_1)
	v_subrev_nc_u32_e32 v51, 28, v50
	v_sub_nc_u32_e32 v50, 29, v50
	v_dual_cndmask_b32 v50, v52, v50 :: v_dual_lshlrev_b32 v51, v51, v48
	v_lshlrev_b32_e32 v48, 24, v48
	s_delay_alu instid0(VALU_DEP_2) | instskip(NEXT) | instid1(VALU_DEP_3)
	v_and_b32_e32 v51, 7, v51
	v_lshl_add_u32 v50, v50, 23, 0x3b800000
	s_delay_alu instid0(VALU_DEP_2) | instskip(NEXT) | instid1(VALU_DEP_1)
	v_dual_cndmask_b32 v17, v17, v51 :: v_dual_and_b32 v48, 0x80000000, v48
	v_lshlrev_b32_e32 v17, 20, v17
	s_delay_alu instid0(VALU_DEP_1)
	v_or3_b32 v17, v48, v50, v17
.LBB4_5616:                             ;   in Loop: Header=BB4_5590 Depth=2
	s_or_b32 exec_lo, exec_lo, s22
	s_waitcnt vmcnt(0) lgkmcnt(0)
	v_and_b32_e32 v50, 0xff, v16
	s_mov_b32 s7, 0
	s_mov_b32 s23, exec_lo
                                        ; implicit-def: $sgpr22
	s_delay_alu instid0(VALU_DEP_1)
	v_cmpx_lt_i16_e32 0x7f, v50
	s_xor_b32 s23, exec_lo, s23
	s_cbranch_execnz .LBB4_5637
; %bb.5617:                             ;   in Loop: Header=BB4_5590 Depth=2
	s_or_saveexec_b32 s23, s23
	v_mov_b32_e32 v48, s22
	s_xor_b32 exec_lo, exec_lo, s23
	s_cbranch_execnz .LBB4_5640
.LBB4_5618:                             ;   in Loop: Header=BB4_5590 Depth=2
	s_or_b32 exec_lo, exec_lo, s23
	s_and_saveexec_b32 s22, s7
	s_cbranch_execz .LBB4_5620
.LBB4_5619:                             ;   in Loop: Header=BB4_5590 Depth=2
	v_and_b32_e32 v48, 7, v16
	v_lshrrev_b16 v52, 3, v16
	s_delay_alu instid0(VALU_DEP_2) | instskip(NEXT) | instid1(VALU_DEP_2)
	v_clz_i32_u32_e32 v50, v48
	v_and_b32_e32 v52, 15, v52
	s_delay_alu instid0(VALU_DEP_2) | instskip(NEXT) | instid1(VALU_DEP_2)
	v_min_u32_e32 v50, 32, v50
	v_cmp_eq_u32_e32 vcc_lo, 0, v52
	s_delay_alu instid0(VALU_DEP_2) | instskip(SKIP_1) | instid1(VALU_DEP_1)
	v_subrev_nc_u32_e32 v51, 28, v50
	v_sub_nc_u32_e32 v50, 29, v50
	v_dual_cndmask_b32 v50, v52, v50 :: v_dual_lshlrev_b32 v51, v51, v16
	v_lshlrev_b32_e32 v16, 24, v16
	s_delay_alu instid0(VALU_DEP_2) | instskip(NEXT) | instid1(VALU_DEP_3)
	v_and_b32_e32 v51, 7, v51
	v_lshl_add_u32 v50, v50, 23, 0x3b800000
	s_delay_alu instid0(VALU_DEP_3) | instskip(NEXT) | instid1(VALU_DEP_3)
	v_and_b32_e32 v16, 0x80000000, v16
	v_cndmask_b32_e32 v48, v48, v51, vcc_lo
	s_delay_alu instid0(VALU_DEP_1) | instskip(NEXT) | instid1(VALU_DEP_1)
	v_lshlrev_b32_e32 v48, 20, v48
	v_or3_b32 v48, v16, v50, v48
.LBB4_5620:                             ;   in Loop: Header=BB4_5590 Depth=2
	s_or_b32 exec_lo, exec_lo, s22
	s_delay_alu instid0(VALU_DEP_1) | instskip(NEXT) | instid1(VALU_DEP_1)
	v_add_f32_e32 v16, v17, v48
	v_and_b32_e32 v17, 0x7f800000, v16
	s_delay_alu instid0(VALU_DEP_1)
	v_cmp_ne_u32_e32 vcc_lo, 0x7f800000, v17
	v_mov_b32_e32 v17, 0x80
	s_and_saveexec_b32 s22, vcc_lo
	s_cbranch_execz .LBB4_5628
; %bb.5621:                             ;   in Loop: Header=BB4_5590 Depth=2
	v_mov_b32_e32 v17, 0
	s_mov_b32 s23, exec_lo
	v_cmpx_ne_u32_e32 0, v16
	s_cbranch_execz .LBB4_5627
; %bb.5622:                             ;   in Loop: Header=BB4_5590 Depth=2
	v_bfe_u32 v17, v16, 23, 8
	v_and_b32_e32 v48, 0x7fffff, v16
	s_delay_alu instid0(VALU_DEP_2) | instskip(SKIP_1) | instid1(VALU_DEP_3)
	v_sub_nc_u32_e32 v50, 0x78, v17
	v_cmp_gt_u32_e32 vcc_lo, 0x79, v17
	v_or_b32_e32 v51, 0x800000, v48
	s_delay_alu instid0(VALU_DEP_3) | instskip(SKIP_2) | instid1(VALU_DEP_3)
	v_cndmask_b32_e32 v50, 0, v50, vcc_lo
	v_cmp_eq_u32_e32 vcc_lo, 0, v17
	v_add_nc_u32_e32 v17, 0xffffff89, v17
	v_cndmask_b32_e64 v50, v50, 0x77, vcc_lo
	v_cndmask_b32_e32 v48, v51, v48, vcc_lo
	s_delay_alu instid0(VALU_DEP_3) | instskip(NEXT) | instid1(VALU_DEP_3)
	v_cndmask_b32_e64 v17, v17, 0xffffff8a, vcc_lo
	v_lshl_add_u32 v51, 0x100000, v50, -1
	s_delay_alu instid0(VALU_DEP_3) | instskip(SKIP_1) | instid1(VALU_DEP_4)
	v_lshrrev_b32_e32 v52, v50, v48
	v_lshlrev_b32_e64 v85, v50, 0x80000
	v_add_nc_u32_e32 v50, v50, v17
	s_delay_alu instid0(VALU_DEP_4) | instskip(NEXT) | instid1(VALU_DEP_4)
	v_and_b32_e32 v48, v51, v48
	v_bfe_u32 v53, v52, 20, 1
	s_delay_alu instid0(VALU_DEP_2) | instskip(NEXT) | instid1(VALU_DEP_2)
	v_cmp_eq_u32_e64 s7, v48, v85
	v_add_nc_u32_e32 v51, -1, v53
	s_delay_alu instid0(VALU_DEP_1) | instskip(SKIP_2) | instid1(VALU_DEP_2)
	v_cndmask_b32_e64 v48, 0, v51, s7
	v_lshrrev_b32_e32 v51, 23, v52
	s_mov_b32 s7, exec_lo
	v_add_nc_u32_e32 v48, v48, v52
	s_delay_alu instid0(VALU_DEP_2) | instskip(NEXT) | instid1(VALU_DEP_2)
	v_xor_b32_e32 v51, 1, v51
	v_and_b32_e32 v17, 0xfffff, v48
	s_delay_alu instid0(VALU_DEP_1) | instskip(NEXT) | instid1(VALU_DEP_3)
	v_add_nc_u32_e32 v48, v17, v52
                                        ; implicit-def: $vgpr17
	v_cmpx_ne_u32_e64 v50, v51
	s_xor_b32 s7, exec_lo, s7
; %bb.5623:                             ;   in Loop: Header=BB4_5590 Depth=2
	s_delay_alu instid0(VALU_DEP_2) | instskip(SKIP_2) | instid1(VALU_DEP_2)
	v_cmp_lt_u32_e32 vcc_lo, 0xffffff, v48
	v_sub_nc_u32_e32 v17, v50, v51
	v_cndmask_b32_e64 v50, 0, 1, vcc_lo
	v_add_co_ci_u32_e32 v17, vcc_lo, 0, v17, vcc_lo
	s_delay_alu instid0(VALU_DEP_2)
	v_lshrrev_b32_e32 v48, v50, v48
; %bb.5624:                             ;   in Loop: Header=BB4_5590 Depth=2
	s_and_not1_saveexec_b32 s7, s7
; %bb.5625:                             ;   in Loop: Header=BB4_5590 Depth=2
	s_delay_alu instid0(VALU_DEP_1)
	v_bfe_u32 v17, v48, 23, 1
; %bb.5626:                             ;   in Loop: Header=BB4_5590 Depth=2
	s_or_b32 exec_lo, exec_lo, s7
	v_lshrrev_b32_e32 v48, 20, v48
	s_delay_alu instid0(VALU_DEP_2) | instskip(SKIP_2) | instid1(VALU_DEP_4)
	v_cmp_gt_i32_e32 vcc_lo, 16, v17
	v_lshrrev_b32_e32 v16, 24, v16
	v_min_i32_e32 v50, 15, v17
	v_cndmask_b32_e32 v48, 7, v48, vcc_lo
	s_delay_alu instid0(VALU_DEP_3) | instskip(NEXT) | instid1(VALU_DEP_2)
	v_and_b32_e32 v16, 0x80, v16
	v_or_b32_e32 v17, v17, v48
	v_and_b32_e32 v51, 7, v48
	s_delay_alu instid0(VALU_DEP_2) | instskip(SKIP_1) | instid1(VALU_DEP_1)
	v_cmp_ne_u32_e32 vcc_lo, 0, v17
	v_lshlrev_b32_e32 v50, 3, v50
	v_or3_b32 v16, v50, v16, v51
	s_delay_alu instid0(VALU_DEP_1)
	v_cndmask_b32_e32 v17, 0, v16, vcc_lo
.LBB4_5627:                             ;   in Loop: Header=BB4_5590 Depth=2
	s_or_b32 exec_lo, exec_lo, s23
.LBB4_5628:                             ;   in Loop: Header=BB4_5590 Depth=2
	s_delay_alu instid0(SALU_CYCLE_1)
	s_or_b32 exec_lo, exec_lo, s22
	v_add_co_u32 v10, vcc_lo, v10, v55
	v_sub_nc_u32_e32 v49, v49, v55
	v_add_co_ci_u32_e32 v11, vcc_lo, v11, v83, vcc_lo
	v_add_co_u32 v12, vcc_lo, v12, v55
	v_add_co_ci_u32_e32 v13, vcc_lo, v13, v83, vcc_lo
	flat_store_b8 v[14:15], v17 glc slc dlc
	v_cmp_gt_i32_e32 vcc_lo, 1, v49
	v_add_co_u32 v14, s7, v14, v55
	s_delay_alu instid0(VALU_DEP_1) | instskip(SKIP_1) | instid1(SALU_CYCLE_1)
	v_add_co_ci_u32_e64 v15, s7, v15, v83, s7
	s_or_b32 s21, vcc_lo, s21
	s_and_not1_b32 exec_lo, exec_lo, s21
	s_cbranch_execnz .LBB4_5590
	s_branch .LBB4_5641
.LBB4_5629:                             ;   in Loop: Header=BB4_5590 Depth=2
	s_mov_b32 s7, -1
	s_mov_b32 s24, exec_lo
                                        ; implicit-def: $sgpr22
	v_cmpx_eq_u16_e32 0x80, v16
; %bb.5630:                             ;   in Loop: Header=BB4_5590 Depth=2
	s_mov_b32 s22, 0x7f800001
	s_xor_b32 s7, exec_lo, -1
; %bb.5631:                             ;   in Loop: Header=BB4_5590 Depth=2
	s_or_b32 exec_lo, exec_lo, s24
	s_delay_alu instid0(SALU_CYCLE_1)
	s_and_b32 s7, s7, exec_lo
	s_or_saveexec_b32 s23, s23
	v_mov_b32_e32 v48, s22
	s_xor_b32 exec_lo, exec_lo, s23
	s_cbranch_execz .LBB4_5602
.LBB4_5632:                             ;   in Loop: Header=BB4_5590 Depth=2
	v_cmp_ne_u16_e32 vcc_lo, 0, v16
	v_mov_b32_e32 v48, 0
	s_and_not1_b32 s7, s7, exec_lo
	s_and_b32 s22, vcc_lo, exec_lo
	s_delay_alu instid0(SALU_CYCLE_1)
	s_or_b32 s7, s7, s22
	s_or_b32 exec_lo, exec_lo, s23
	s_and_saveexec_b32 s22, s7
	s_cbranch_execnz .LBB4_5603
	s_branch .LBB4_5604
.LBB4_5633:                             ;   in Loop: Header=BB4_5590 Depth=2
	s_mov_b32 s7, -1
	s_mov_b32 s24, exec_lo
                                        ; implicit-def: $sgpr22
	v_cmpx_eq_u16_e32 0x80, v50
; %bb.5634:                             ;   in Loop: Header=BB4_5590 Depth=2
	s_mov_b32 s22, 0x7f800001
	s_xor_b32 s7, exec_lo, -1
; %bb.5635:                             ;   in Loop: Header=BB4_5590 Depth=2
	s_or_b32 exec_lo, exec_lo, s24
	s_delay_alu instid0(SALU_CYCLE_1)
	s_and_b32 s7, s7, exec_lo
                                        ; implicit-def: $vgpr50
	s_or_saveexec_b32 s23, s23
	v_mov_b32_e32 v17, s22
	s_xor_b32 exec_lo, exec_lo, s23
	s_cbranch_execz .LBB4_5614
.LBB4_5636:                             ;   in Loop: Header=BB4_5590 Depth=2
	v_cmp_ne_u16_e32 vcc_lo, 0, v50
	v_mov_b32_e32 v17, 0
	s_and_not1_b32 s7, s7, exec_lo
	s_and_b32 s22, vcc_lo, exec_lo
	s_delay_alu instid0(SALU_CYCLE_1)
	s_or_b32 s7, s7, s22
	s_or_b32 exec_lo, exec_lo, s23
	s_and_saveexec_b32 s22, s7
	s_cbranch_execnz .LBB4_5615
	s_branch .LBB4_5616
.LBB4_5637:                             ;   in Loop: Header=BB4_5590 Depth=2
	s_mov_b32 s7, -1
	s_mov_b32 s24, exec_lo
                                        ; implicit-def: $sgpr22
	v_cmpx_eq_u16_e32 0x80, v50
; %bb.5638:                             ;   in Loop: Header=BB4_5590 Depth=2
	s_mov_b32 s22, 0x7f800001
	s_xor_b32 s7, exec_lo, -1
; %bb.5639:                             ;   in Loop: Header=BB4_5590 Depth=2
	s_or_b32 exec_lo, exec_lo, s24
	s_delay_alu instid0(SALU_CYCLE_1)
	s_and_b32 s7, s7, exec_lo
                                        ; implicit-def: $vgpr50
	s_or_saveexec_b32 s23, s23
	v_mov_b32_e32 v48, s22
	s_xor_b32 exec_lo, exec_lo, s23
	s_cbranch_execz .LBB4_5618
.LBB4_5640:                             ;   in Loop: Header=BB4_5590 Depth=2
	v_cmp_ne_u16_e32 vcc_lo, 0, v50
	v_mov_b32_e32 v48, 0
	s_and_not1_b32 s7, s7, exec_lo
	s_and_b32 s22, vcc_lo, exec_lo
	s_delay_alu instid0(SALU_CYCLE_1)
	s_or_b32 s7, s7, s22
	s_or_b32 exec_lo, exec_lo, s23
	s_and_saveexec_b32 s22, s7
	s_cbranch_execnz .LBB4_5619
	s_branch .LBB4_5620
.LBB4_5641:                             ;   in Loop: Header=BB4_2897 Depth=1
	s_or_b32 exec_lo, exec_lo, s10
	v_cmp_ne_u32_e64 s7, 0, v34
.LBB4_5642:                             ;   in Loop: Header=BB4_2897 Depth=1
	s_and_saveexec_b32 s10, s2
	s_cbranch_execz .LBB4_5664
; %bb.5643:                             ;   in Loop: Header=BB4_2897 Depth=1
	s_and_saveexec_b32 s21, s3
	s_delay_alu instid0(SALU_CYCLE_1)
	s_xor_b32 s21, exec_lo, s21
	s_cbranch_execz .LBB4_5661
; %bb.5644:                             ;   in Loop: Header=BB4_2897 Depth=1
	s_and_saveexec_b32 s22, s4
	s_cbranch_execz .LBB4_5660
; %bb.5645:                             ;   in Loop: Header=BB4_2897 Depth=1
	s_mov_b32 s24, exec_lo
	s_mov_b32 s23, exec_lo
	v_mbcnt_lo_u32_b32 v10, s24, 0
	s_waitcnt lgkmcnt(0)
	s_waitcnt_vscnt null, 0x0
	buffer_gl1_inv
	buffer_gl0_inv
	v_cmpx_eq_u32_e32 0, v10
	s_cbranch_execz .LBB4_5647
; %bb.5646:                             ;   in Loop: Header=BB4_2897 Depth=1
	s_bcnt1_i32_b32 s24, s24
	s_delay_alu instid0(SALU_CYCLE_1)
	v_mov_b32_e32 v34, s24
	ds_add_u64 v0, v[34:35]
	s_cbranch_execnz .LBB4_7759
.LBB4_5647:                             ;   in Loop: Header=BB4_2897 Depth=1
	s_or_b32 exec_lo, exec_lo, s23
	s_cbranch_execnz .LBB4_7731
; %bb.5648:                             ;   in Loop: Header=BB4_2897 Depth=1
	ds_load_b64 v[10:11], v0
	v_add_co_u32 v28, vcc_lo, v28, v54
	v_add_co_ci_u32_e32 v29, vcc_lo, 0, v29, vcc_lo
	s_mov_b32 s23, exec_lo
	s_waitcnt lgkmcnt(0)
	s_delay_alu instid0(VALU_DEP_1)
	v_cmpx_lt_u64_e64 v[10:11], v[28:29]
	s_cbranch_execz .LBB4_5659
; %bb.5649:                             ;   in Loop: Header=BB4_2897 Depth=1
	s_mov_b32 s24, 0
	s_mov_b32 s27, 0
                                        ; implicit-def: $sgpr25
                                        ; implicit-def: $sgpr26
	s_branch .LBB4_5651
.LBB4_5650:                             ;   in Loop: Header=BB4_5651 Depth=2
	s_or_b32 exec_lo, exec_lo, vcc_hi
	s_delay_alu instid0(SALU_CYCLE_1) | instskip(NEXT) | instid1(SALU_CYCLE_1)
	s_and_b32 s28, exec_lo, s29
	s_or_b32 s24, s28, s24
	s_and_not1_b32 s25, s25, exec_lo
	s_and_b32 s28, s26, exec_lo
	s_delay_alu instid0(SALU_CYCLE_1)
	s_or_b32 s25, s25, s28
	s_and_not1_b32 exec_lo, exec_lo, s24
	s_cbranch_execz .LBB4_5657
.LBB4_5651:                             ;   Parent Loop BB4_2897 Depth=1
                                        ; =>  This Inner Loop Header: Depth=2
	s_add_i32 s27, s27, 1
                                        ; implicit-def: $sgpr29
	s_delay_alu instid0(SALU_CYCLE_1) | instskip(SKIP_1) | instid1(SALU_CYCLE_1)
	s_cmpk_lg_i32 s27, 0x2710
	s_cselect_b32 s28, -1, 0
	s_and_b32 vcc_lo, exec_lo, s28
	s_cbranch_vccz .LBB4_5655
.LBB4_5652:                             ;   in Loop: Header=BB4_5651 Depth=2
	s_and_not1_b32 s26, s26, exec_lo
	s_and_b32 vcc_lo, s29, exec_lo
	s_mov_b32 s29, -1
	s_or_b32 s26, s26, vcc_lo
	s_and_saveexec_b32 vcc_hi, s28
	s_cbranch_execz .LBB4_5650
; %bb.5653:                             ;   in Loop: Header=BB4_5651 Depth=2
	s_sleep 1
	s_cbranch_execnz .LBB4_7783
; %bb.5654:                             ;   in Loop: Header=BB4_5651 Depth=2
	ds_load_b64 v[10:11], v0
	s_and_not1_b32 s26, s26, exec_lo
	s_waitcnt lgkmcnt(0)
	v_cmp_ge_u64_e32 vcc_lo, v[10:11], v[28:29]
	s_or_not1_b32 s29, vcc_lo, exec_lo
	s_branch .LBB4_5650
.LBB4_5655:                             ;   in Loop: Header=BB4_5651 Depth=2
	s_cbranch_execnz .LBB4_7789
; %bb.5656:                             ;   in Loop: Header=BB4_5651 Depth=2
	ds_load_b64 v[10:11], v0
	s_and_not1_b32 s28, s28, exec_lo
	s_mov_b32 s27, 0
	s_mov_b32 s29, -1
	s_waitcnt lgkmcnt(0)
	flat_load_b32 v10, v[10:11] glc
	s_waitcnt vmcnt(0) lgkmcnt(0)
	buffer_gl1_inv
	buffer_gl0_inv
	v_cmp_eq_u32_e32 vcc_lo, 0, v10
	s_and_b32 vcc_lo, vcc_lo, exec_lo
	s_delay_alu instid0(SALU_CYCLE_1)
	s_or_b32 s28, s28, vcc_lo
	s_branch .LBB4_5652
.LBB4_5657:                             ;   in Loop: Header=BB4_2897 Depth=1
	s_or_b32 exec_lo, exec_lo, s24
	s_and_saveexec_b32 s24, s25
	s_delay_alu instid0(SALU_CYCLE_1)
	s_xor_b32 s24, exec_lo, s24
	s_cbranch_execz .LBB4_5659
; %bb.5658:                             ;   in Loop: Header=BB4_2897 Depth=1
	ds_store_b32 v0, v84
	s_cbranch_execnz .LBB4_7813
.LBB4_5659:                             ;   in Loop: Header=BB4_2897 Depth=1
	s_or_b32 exec_lo, exec_lo, s23
	;;#ASMSTART
	s_wakeup
	;;#ASMEND
.LBB4_5660:                             ;   in Loop: Header=BB4_2897 Depth=1
	s_or_b32 exec_lo, exec_lo, s22
.LBB4_5661:                             ;   in Loop: Header=BB4_2897 Depth=1
	s_and_not1_saveexec_b32 s21, s21
	s_cbranch_execz .LBB4_5663
; %bb.5662:                             ;   in Loop: Header=BB4_2897 Depth=1
	s_waitcnt lgkmcnt(0)
	s_waitcnt_vscnt null, 0x0
	buffer_gl1_inv
	buffer_gl0_inv
	s_barrier
.LBB4_5663:                             ;   in Loop: Header=BB4_2897 Depth=1
	s_or_b32 exec_lo, exec_lo, s21
.LBB4_5664:                             ;   in Loop: Header=BB4_2897 Depth=1
	s_delay_alu instid0(SALU_CYCLE_1) | instskip(SKIP_1) | instid1(VALU_DEP_1)
	s_or_b32 exec_lo, exec_lo, s10
	v_and_b32_e32 v10, 16, v64
	v_cmp_ne_u32_e32 vcc_lo, 0, v10
	s_and_b32 s10, vcc_lo, s7
	s_delay_alu instid0(SALU_CYCLE_1)
	s_and_saveexec_b32 s7, s10
	s_cbranch_execz .LBB4_5666
; %bb.5665:                             ;   in Loop: Header=BB4_2897 Depth=1
	s_waitcnt lgkmcnt(0)
	s_waitcnt_vscnt null, 0x0
	buffer_gl1_inv
	buffer_gl0_inv
.LBB4_5666:                             ;   in Loop: Header=BB4_2897 Depth=1
	s_or_b32 exec_lo, exec_lo, s7
	v_and_b32_e32 v10, 32, v64
	s_mov_b32 s7, exec_lo
	s_delay_alu instid0(VALU_DEP_1)
	v_cmpx_ne_u32_e32 0, v10
	s_cbranch_execz .LBB4_5668
; %bb.5667:                             ;   in Loop: Header=BB4_2897 Depth=1
	v_add_co_u32 v8, vcc_lo, v8, 1
	v_add_co_ci_u32_e32 v9, vcc_lo, 0, v9, vcc_lo
	s_waitcnt lgkmcnt(0)
	s_waitcnt_vscnt null, 0x0
	flat_store_b64 v[22:23], v[8:9]
.LBB4_5668:                             ;   in Loop: Header=BB4_2897 Depth=1
	s_or_b32 exec_lo, exec_lo, s7
	v_mov_b32_e32 v14, v39
.LBB4_5669:                             ;   in Loop: Header=BB4_2897 Depth=1
	s_or_b32 exec_lo, exec_lo, s20
	s_and_saveexec_b32 s10, s19
	s_cbranch_execz .LBB4_5722
; %bb.5670:                             ;   in Loop: Header=BB4_2897 Depth=1
	v_and_b32_e32 v10, 4, v64
	s_mov_b32 s19, -1
	s_mov_b32 s7, exec_lo
	s_delay_alu instid0(VALU_DEP_1)
	v_cmpx_ne_u32_e32 0, v10
	s_cbranch_execz .LBB4_5684
; %bb.5671:                             ;   in Loop: Header=BB4_2897 Depth=1
	v_add_co_u32 v10, vcc_lo, v8, 1
	v_add_co_ci_u32_e32 v11, vcc_lo, 0, v9, vcc_lo
	v_mov_b32_e32 v12, 1
	s_mov_b32 s19, exec_lo
	s_delay_alu instid0(VALU_DEP_2)
	v_cmpx_lt_u64_e64 v[26:27], v[10:11]
	s_cbranch_execz .LBB4_5683
; %bb.5672:                             ;   in Loop: Header=BB4_2897 Depth=1
	v_mov_b32_e32 v12, 0
	s_mov_b32 s20, 0
                                        ; implicit-def: $sgpr21
	s_branch .LBB4_5676
.LBB4_5673:                             ;   in Loop: Header=BB4_5676 Depth=2
	s_or_b32 exec_lo, exec_lo, s25
	v_mov_b32_e32 v13, 0
	s_or_not1_b32 s24, s24, exec_lo
.LBB4_5674:                             ;   in Loop: Header=BB4_5676 Depth=2
	s_or_b32 exec_lo, exec_lo, s23
	s_delay_alu instid0(VALU_DEP_1) | instskip(SKIP_2) | instid1(SALU_CYCLE_1)
	v_mov_b32_e32 v12, v13
	s_and_not1_b32 s21, s21, exec_lo
	s_and_b32 s23, s24, exec_lo
	s_or_b32 s21, s21, s23
.LBB4_5675:                             ;   in Loop: Header=BB4_5676 Depth=2
	s_or_b32 exec_lo, exec_lo, s22
	s_waitcnt vmcnt(0) lgkmcnt(0)
	v_cmp_ge_u64_e32 vcc_lo, v[26:27], v[10:11]
	s_xor_b32 s22, s21, -1
	s_delay_alu instid0(SALU_CYCLE_1) | instskip(NEXT) | instid1(SALU_CYCLE_1)
	s_or_b32 s22, s22, vcc_lo
	s_and_b32 s22, exec_lo, s22
	s_delay_alu instid0(SALU_CYCLE_1) | instskip(NEXT) | instid1(SALU_CYCLE_1)
	s_or_b32 s20, s22, s20
	s_and_not1_b32 exec_lo, exec_lo, s20
	s_cbranch_execz .LBB4_5682
.LBB4_5676:                             ;   Parent Loop BB4_2897 Depth=1
                                        ; =>  This Inner Loop Header: Depth=2
	s_sleep 1
	flat_load_b64 v[26:27], v[22:23] glc
	v_and_b32_e32 v13, 64, v64
	s_and_not1_b32 s21, s21, exec_lo
	s_mov_b32 s22, exec_lo
	s_delay_alu instid0(VALU_DEP_1)
	v_cmpx_eq_u32_e32 0, v13
	s_cbranch_execz .LBB4_5675
; %bb.5677:                             ;   in Loop: Header=BB4_5676 Depth=2
	v_add_nc_u32_e32 v13, 1, v12
	s_mov_b32 s24, -1
	s_mov_b32 s23, exec_lo
	v_cmpx_lt_i32_e32 0x270e, v12
	s_cbranch_execz .LBB4_5674
; %bb.5678:                             ;   in Loop: Header=BB4_5676 Depth=2
	s_cbranch_execnz .LBB4_7631
; %bb.5679:                             ;   in Loop: Header=BB4_5676 Depth=2
	ds_load_b64 v[12:13], v0
	s_mov_b32 s25, exec_lo
	s_waitcnt vmcnt(0) lgkmcnt(0)
	s_waitcnt_vscnt null, 0x0
	flat_load_b32 v12, v[12:13] glc
	s_waitcnt vmcnt(0) lgkmcnt(0)
	buffer_gl1_inv
	buffer_gl0_inv
	v_cmpx_ne_u32_e32 0, v12
	s_cbranch_execz .LBB4_5673
; %bb.5680:                             ;   in Loop: Header=BB4_5676 Depth=2
	ds_store_b32 v0, v12
	s_cbranch_execnz .LBB4_7661
; %bb.5681:                             ;   in Loop: Header=BB4_5676 Depth=2
	v_or_b32_e32 v64, 64, v64
	s_xor_b32 s24, exec_lo, -1
	s_branch .LBB4_5673
.LBB4_5682:                             ;   in Loop: Header=BB4_2897 Depth=1
	s_or_b32 exec_lo, exec_lo, s20
	v_and_b32_e32 v12, 4, v64
.LBB4_5683:                             ;   in Loop: Header=BB4_2897 Depth=1
	s_or_b32 exec_lo, exec_lo, s19
	s_delay_alu instid0(VALU_DEP_1)
	v_cmp_eq_u32_e32 vcc_lo, 0, v12
	;;#ASMSTART
	s_wakeup
	;;#ASMEND
	s_or_not1_b32 s19, vcc_lo, exec_lo
.LBB4_5684:                             ;   in Loop: Header=BB4_2897 Depth=1
	s_or_b32 exec_lo, exec_lo, s7
	s_xor_b32 s7, s19, -1
	s_delay_alu instid0(SALU_CYCLE_1)
	s_and_saveexec_b32 s19, s7
	s_cbranch_execz .LBB4_5694
; %bb.5685:                             ;   in Loop: Header=BB4_2897 Depth=1
	v_and_b32_e32 v10, 0x100, v64
	v_and_b32_e32 v15, 7, v8
	s_mov_b32 s7, -1
	s_delay_alu instid0(VALU_DEP_2)
	v_cmp_ne_u32_e32 vcc_lo, 0, v10
                                        ; implicit-def: $vgpr10_vgpr11
	s_and_saveexec_b32 s20, vcc_lo
	s_cbranch_execz .LBB4_5689
; %bb.5686:                             ;   in Loop: Header=BB4_2897 Depth=1
	v_mad_u64_u32 v[12:13], null, v15, 24, v[6:7]
	flat_load_b32 v10, v[12:13]
	s_waitcnt vmcnt(0) lgkmcnt(0)
	v_cmp_ne_u32_e32 vcc_lo, 1, v10
	v_cmp_eq_u32_e64 s7, 1, v10
                                        ; implicit-def: $vgpr10_vgpr11
	s_delay_alu instid0(VALU_DEP_1)
	s_and_saveexec_b32 s21, s7
	s_cbranch_execz .LBB4_5688
; %bb.5687:                             ;   in Loop: Header=BB4_2897 Depth=1
	flat_load_b32 v10, v[12:13] offset:4 glc
	s_waitcnt vmcnt(0) lgkmcnt(0)
	v_ashrrev_i32_e32 v11, 31, v10
.LBB4_5688:                             ;   in Loop: Header=BB4_2897 Depth=1
	s_or_b32 exec_lo, exec_lo, s21
	s_delay_alu instid0(SALU_CYCLE_1)
	s_or_not1_b32 s7, vcc_lo, exec_lo
.LBB4_5689:                             ;   in Loop: Header=BB4_2897 Depth=1
	s_or_b32 exec_lo, exec_lo, s20
	s_and_saveexec_b32 s20, s7
; %bb.5690:                             ;   in Loop: Header=BB4_2897 Depth=1
	v_mad_i64_i32 v[10:11], null, v15, v65, 0
; %bb.5691:                             ;   in Loop: Header=BB4_2897 Depth=1
	s_or_b32 exec_lo, exec_lo, s20
	s_delay_alu instid0(VALU_DEP_1) | instskip(SKIP_1) | instid1(VALU_DEP_3)
	v_add_co_u32 v10, vcc_lo, v24, v10
	v_and_b32_e32 v12, 0x2000, v64
	v_add_co_ci_u32_e32 v11, vcc_lo, v25, v11, vcc_lo
	s_mov_b32 s7, exec_lo
	ds_store_b64 v0, v[10:11] offset:728
	v_cmpx_ne_u32_e32 0, v12
	s_cbranch_execz .LBB4_5693
; %bb.5692:                             ;   in Loop: Header=BB4_2897 Depth=1
	ds_load_b64 v[10:11], v0 offset:584
	s_waitcnt lgkmcnt(0)
	v_add_co_u32 v10, vcc_lo, v10, 1
	v_add_co_ci_u32_e32 v11, vcc_lo, 0, v11, vcc_lo
	ds_store_b64 v0, v[10:11] offset:584
.LBB4_5693:                             ;   in Loop: Header=BB4_2897 Depth=1
	s_or_b32 exec_lo, exec_lo, s7
	v_add_co_u32 v8, vcc_lo, v8, 1
	v_add_co_ci_u32_e32 v9, vcc_lo, 0, v9, vcc_lo
.LBB4_5694:                             ;   in Loop: Header=BB4_2897 Depth=1
	s_or_b32 exec_lo, exec_lo, s19
	s_and_saveexec_b32 s7, s2
	s_cbranch_execz .LBB4_5716
; %bb.5695:                             ;   in Loop: Header=BB4_2897 Depth=1
	s_and_saveexec_b32 s19, s3
	s_delay_alu instid0(SALU_CYCLE_1)
	s_xor_b32 s19, exec_lo, s19
	s_cbranch_execz .LBB4_5713
; %bb.5696:                             ;   in Loop: Header=BB4_2897 Depth=1
	s_and_saveexec_b32 s20, s4
	s_cbranch_execz .LBB4_5712
; %bb.5697:                             ;   in Loop: Header=BB4_2897 Depth=1
	s_mov_b32 s22, exec_lo
	s_mov_b32 s21, exec_lo
	v_mbcnt_lo_u32_b32 v10, s22, 0
	s_waitcnt lgkmcnt(0)
	s_waitcnt_vscnt null, 0x0
	buffer_gl1_inv
	buffer_gl0_inv
	v_cmpx_eq_u32_e32 0, v10
	s_cbranch_execz .LBB4_5699
; %bb.5698:                             ;   in Loop: Header=BB4_2897 Depth=1
	s_bcnt1_i32_b32 s22, s22
	s_delay_alu instid0(SALU_CYCLE_1)
	v_mov_b32_e32 v34, s22
	ds_add_u64 v0, v[34:35]
	s_cbranch_execnz .LBB4_7677
.LBB4_5699:                             ;   in Loop: Header=BB4_2897 Depth=1
	s_or_b32 exec_lo, exec_lo, s21
	s_cbranch_execnz .LBB4_7663
; %bb.5700:                             ;   in Loop: Header=BB4_2897 Depth=1
	ds_load_b64 v[10:11], v0
	v_add_co_u32 v28, vcc_lo, v28, v54
	v_add_co_ci_u32_e32 v29, vcc_lo, 0, v29, vcc_lo
	s_mov_b32 s21, exec_lo
	s_waitcnt lgkmcnt(0)
	s_delay_alu instid0(VALU_DEP_1)
	v_cmpx_lt_u64_e64 v[10:11], v[28:29]
	s_cbranch_execz .LBB4_5711
; %bb.5701:                             ;   in Loop: Header=BB4_2897 Depth=1
	s_mov_b32 s22, 0
	s_mov_b32 s25, 0
                                        ; implicit-def: $sgpr23
                                        ; implicit-def: $sgpr24
	s_branch .LBB4_5703
.LBB4_5702:                             ;   in Loop: Header=BB4_5703 Depth=2
	s_or_b32 exec_lo, exec_lo, s28
	s_delay_alu instid0(SALU_CYCLE_1) | instskip(NEXT) | instid1(SALU_CYCLE_1)
	s_and_b32 s26, exec_lo, s27
	s_or_b32 s22, s26, s22
	s_and_not1_b32 s23, s23, exec_lo
	s_and_b32 s26, s24, exec_lo
	s_delay_alu instid0(SALU_CYCLE_1)
	s_or_b32 s23, s23, s26
	s_and_not1_b32 exec_lo, exec_lo, s22
	s_cbranch_execz .LBB4_5709
.LBB4_5703:                             ;   Parent Loop BB4_2897 Depth=1
                                        ; =>  This Inner Loop Header: Depth=2
	s_add_i32 s25, s25, 1
                                        ; implicit-def: $sgpr27
	s_delay_alu instid0(SALU_CYCLE_1) | instskip(SKIP_1) | instid1(SALU_CYCLE_1)
	s_cmpk_lg_i32 s25, 0x2710
	s_cselect_b32 s26, -1, 0
	s_and_b32 vcc_lo, exec_lo, s26
	s_cbranch_vccz .LBB4_5707
.LBB4_5704:                             ;   in Loop: Header=BB4_5703 Depth=2
	s_and_not1_b32 s24, s24, exec_lo
	s_and_b32 s28, s27, exec_lo
	s_mov_b32 s27, -1
	s_or_b32 s24, s24, s28
	s_and_saveexec_b32 s28, s26
	s_cbranch_execz .LBB4_5702
; %bb.5705:                             ;   in Loop: Header=BB4_5703 Depth=2
	s_sleep 1
	s_cbranch_execnz .LBB4_7727
; %bb.5706:                             ;   in Loop: Header=BB4_5703 Depth=2
	ds_load_b64 v[10:11], v0
	s_and_not1_b32 s24, s24, exec_lo
	s_waitcnt lgkmcnt(0)
	v_cmp_ge_u64_e32 vcc_lo, v[10:11], v[28:29]
	s_or_not1_b32 s27, vcc_lo, exec_lo
	s_branch .LBB4_5702
.LBB4_5707:                             ;   in Loop: Header=BB4_5703 Depth=2
	s_cbranch_execnz .LBB4_7747
; %bb.5708:                             ;   in Loop: Header=BB4_5703 Depth=2
	ds_load_b64 v[10:11], v0
	s_and_not1_b32 s26, s26, exec_lo
	s_mov_b32 s25, 0
	s_mov_b32 s27, -1
	s_waitcnt lgkmcnt(0)
	flat_load_b32 v10, v[10:11] glc
	s_waitcnt vmcnt(0) lgkmcnt(0)
	buffer_gl1_inv
	buffer_gl0_inv
	v_cmp_eq_u32_e32 vcc_lo, 0, v10
	s_and_b32 s28, vcc_lo, exec_lo
	s_delay_alu instid0(SALU_CYCLE_1)
	s_or_b32 s26, s26, s28
	s_branch .LBB4_5704
.LBB4_5709:                             ;   in Loop: Header=BB4_2897 Depth=1
	s_or_b32 exec_lo, exec_lo, s22
	s_and_saveexec_b32 s22, s23
	s_delay_alu instid0(SALU_CYCLE_1)
	s_xor_b32 s22, exec_lo, s22
	s_cbranch_execz .LBB4_5711
; %bb.5710:                             ;   in Loop: Header=BB4_2897 Depth=1
	ds_store_b32 v0, v84
	s_cbranch_execnz .LBB4_7803
.LBB4_5711:                             ;   in Loop: Header=BB4_2897 Depth=1
	s_or_b32 exec_lo, exec_lo, s21
	;;#ASMSTART
	s_wakeup
	;;#ASMEND
.LBB4_5712:                             ;   in Loop: Header=BB4_2897 Depth=1
	s_or_b32 exec_lo, exec_lo, s20
.LBB4_5713:                             ;   in Loop: Header=BB4_2897 Depth=1
	s_and_not1_saveexec_b32 s19, s19
	s_cbranch_execz .LBB4_5715
; %bb.5714:                             ;   in Loop: Header=BB4_2897 Depth=1
	s_waitcnt lgkmcnt(0)
	s_waitcnt_vscnt null, 0x0
	buffer_gl1_inv
	buffer_gl0_inv
	s_barrier
.LBB4_5715:                             ;   in Loop: Header=BB4_2897 Depth=1
	s_or_b32 exec_lo, exec_lo, s19
.LBB4_5716:                             ;   in Loop: Header=BB4_2897 Depth=1
	s_delay_alu instid0(SALU_CYCLE_1)
	s_or_b32 exec_lo, exec_lo, s7
	s_cbranch_execnz .LBB4_7602
; %bb.5717:                             ;   in Loop: Header=BB4_2897 Depth=1
	ds_load_b32 v10, v0
	v_sub_nc_u32_e32 v11, v38, v14
	s_delay_alu instid0(VALU_DEP_1) | instskip(NEXT) | instid1(VALU_DEP_1)
	v_min_i32_e32 v11, v39, v11
	v_cmp_lt_i32_e32 vcc_lo, 0, v11
	s_waitcnt lgkmcnt(0)
	v_readfirstlane_b32 s7, v10
	v_and_b32_e32 v10, 16, v64
	s_delay_alu instid0(VALU_DEP_2) | instskip(NEXT) | instid1(VALU_DEP_1)
	s_cmp_eq_u32 s7, 0
	v_cmp_ne_u32_e64 s7, 0, v10
	s_cselect_b32 s19, -1, 0
	s_delay_alu instid0(SALU_CYCLE_1)
	s_and_b32 s19, vcc_lo, s19
	s_delay_alu instid0(VALU_DEP_1) | instid1(SALU_CYCLE_1)
	s_and_b32 s19, s7, s19
	s_delay_alu instid0(SALU_CYCLE_1)
	s_and_saveexec_b32 s7, s19
	s_cbranch_execz .LBB4_5719
; %bb.5718:                             ;   in Loop: Header=BB4_2897 Depth=1
	s_waitcnt_vscnt null, 0x0
	buffer_gl1_inv
	buffer_gl0_inv
.LBB4_5719:                             ;   in Loop: Header=BB4_2897 Depth=1
	s_or_b32 exec_lo, exec_lo, s7
	v_and_b32_e32 v10, 32, v64
	s_mov_b32 s7, exec_lo
	s_delay_alu instid0(VALU_DEP_1)
	v_cmpx_ne_u32_e32 0, v10
	s_cbranch_execz .LBB4_5721
; %bb.5720:                             ;   in Loop: Header=BB4_2897 Depth=1
	v_add_co_u32 v8, vcc_lo, v8, 1
	v_add_co_ci_u32_e32 v9, vcc_lo, 0, v9, vcc_lo
	s_waitcnt_vscnt null, 0x0
	flat_store_b64 v[22:23], v[8:9]
.LBB4_5721:                             ;   in Loop: Header=BB4_2897 Depth=1
	s_or_b32 exec_lo, exec_lo, s7
.LBB4_5722:                             ;   in Loop: Header=BB4_2897 Depth=1
	s_delay_alu instid0(SALU_CYCLE_1) | instskip(SKIP_2) | instid1(VALU_DEP_1)
	s_or_b32 exec_lo, exec_lo, s10
	v_add_co_u32 v36, vcc_lo, v36, v32
	v_add_co_ci_u32_e32 v37, vcc_lo, 0, v37, vcc_lo
	v_cmp_ge_u64_e32 vcc_lo, v[36:37], v[4:5]
	s_or_b32 s16, vcc_lo, s16
	s_delay_alu instid0(SALU_CYCLE_1)
	s_and_not1_b32 exec_lo, exec_lo, s16
	s_cbranch_execnz .LBB4_2897
; %bb.5723:
	s_or_b32 exec_lo, exec_lo, s16
.LBB4_5724:
	s_delay_alu instid0(SALU_CYCLE_1)
	s_or_b32 exec_lo, exec_lo, s12
.LBB4_5725:
	s_delay_alu instid0(SALU_CYCLE_1)
	s_or_b32 exec_lo, exec_lo, s11
                                        ; implicit-def: $vgpr18_vgpr19
                                        ; implicit-def: $vgpr4_vgpr5
                                        ; implicit-def: $vgpr34_vgpr35
                                        ; implicit-def: $vgpr65
                                        ; implicit-def: $vgpr26_vgpr27
                                        ; implicit-def: $vgpr24_vgpr25
                                        ; implicit-def: $vgpr22_vgpr23
                                        ; implicit-def: $vgpr0
                                        ; implicit-def: $vgpr17
                                        ; implicit-def: $vgpr32_vgpr33
.LBB4_5726:
	s_and_not1_saveexec_b32 s12, s15
	s_cbranch_execz .LBB4_7514
; %bb.5727:
	v_mov_b32_e32 v28, 0
	v_mov_b32_e32 v29, 0
	s_mov_b32 s15, exec_lo
	v_cmpx_ne_u64_e32 0, v[4:5]
	s_cbranch_execz .LBB4_7513
; %bb.5728:
	v_cmp_ge_i32_e64 s1, v0, v1
	s_cbranch_execnz .LBB4_7543
; %bb.5729:
	v_ashrrev_i32_e32 v10, 31, v0
	v_lshrrev_b32_e32 v39, 5, v1
	v_and_b32_e32 v11, 31, v31
	v_and_b32_e32 v52, 0xffffffe0, v1
	s_ashr_i32 s4, s14, 31
	v_lshrrev_b32_e32 v10, 27, v10
	s_lshr_b32 s4, s4, 24
	v_cmp_eq_u32_e32 vcc_lo, 32, v1
	s_add_i32 s14, s14, s4
	v_cmp_ne_u32_e64 s2, 32, v1
	v_dual_mov_b32 v15, 0 :: v_dual_add_nc_u32 v10, v0, v10
	v_cmp_ne_u32_e64 s3, v30, v1
	s_ashr_i32 s16, s14, 8
	s_mov_b32 s14, 0
	s_delay_alu instid0(VALU_DEP_2) | instskip(SKIP_3) | instid1(VALU_DEP_3)
	v_dual_mov_b32 v81, 1 :: v_dual_and_b32 v12, 0xffffffe0, v10
	v_ashrrev_i32_e32 v53, 5, v10
	v_lshl_add_u32 v10, v39, 11, 0xfffff800
	s_xor_b32 s17, vcc_lo, -1
	v_sub_nc_u32_e32 v55, v0, v12
	s_delay_alu instid0(VALU_DEP_3) | instskip(NEXT) | instid1(VALU_DEP_3)
	v_lshlrev_b32_e32 v12, 11, v53
	v_add_co_u32 v67, s5, 0x800, v10
	s_delay_alu instid0(VALU_DEP_3)
	v_cmp_lt_i32_e64 s6, v55, v17
	v_mov_b32_e32 v16, 0
	v_dual_mov_b32 v17, 0 :: v_dual_lshlrev_b32 v54, 9, v39
	v_cmp_eq_u32_e64 s4, 0, v11
	v_ashrrev_i32_e32 v11, 31, v10
	v_lshl_add_u32 v66, v55, 4, v12
	s_delay_alu instid0(VALU_DEP_4) | instskip(SKIP_1) | instid1(VALU_DEP_4)
	v_mov_b32_e32 v29, v17
	v_dual_mov_b32 v28, v16 :: v_dual_add_nc_u32 v13, 0xfffffe00, v54
	v_add_co_ci_u32_e64 v68, s5, 0, v11, s5
	v_cmp_gt_i32_e64 s5, 1, v55
	s_delay_alu instid0(VALU_DEP_3) | instskip(SKIP_3) | instid1(VALU_DEP_4)
	v_ashrrev_i32_e32 v10, 31, v13
	v_add_co_u32 v70, s7, 0x200, v13
	v_ashrrev_i32_e32 v69, 31, v66
	v_ashrrev_i32_e32 v80, 31, v52
	v_add_co_ci_u32_e64 v71, s7, 0, v10, s7
	v_cmp_ne_u64_e64 s7, 0, v[34:35]
.LBB4_5730:                             ; =>This Loop Header: Depth=1
                                        ;     Child Loop BB4_5740 Depth 2
                                        ;     Child Loop BB4_5767 Depth 2
	;; [unrolled: 1-line block ×10, first 2 shown]
	v_sub_co_u32 v10, vcc_lo, v4, v16
	v_sub_co_ci_u32_e32 v11, vcc_lo, v5, v17, vcc_lo
	v_mov_b32_e32 v12, 0
	s_delay_alu instid0(VALU_DEP_2) | instskip(SKIP_2) | instid1(VALU_DEP_2)
	v_cmp_lt_u64_e32 vcc_lo, v[32:33], v[10:11]
	v_cndmask_b32_e32 v36, v10, v32, vcc_lo
	v_cndmask_b32_e64 v37, v11, 0, vcc_lo
	v_add_nc_u32_e32 v10, 15, v36
	s_delay_alu instid0(VALU_DEP_2) | instskip(NEXT) | instid1(VALU_DEP_2)
	v_cmp_eq_u64_e32 vcc_lo, 0, v[36:37]
	v_and_b32_e32 v10, 0x7ffffff0, v10
	s_or_b32 s18, s1, vcc_lo
	s_delay_alu instid0(SALU_CYCLE_1) | instskip(NEXT) | instid1(VALU_DEP_1)
	s_xor_b32 s10, s18, -1
	v_max_i32_e32 v14, s16, v10
	s_and_saveexec_b32 s19, s10
	s_cbranch_execz .LBB4_7456
; %bb.5731:                             ;   in Loop: Header=BB4_5730 Depth=1
	s_and_saveexec_b32 s10, s0
	s_cbranch_execz .LBB4_5734
; %bb.5732:                             ;   in Loop: Header=BB4_5730 Depth=1
	s_cbranch_execnz .LBB4_7584
; %bb.5733:                             ;   in Loop: Header=BB4_5730 Depth=1
	ds_load_b64 v[10:11], v0
	s_waitcnt lgkmcnt(0)
	v_add_co_u32 v12, vcc_lo, v10, v18
	v_add_co_ci_u32_e32 v11, vcc_lo, v11, v19, vcc_lo
	v_mov_b32_e32 v10, v15
	s_delay_alu instid0(VALU_DEP_3) | instskip(NEXT) | instid1(VALU_DEP_3)
	v_add_co_u32 v12, vcc_lo, v12, v16
	v_add_co_ci_u32_e32 v13, vcc_lo, v11, v17, vcc_lo
	v_mov_b32_e32 v11, v15
	ds_store_b64 v0, v[12:13]
	ds_store_b64 v0, v[10:11]
.LBB4_5734:                             ;   in Loop: Header=BB4_5730 Depth=1
	s_or_b32 exec_lo, exec_lo, s10
	v_and_b32_e32 v10, 8, v64
	s_mov_b32 s11, -1
	s_mov_b32 s10, exec_lo
	s_delay_alu instid0(VALU_DEP_1)
	v_cmpx_ne_u32_e32 0, v10
	s_cbranch_execz .LBB4_5748
; %bb.5735:                             ;   in Loop: Header=BB4_5730 Depth=1
	v_add_co_u32 v12, vcc_lo, v26, 8
	v_add_co_ci_u32_e32 v13, vcc_lo, 0, v27, vcc_lo
	v_add_co_u32 v10, vcc_lo, v8, 1
	v_add_co_ci_u32_e32 v11, vcc_lo, 0, v9, vcc_lo
	s_delay_alu instid0(VALU_DEP_1)
	v_cmp_lt_u64_e32 vcc_lo, v[12:13], v[10:11]
	v_mov_b32_e32 v12, 1
	s_and_saveexec_b32 s11, vcc_lo
	s_cbranch_execz .LBB4_5747
; %bb.5736:                             ;   in Loop: Header=BB4_5730 Depth=1
	v_mov_b32_e32 v12, 0
	s_mov_b32 s20, 0
                                        ; implicit-def: $sgpr21
	s_branch .LBB4_5740
.LBB4_5737:                             ;   in Loop: Header=BB4_5740 Depth=2
	s_or_b32 exec_lo, exec_lo, s25
	v_mov_b32_e32 v13, 0
	s_or_not1_b32 s24, s24, exec_lo
.LBB4_5738:                             ;   in Loop: Header=BB4_5740 Depth=2
	s_or_b32 exec_lo, exec_lo, s23
	s_delay_alu instid0(VALU_DEP_1) | instskip(SKIP_2) | instid1(SALU_CYCLE_1)
	v_mov_b32_e32 v12, v13
	s_and_not1_b32 s21, s21, exec_lo
	s_and_b32 s23, s24, exec_lo
	s_or_b32 s21, s21, s23
.LBB4_5739:                             ;   in Loop: Header=BB4_5740 Depth=2
	s_or_b32 exec_lo, exec_lo, s22
	s_waitcnt vmcnt(0) lgkmcnt(0)
	v_add_co_u32 v37, vcc_lo, v26, 8
	v_add_co_ci_u32_e32 v38, vcc_lo, 0, v27, vcc_lo
	s_xor_b32 s22, s21, -1
	s_delay_alu instid0(VALU_DEP_1) | instskip(SKIP_1) | instid1(SALU_CYCLE_1)
	v_cmp_ge_u64_e32 vcc_lo, v[37:38], v[10:11]
	s_or_b32 s22, s22, vcc_lo
	s_and_b32 s22, exec_lo, s22
	s_delay_alu instid0(SALU_CYCLE_1) | instskip(NEXT) | instid1(SALU_CYCLE_1)
	s_or_b32 s20, s22, s20
	s_and_not1_b32 exec_lo, exec_lo, s20
	s_cbranch_execz .LBB4_5746
.LBB4_5740:                             ;   Parent Loop BB4_5730 Depth=1
                                        ; =>  This Inner Loop Header: Depth=2
	s_sleep 1
	flat_load_b64 v[26:27], v[22:23] glc
	v_and_b32_e32 v13, 64, v64
	s_and_not1_b32 s21, s21, exec_lo
	s_mov_b32 s22, exec_lo
	s_delay_alu instid0(VALU_DEP_1)
	v_cmpx_eq_u32_e32 0, v13
	s_cbranch_execz .LBB4_5739
; %bb.5741:                             ;   in Loop: Header=BB4_5740 Depth=2
	v_add_nc_u32_e32 v13, 1, v12
	s_mov_b32 s24, -1
	s_mov_b32 s23, exec_lo
	v_cmpx_lt_i32_e32 0x270e, v12
	s_cbranch_execz .LBB4_5738
; %bb.5742:                             ;   in Loop: Header=BB4_5740 Depth=2
	s_cbranch_execnz .LBB4_7590
; %bb.5743:                             ;   in Loop: Header=BB4_5740 Depth=2
	ds_load_b64 v[12:13], v0
	s_mov_b32 s25, exec_lo
	s_waitcnt vmcnt(0) lgkmcnt(0)
	s_waitcnt_vscnt null, 0x0
	flat_load_b32 v12, v[12:13] glc
	s_waitcnt vmcnt(0) lgkmcnt(0)
	buffer_gl1_inv
	buffer_gl0_inv
	v_cmpx_ne_u32_e32 0, v12
	s_cbranch_execz .LBB4_5737
; %bb.5744:                             ;   in Loop: Header=BB4_5740 Depth=2
	ds_store_b32 v0, v12
	s_cbranch_execnz .LBB4_7633
; %bb.5745:                             ;   in Loop: Header=BB4_5740 Depth=2
	v_or_b32_e32 v64, 64, v64
	s_xor_b32 s24, exec_lo, -1
	s_branch .LBB4_5737
.LBB4_5746:                             ;   in Loop: Header=BB4_5730 Depth=1
	s_or_b32 exec_lo, exec_lo, s20
	v_and_b32_e32 v12, 8, v64
.LBB4_5747:                             ;   in Loop: Header=BB4_5730 Depth=1
	s_or_b32 exec_lo, exec_lo, s11
	s_delay_alu instid0(VALU_DEP_1)
	v_cmp_eq_u32_e32 vcc_lo, 0, v12
	;;#ASMSTART
	s_wakeup
	;;#ASMEND
	s_or_not1_b32 s11, vcc_lo, exec_lo
.LBB4_5748:                             ;   in Loop: Header=BB4_5730 Depth=1
	s_or_b32 exec_lo, exec_lo, s10
	v_min_u32_e32 v14, v14, v36
	s_xor_b32 s10, s11, -1
	s_delay_alu instid0(SALU_CYCLE_1)
	s_and_saveexec_b32 s11, s10
	s_cbranch_execz .LBB4_5758
; %bb.5749:                             ;   in Loop: Header=BB4_5730 Depth=1
	v_and_b32_e32 v10, 0x100, v64
	v_and_b32_e32 v37, 7, v8
	s_mov_b32 s10, -1
	s_delay_alu instid0(VALU_DEP_2)
	v_cmp_ne_u32_e32 vcc_lo, 0, v10
                                        ; implicit-def: $vgpr10_vgpr11
	s_and_saveexec_b32 s20, vcc_lo
	s_cbranch_execz .LBB4_5753
; %bb.5750:                             ;   in Loop: Header=BB4_5730 Depth=1
	v_mad_u64_u32 v[12:13], null, v37, 24, v[6:7]
	flat_load_b32 v10, v[12:13]
	flat_store_b64 v[12:13], v[14:15] offset:8
	s_waitcnt vmcnt(0) lgkmcnt(1)
	v_cmp_ne_u32_e32 vcc_lo, 1, v10
	v_cmp_eq_u32_e64 s10, 1, v10
                                        ; implicit-def: $vgpr10_vgpr11
	s_delay_alu instid0(VALU_DEP_1)
	s_and_saveexec_b32 s21, s10
	s_cbranch_execz .LBB4_5752
; %bb.5751:                             ;   in Loop: Header=BB4_5730 Depth=1
	flat_load_b32 v10, v[12:13] offset:4 glc
	s_waitcnt vmcnt(0) lgkmcnt(0)
	v_ashrrev_i32_e32 v11, 31, v10
.LBB4_5752:                             ;   in Loop: Header=BB4_5730 Depth=1
	s_or_b32 exec_lo, exec_lo, s21
	s_delay_alu instid0(SALU_CYCLE_1)
	s_or_not1_b32 s10, vcc_lo, exec_lo
.LBB4_5753:                             ;   in Loop: Header=BB4_5730 Depth=1
	s_or_b32 exec_lo, exec_lo, s20
	s_and_saveexec_b32 s20, s10
; %bb.5754:                             ;   in Loop: Header=BB4_5730 Depth=1
	v_mad_i64_i32 v[10:11], null, v37, v65, 0
; %bb.5755:                             ;   in Loop: Header=BB4_5730 Depth=1
	s_or_b32 exec_lo, exec_lo, s20
	s_delay_alu instid0(VALU_DEP_1) | instskip(SKIP_1) | instid1(VALU_DEP_3)
	v_add_co_u32 v10, vcc_lo, v24, v10
	v_and_b32_e32 v12, 0x2000, v64
	v_add_co_ci_u32_e32 v11, vcc_lo, v25, v11, vcc_lo
	s_mov_b32 s10, exec_lo
	ds_store_b64 v0, v[10:11] offset:784
	v_cmpx_ne_u32_e32 0, v12
	s_cbranch_execz .LBB4_5757
; %bb.5756:                             ;   in Loop: Header=BB4_5730 Depth=1
	ds_load_b64 v[10:11], v0 offset:584
	s_waitcnt lgkmcnt(0)
	v_add_co_u32 v10, vcc_lo, v10, 1
	v_add_co_ci_u32_e32 v11, vcc_lo, 0, v11, vcc_lo
	ds_store_b64 v0, v[10:11] offset:584
.LBB4_5757:                             ;   in Loop: Header=BB4_5730 Depth=1
	s_or_b32 exec_lo, exec_lo, s10
	v_add_co_u32 v8, vcc_lo, v8, 1
	v_add_co_ci_u32_e32 v9, vcc_lo, 0, v9, vcc_lo
.LBB4_5758:                             ;   in Loop: Header=BB4_5730 Depth=1
	s_or_b32 exec_lo, exec_lo, s11
	s_and_saveexec_b32 s10, s2
	s_cbranch_execz .LBB4_5780
; %bb.5759:                             ;   in Loop: Header=BB4_5730 Depth=1
	s_and_saveexec_b32 s11, s3
	s_delay_alu instid0(SALU_CYCLE_1)
	s_xor_b32 s11, exec_lo, s11
	s_cbranch_execz .LBB4_5777
; %bb.5760:                             ;   in Loop: Header=BB4_5730 Depth=1
	s_and_saveexec_b32 s20, s4
	s_cbranch_execz .LBB4_5776
; %bb.5761:                             ;   in Loop: Header=BB4_5730 Depth=1
	s_mov_b32 s22, exec_lo
	s_mov_b32 s21, exec_lo
	v_mbcnt_lo_u32_b32 v10, s22, 0
	s_waitcnt lgkmcnt(0)
	s_waitcnt_vscnt null, 0x0
	buffer_gl1_inv
	buffer_gl0_inv
	v_cmpx_eq_u32_e32 0, v10
	s_cbranch_execz .LBB4_5763
; %bb.5762:                             ;   in Loop: Header=BB4_5730 Depth=1
	s_bcnt1_i32_b32 s22, s22
	s_delay_alu instid0(SALU_CYCLE_1)
	v_dual_mov_b32 v11, v15 :: v_dual_mov_b32 v10, s22
	ds_add_u64 v0, v[10:11]
	s_cbranch_execnz .LBB4_7645
.LBB4_5763:                             ;   in Loop: Header=BB4_5730 Depth=1
	s_or_b32 exec_lo, exec_lo, s21
	s_cbranch_execnz .LBB4_7635
; %bb.5764:                             ;   in Loop: Header=BB4_5730 Depth=1
	ds_load_b64 v[10:11], v0
	v_add_co_u32 v28, vcc_lo, v28, v39
	v_add_co_ci_u32_e32 v29, vcc_lo, 0, v29, vcc_lo
	s_mov_b32 s21, exec_lo
	s_waitcnt lgkmcnt(0)
	s_delay_alu instid0(VALU_DEP_1)
	v_cmpx_lt_u64_e64 v[10:11], v[28:29]
	s_cbranch_execz .LBB4_5775
; %bb.5765:                             ;   in Loop: Header=BB4_5730 Depth=1
	s_mov_b32 s22, 0
	s_mov_b32 s25, 0
                                        ; implicit-def: $sgpr23
                                        ; implicit-def: $sgpr24
	s_branch .LBB4_5767
.LBB4_5766:                             ;   in Loop: Header=BB4_5767 Depth=2
	s_or_b32 exec_lo, exec_lo, s28
	s_delay_alu instid0(SALU_CYCLE_1) | instskip(NEXT) | instid1(SALU_CYCLE_1)
	s_and_b32 s26, exec_lo, s27
	s_or_b32 s22, s26, s22
	s_and_not1_b32 s23, s23, exec_lo
	s_and_b32 s26, s24, exec_lo
	s_delay_alu instid0(SALU_CYCLE_1)
	s_or_b32 s23, s23, s26
	s_and_not1_b32 exec_lo, exec_lo, s22
	s_cbranch_execz .LBB4_5773
.LBB4_5767:                             ;   Parent Loop BB4_5730 Depth=1
                                        ; =>  This Inner Loop Header: Depth=2
	s_add_i32 s25, s25, 1
                                        ; implicit-def: $sgpr27
	s_delay_alu instid0(SALU_CYCLE_1) | instskip(SKIP_1) | instid1(SALU_CYCLE_1)
	s_cmpk_lg_i32 s25, 0x2710
	s_cselect_b32 s26, -1, 0
	s_and_b32 vcc_lo, exec_lo, s26
	s_cbranch_vccz .LBB4_5771
.LBB4_5768:                             ;   in Loop: Header=BB4_5767 Depth=2
	s_and_not1_b32 s24, s24, exec_lo
	s_and_b32 s28, s27, exec_lo
	s_mov_b32 s27, -1
	s_or_b32 s24, s24, s28
	s_and_saveexec_b32 s28, s26
	s_cbranch_execz .LBB4_5766
; %bb.5769:                             ;   in Loop: Header=BB4_5767 Depth=2
	s_sleep 1
	s_cbranch_execnz .LBB4_7673
; %bb.5770:                             ;   in Loop: Header=BB4_5767 Depth=2
	ds_load_b64 v[10:11], v0
	s_and_not1_b32 s24, s24, exec_lo
	s_waitcnt lgkmcnt(0)
	v_cmp_ge_u64_e32 vcc_lo, v[10:11], v[28:29]
	s_or_not1_b32 s27, vcc_lo, exec_lo
	s_branch .LBB4_5766
.LBB4_5771:                             ;   in Loop: Header=BB4_5767 Depth=2
	s_cbranch_execnz .LBB4_7685
; %bb.5772:                             ;   in Loop: Header=BB4_5767 Depth=2
	ds_load_b64 v[10:11], v0
	s_and_not1_b32 s26, s26, exec_lo
	s_mov_b32 s25, 0
	s_mov_b32 s27, -1
	s_waitcnt lgkmcnt(0)
	flat_load_b32 v10, v[10:11] glc
	s_waitcnt vmcnt(0) lgkmcnt(0)
	buffer_gl1_inv
	buffer_gl0_inv
	v_cmp_eq_u32_e32 vcc_lo, 0, v10
	s_and_b32 s28, vcc_lo, exec_lo
	s_delay_alu instid0(SALU_CYCLE_1)
	s_or_b32 s26, s26, s28
	s_branch .LBB4_5768
.LBB4_5773:                             ;   in Loop: Header=BB4_5730 Depth=1
	s_or_b32 exec_lo, exec_lo, s22
	s_and_saveexec_b32 s22, s23
	s_delay_alu instid0(SALU_CYCLE_1)
	s_xor_b32 s22, exec_lo, s22
	s_cbranch_execz .LBB4_5775
; %bb.5774:                             ;   in Loop: Header=BB4_5730 Depth=1
	ds_store_b32 v0, v81
	s_cbranch_execnz .LBB4_7793
.LBB4_5775:                             ;   in Loop: Header=BB4_5730 Depth=1
	s_or_b32 exec_lo, exec_lo, s21
	;;#ASMSTART
	s_wakeup
	;;#ASMEND
.LBB4_5776:                             ;   in Loop: Header=BB4_5730 Depth=1
	s_or_b32 exec_lo, exec_lo, s20
.LBB4_5777:                             ;   in Loop: Header=BB4_5730 Depth=1
	s_and_not1_saveexec_b32 s11, s11
	s_cbranch_execz .LBB4_5779
; %bb.5778:                             ;   in Loop: Header=BB4_5730 Depth=1
	s_waitcnt lgkmcnt(0)
	s_waitcnt_vscnt null, 0x0
	buffer_gl1_inv
	buffer_gl0_inv
	s_barrier
.LBB4_5779:                             ;   in Loop: Header=BB4_5730 Depth=1
	s_or_b32 exec_lo, exec_lo, s11
.LBB4_5780:                             ;   in Loop: Header=BB4_5730 Depth=1
	s_delay_alu instid0(SALU_CYCLE_1)
	s_or_b32 exec_lo, exec_lo, s10
	s_cbranch_execnz .LBB4_7582
; %bb.5781:                             ;   in Loop: Header=BB4_5730 Depth=1
	ds_load_b32 v10, v0
	v_and_b32_e32 v11, 0x4000, v64
	s_delay_alu instid0(VALU_DEP_1) | instskip(SKIP_1) | instid1(SALU_CYCLE_1)
	v_cmp_ne_u32_e32 vcc_lo, 0, v11
	s_and_b32 s11, s17, vcc_lo
	s_and_saveexec_b32 s10, s11
	s_cbranch_execz .LBB4_5803
; %bb.5782:                             ;   in Loop: Header=BB4_5730 Depth=1
	s_and_saveexec_b32 s11, s3
	s_delay_alu instid0(SALU_CYCLE_1)
	s_xor_b32 s11, exec_lo, s11
	s_cbranch_execz .LBB4_5800
; %bb.5783:                             ;   in Loop: Header=BB4_5730 Depth=1
	s_and_saveexec_b32 s20, s4
	s_cbranch_execz .LBB4_5799
; %bb.5784:                             ;   in Loop: Header=BB4_5730 Depth=1
	s_mov_b32 s22, exec_lo
	s_mov_b32 s21, exec_lo
	v_mbcnt_lo_u32_b32 v11, s22, 0
	s_waitcnt lgkmcnt(0)
	s_waitcnt_vscnt null, 0x0
	buffer_gl1_inv
	buffer_gl0_inv
	v_cmpx_eq_u32_e32 0, v11
	s_cbranch_execz .LBB4_5786
; %bb.5785:                             ;   in Loop: Header=BB4_5730 Depth=1
	s_bcnt1_i32_b32 s22, s22
	s_delay_alu instid0(SALU_CYCLE_1)
	v_dual_mov_b32 v12, v15 :: v_dual_mov_b32 v11, s22
	ds_add_u64 v0, v[11:12]
	s_cbranch_execnz .LBB4_7671
.LBB4_5786:                             ;   in Loop: Header=BB4_5730 Depth=1
	s_or_b32 exec_lo, exec_lo, s21
	s_cbranch_execnz .LBB4_7659
; %bb.5787:                             ;   in Loop: Header=BB4_5730 Depth=1
	ds_load_b64 v[11:12], v0
	v_add_co_u32 v28, vcc_lo, v28, v39
	v_add_co_ci_u32_e32 v29, vcc_lo, 0, v29, vcc_lo
	s_mov_b32 s21, exec_lo
	s_waitcnt lgkmcnt(0)
	s_delay_alu instid0(VALU_DEP_1)
	v_cmpx_lt_u64_e64 v[11:12], v[28:29]
	s_cbranch_execz .LBB4_5798
; %bb.5788:                             ;   in Loop: Header=BB4_5730 Depth=1
	s_mov_b32 s22, 0
	s_mov_b32 s25, 0
                                        ; implicit-def: $sgpr23
                                        ; implicit-def: $sgpr24
	s_branch .LBB4_5790
.LBB4_5789:                             ;   in Loop: Header=BB4_5790 Depth=2
	s_or_b32 exec_lo, exec_lo, s28
	s_delay_alu instid0(SALU_CYCLE_1) | instskip(NEXT) | instid1(SALU_CYCLE_1)
	s_and_b32 s26, exec_lo, s27
	s_or_b32 s22, s26, s22
	s_and_not1_b32 s23, s23, exec_lo
	s_and_b32 s26, s24, exec_lo
	s_delay_alu instid0(SALU_CYCLE_1)
	s_or_b32 s23, s23, s26
	s_and_not1_b32 exec_lo, exec_lo, s22
	s_cbranch_execz .LBB4_5796
.LBB4_5790:                             ;   Parent Loop BB4_5730 Depth=1
                                        ; =>  This Inner Loop Header: Depth=2
	s_add_i32 s25, s25, 1
                                        ; implicit-def: $sgpr27
	s_delay_alu instid0(SALU_CYCLE_1) | instskip(SKIP_1) | instid1(SALU_CYCLE_1)
	s_cmpk_lg_i32 s25, 0x2710
	s_cselect_b32 s26, -1, 0
	s_and_b32 vcc_lo, exec_lo, s26
	s_cbranch_vccz .LBB4_5794
.LBB4_5791:                             ;   in Loop: Header=BB4_5790 Depth=2
	s_and_not1_b32 s24, s24, exec_lo
	s_and_b32 s28, s27, exec_lo
	s_mov_b32 s27, -1
	s_or_b32 s24, s24, s28
	s_and_saveexec_b32 s28, s26
	s_cbranch_execz .LBB4_5789
; %bb.5792:                             ;   in Loop: Header=BB4_5790 Depth=2
	s_sleep 1
	s_cbranch_execnz .LBB4_7705
; %bb.5793:                             ;   in Loop: Header=BB4_5790 Depth=2
	ds_load_b64 v[11:12], v0
	s_and_not1_b32 s24, s24, exec_lo
	s_waitcnt lgkmcnt(0)
	v_cmp_ge_u64_e32 vcc_lo, v[11:12], v[28:29]
	s_or_not1_b32 s27, vcc_lo, exec_lo
	s_branch .LBB4_5789
.LBB4_5794:                             ;   in Loop: Header=BB4_5790 Depth=2
	s_cbranch_execnz .LBB4_7723
; %bb.5795:                             ;   in Loop: Header=BB4_5790 Depth=2
	ds_load_b64 v[11:12], v0
	s_and_not1_b32 s26, s26, exec_lo
	s_mov_b32 s25, 0
	s_mov_b32 s27, -1
	s_waitcnt lgkmcnt(0)
	flat_load_b32 v11, v[11:12] glc
	s_waitcnt vmcnt(0) lgkmcnt(0)
	buffer_gl1_inv
	buffer_gl0_inv
	v_cmp_eq_u32_e32 vcc_lo, 0, v11
	s_and_b32 s28, vcc_lo, exec_lo
	s_delay_alu instid0(SALU_CYCLE_1)
	s_or_b32 s26, s26, s28
	s_branch .LBB4_5791
.LBB4_5796:                             ;   in Loop: Header=BB4_5730 Depth=1
	s_or_b32 exec_lo, exec_lo, s22
	s_and_saveexec_b32 s22, s23
	s_delay_alu instid0(SALU_CYCLE_1)
	s_xor_b32 s22, exec_lo, s22
	s_cbranch_execz .LBB4_5798
; %bb.5797:                             ;   in Loop: Header=BB4_5730 Depth=1
	ds_store_b32 v0, v81
	s_cbranch_execnz .LBB4_7801
.LBB4_5798:                             ;   in Loop: Header=BB4_5730 Depth=1
	s_or_b32 exec_lo, exec_lo, s21
	;;#ASMSTART
	s_wakeup
	;;#ASMEND
.LBB4_5799:                             ;   in Loop: Header=BB4_5730 Depth=1
	s_or_b32 exec_lo, exec_lo, s20
.LBB4_5800:                             ;   in Loop: Header=BB4_5730 Depth=1
	s_and_not1_saveexec_b32 s11, s11
	s_cbranch_execz .LBB4_5802
; %bb.5801:                             ;   in Loop: Header=BB4_5730 Depth=1
	s_waitcnt lgkmcnt(0)
	s_waitcnt_vscnt null, 0x0
	buffer_gl1_inv
	buffer_gl0_inv
	s_barrier
.LBB4_5802:                             ;   in Loop: Header=BB4_5730 Depth=1
	s_or_b32 exec_lo, exec_lo, s11
.LBB4_5803:                             ;   in Loop: Header=BB4_5730 Depth=1
	s_delay_alu instid0(SALU_CYCLE_1)
	s_or_b32 exec_lo, exec_lo, s10
	s_cbranch_execnz .LBB4_7598
; %bb.5804:                             ;   in Loop: Header=BB4_5730 Depth=1
	ds_load_b64 v[11:12], v0
	s_waitcnt lgkmcnt(0)
	v_cmp_eq_u64_e32 vcc_lo, 0, v[11:12]
	s_or_b32 s10, vcc_lo, vcc_lo
	s_delay_alu instid0(SALU_CYCLE_1)
	s_and_b32 vcc_lo, exec_lo, s10
	s_mov_b32 s10, 0
	s_cbranch_vccnz .LBB4_7427
; %bb.5805:                             ;   in Loop: Header=BB4_5730 Depth=1
	s_mov_b32 s10, -1
	s_and_saveexec_b32 s11, s5
	s_cbranch_execz .LBB4_5807
; %bb.5806:                             ;   in Loop: Header=BB4_5730 Depth=1
	ds_load_b32 v11, v0 offset:720
	s_waitcnt lgkmcnt(0)
	v_and_b32_e32 v11, 15, v11
	s_delay_alu instid0(VALU_DEP_1)
	v_cmp_eq_u32_e32 vcc_lo, 0, v11
	s_or_not1_b32 s10, vcc_lo, exec_lo
.LBB4_5807:                             ;   in Loop: Header=BB4_5730 Depth=1
	s_or_b32 exec_lo, exec_lo, s11
	s_and_saveexec_b32 s11, s6
	s_cbranch_execz .LBB4_5809
; %bb.5808:                             ;   in Loop: Header=BB4_5730 Depth=1
	ds_load_b32 v11, v0 offset:784
	s_waitcnt lgkmcnt(0)
	v_and_b32_e32 v11, 15, v11
	s_delay_alu instid0(VALU_DEP_1) | instskip(SKIP_3) | instid1(SALU_CYCLE_1)
	v_cmp_eq_u32_e32 vcc_lo, 0, v11
	s_and_b32 s20, s10, vcc_lo
	s_and_not1_b32 s10, s10, exec_lo
	s_and_b32 s20, s20, exec_lo
	s_or_b32 s10, s10, s20
.LBB4_5809:                             ;   in Loop: Header=BB4_5730 Depth=1
	s_or_b32 exec_lo, exec_lo, s11
	v_cmp_eq_u32_e32 vcc_lo, 0, v10
	s_xor_b32 s10, s10, -1
	v_mov_b32_e32 v50, v0
	v_cndmask_b32_e64 v11, 0, 1, s10
	;;#ASMSTART
	;;#ASMEND
	v_dual_cndmask_b32 v82, 0, v14 :: v_dual_mov_b32 v49, 0
	s_delay_alu instid0(VALU_DEP_2) | instskip(SKIP_2) | instid1(VALU_DEP_3)
	v_cmp_ne_u32_e32 vcc_lo, 0, v11
	v_mov_b32_e32 v12, v53
	s_mov_b32 s10, -1
	v_mov_b32_e32 v48, v82
	s_cbranch_vccnz .LBB4_7123
; %bb.5810:                             ;   in Loop: Header=BB4_5730 Depth=1
	v_lshrrev_b32_e32 v10, 11, v82
	s_mov_b32 s11, exec_lo
	s_delay_alu instid0(VALU_DEP_1) | instskip(NEXT) | instid1(VALU_DEP_1)
	v_sub_nc_u32_e32 v83, v10, v53
	v_cmpx_lt_i32_e32 0, v83
	s_cbranch_execz .LBB4_6848
; %bb.5811:                             ;   in Loop: Header=BB4_5730 Depth=1
	s_cbranch_execnz .LBB4_7689
; %bb.5812:                             ;   in Loop: Header=BB4_5730 Depth=1
	ds_load_b64 v[37:38], v0
	s_waitcnt lgkmcnt(0)
	v_readfirstlane_b32 s10, v37
	v_dual_mov_b32 v49, v38 :: v_dual_and_b32 v84, 0xff, v37
	v_mov_b32_e32 v48, v37
	s_delay_alu instid0(VALU_DEP_3) | instskip(SKIP_2) | instid1(SALU_CYCLE_1)
	s_and_b32 s20, s10, 7
	s_bfe_u32 s23, s10, 0x40003
	s_clz_i32_u32 s21, s20
	s_min_u32 s21, s21, 32
	s_delay_alu instid0(SALU_CYCLE_1) | instskip(SKIP_2) | instid1(SALU_CYCLE_1)
	s_sub_i32 s22, s21, 28
	s_sub_i32 s21, 29, s21
	s_lshl_b32 s22, s10, s22
	s_and_b32 s22, s22, 7
	s_cmp_eq_u32 s23, 0
	s_cselect_b32 s21, s21, s23
	s_cselect_b32 s20, s22, s20
	s_lshl_b32 s10, s10, 24
	s_lshl_b32 s22, s20, 20
	;; [unrolled: 1-line block ×3, first 2 shown]
	s_and_b32 s10, s10, 0x80000000
	s_add_i32 s20, s20, 0x3b800000
	s_delay_alu instid0(SALU_CYCLE_1)
	s_or_b32 s10, s10, s20
	s_mov_b32 s20, 0
	s_or_b32 s21, s10, s22
	s_branch .LBB4_5816
.LBB4_5813:                             ;   in Loop: Header=BB4_5816 Depth=2
	s_or_b32 exec_lo, exec_lo, s10
	s_delay_alu instid0(VALU_DEP_1) | instskip(NEXT) | instid1(VALU_DEP_2)
	v_lshrrev_b32_e32 v56, 20, v56
	v_cmp_gt_i32_e32 vcc_lo, 16, v13
	v_min_i32_e32 v57, 15, v13
	v_lshrrev_b32_e32 v47, 24, v47
	s_delay_alu instid0(VALU_DEP_2) | instskip(NEXT) | instid1(VALU_DEP_2)
	v_dual_cndmask_b32 v56, 7, v56 :: v_dual_lshlrev_b32 v57, 3, v57
	v_and_b32_e32 v47, 0x80, v47
	s_delay_alu instid0(VALU_DEP_2) | instskip(NEXT) | instid1(VALU_DEP_3)
	v_or_b32_e32 v13, v13, v56
	v_and_b32_e32 v57, 0xf8, v57
	s_delay_alu instid0(VALU_DEP_2) | instskip(SKIP_1) | instid1(VALU_DEP_1)
	v_cmp_ne_u32_e32 vcc_lo, 0, v13
	v_and_b32_e32 v58, 7, v56
	v_or3_b32 v47, v47, v57, v58
	s_delay_alu instid0(VALU_DEP_1) | instskip(NEXT) | instid1(VALU_DEP_1)
	v_lshlrev_b32_e32 v47, 8, v47
	v_cndmask_b32_e32 v13, 0, v47, vcc_lo
.LBB4_5814:                             ;   in Loop: Header=BB4_5816 Depth=2
	s_or_b32 exec_lo, exec_lo, s23
.LBB4_5815:                             ;   in Loop: Header=BB4_5816 Depth=2
	s_delay_alu instid0(SALU_CYCLE_1)
	s_or_b32 exec_lo, exec_lo, s22
	v_lshlrev_b32_e32 v86, 8, v86
	v_or_b32_e32 v99, v100, v99
	v_and_b32_e32 v87, 0xff, v87
	v_and_b32_e32 v100, 0xff, v103
	v_lshlrev_b32_e32 v102, 8, v102
	v_perm_b32 v85, v86, v85, 0xc0c0500
	v_or_b32_e32 v86, v116, v115
	v_lshlrev_b32_e32 v150, 8, v150
	v_lshlrev_b32_e32 v118, 8, v118
	v_lshlrev_b32_e32 v99, 16, v99
	v_lshlrev_b32_e32 v96, 24, v96
	v_lshlrev_b32_e32 v87, 16, v87
	v_lshlrev_b32_e32 v86, 16, v86
	v_lshlrev_b32_e32 v103, 24, v112
	v_lshlrev_b32_e32 v100, 16, v100
	v_perm_b32 v101, v102, v101, 0xc0c0500
	v_lshlrev_b32_e32 v51, 8, v51
	v_or_b32_e32 v163, v164, v163
	v_and_b32_e32 v151, 0xff, v151
	v_and_b32_e32 v164, 0xff, v167
	v_lshlrev_b32_e32 v166, 8, v166
	v_perm_b32 v149, v150, v149, 0xc0c0500
	v_or_b32_e32 v150, v180, v179
	v_or_b32_e32 v131, v132, v131
	v_and_b32_e32 v119, 0xff, v119
	v_and_b32_e32 v132, 0xff, v135
	v_lshlrev_b32_e32 v134, 8, v134
	v_perm_b32 v117, v118, v117, 0xc0c0500
	v_or_b32_e32 v118, v148, v147
	v_or3_b32 v97, v98, v97, v99
	v_or_b32_e32 v11, v11, v40
	v_or3_b32 v96, v96, v87, v85
	v_and_b32_e32 v85, 0xff, v181
	v_or3_b32 v99, v114, v113, v86
	v_and_b32_e32 v86, 0xff, v43
	v_lshlrev_b32_e32 v87, 8, v42
	v_or_b32_e32 v13, v13, v46
	v_or3_b32 v98, v103, v100, v101
	v_perm_b32 v100, v51, v50, 0xc0c0500
	v_add_co_u32 v50, vcc_lo, v66, v37
	v_sub_nc_u32_e32 v83, v83, v39
	v_add_co_ci_u32_e32 v51, vcc_lo, v69, v38, vcc_lo
	v_lshlrev_b32_e32 v160, 24, v160
	v_lshlrev_b32_e32 v163, 16, v163
	;; [unrolled: 1-line block ×5, first 2 shown]
	v_perm_b32 v165, v166, v165, 0xc0c0500
	v_lshlrev_b32_e32 v150, 16, v150
	v_add_co_u32 v48, vcc_lo, v48, v67
	v_lshlrev_b32_e32 v131, 16, v131
	v_lshlrev_b32_e32 v128, 24, v128
	v_lshlrev_b32_e32 v119, 16, v119
	v_lshlrev_b32_e32 v135, 24, v144
	v_lshlrev_b32_e32 v132, 16, v132
	v_perm_b32 v133, v134, v133, 0xc0c0500
	v_lshlrev_b32_e32 v118, 16, v118
	v_lshlrev_b32_e32 v11, 16, v11
	;; [unrolled: 1-line block ×6, first 2 shown]
	v_perm_b32 v87, v87, v41, 0xc0c0500
	v_lshlrev_b32_e32 v13, 16, v13
	v_add_co_ci_u32_e32 v49, vcc_lo, v49, v68, vcc_lo
	v_cmp_gt_i32_e32 vcc_lo, 1, v83
	v_add_co_u32 v37, s10, v37, v67
	v_or3_b32 v161, v162, v161, v163
	v_or3_b32 v160, v160, v151, v149
	;; [unrolled: 1-line block ×4, first 2 shown]
	v_add_co_ci_u32_e64 v38, s10, v38, v68, s10
	v_or3_b32 v129, v130, v129, v131
	v_or3_b32 v128, v128, v119, v117
	;; [unrolled: 1-line block ×8, first 2 shown]
	s_or_b32 s20, vcc_lo, s20
	s_clause 0x3
	global_store_b128 v[50:51], v[96:99], off glc slc dlc
	global_store_b128 v[50:51], v[128:131], off offset:512 glc slc dlc
	global_store_b128 v[50:51], v[160:163], off offset:1024 glc slc dlc
	;; [unrolled: 1-line block ×3, first 2 shown]
	s_and_not1_b32 exec_lo, exec_lo, s20
	s_cbranch_execz .LBB4_6847
.LBB4_5816:                             ;   Parent Loop BB4_5730 Depth=1
                                        ; =>  This Inner Loop Header: Depth=2
	v_cmp_gt_i16_e32 vcc_lo, 0x80, v84
	s_cbranch_vccnz .LBB4_5820
; %bb.5817:                             ;   in Loop: Header=BB4_5816 Depth=2
	v_cmp_eq_u16_e32 vcc_lo, 0x80, v84
	s_mov_b32 s10, -1
                                        ; implicit-def: $sgpr22
	s_cbranch_vccz .LBB4_5819
; %bb.5818:                             ;   in Loop: Header=BB4_5816 Depth=2
	s_mov_b32 s10, 0
	s_mov_b32 s22, 0x7f800001
.LBB4_5819:                             ;   in Loop: Header=BB4_5816 Depth=2
	s_mov_b32 s23, 0
	s_branch .LBB4_5821
.LBB4_5820:                             ;   in Loop: Header=BB4_5816 Depth=2
	s_mov_b32 s23, -1
	s_mov_b32 s10, 0
                                        ; implicit-def: $sgpr22
.LBB4_5821:                             ;   in Loop: Header=BB4_5816 Depth=2
	s_and_b32 vcc_lo, exec_lo, s23
	s_cbranch_vccz .LBB4_5823
; %bb.5822:                             ;   in Loop: Header=BB4_5816 Depth=2
	v_cmp_ne_u16_e64 s10, 0, v84
	s_mov_b32 s22, 0
.LBB4_5823:                             ;   in Loop: Header=BB4_5816 Depth=2
	s_delay_alu instid0(VALU_DEP_1)
	s_and_not1_b32 vcc_lo, exec_lo, s10
	s_cbranch_vccnz .LBB4_5825
; %bb.5824:                             ;   in Loop: Header=BB4_5816 Depth=2
	s_mov_b32 s22, s21
.LBB4_5825:                             ;   in Loop: Header=BB4_5816 Depth=2
	v_add_co_u32 v50, vcc_lo, v66, v48
	v_add_co_ci_u32_e32 v51, vcc_lo, v69, v49, vcc_lo
	s_mov_b32 s10, 0
	s_mov_b32 s24, exec_lo
                                        ; implicit-def: $sgpr23
	global_load_b128 v[10:13], v[50:51], off slc dlc
	s_waitcnt vmcnt(0)
	v_and_b32_e32 v86, 0xff, v10
	s_delay_alu instid0(VALU_DEP_1)
	v_cmpx_lt_i16_e32 0x7f, v86
	s_xor_b32 s24, exec_lo, s24
	s_cbranch_execnz .LBB4_6591
; %bb.5826:                             ;   in Loop: Header=BB4_5816 Depth=2
	s_or_saveexec_b32 s24, s24
	v_mov_b32_e32 v85, s23
	s_xor_b32 exec_lo, exec_lo, s24
	s_cbranch_execnz .LBB4_6594
.LBB4_5827:                             ;   in Loop: Header=BB4_5816 Depth=2
	s_or_b32 exec_lo, exec_lo, s24
	s_and_saveexec_b32 s23, s10
	s_cbranch_execz .LBB4_5829
.LBB4_5828:                             ;   in Loop: Header=BB4_5816 Depth=2
	v_and_b32_e32 v85, 7, v10
	v_bfe_u32 v96, v10, 3, 4
	v_lshlrev_b32_e32 v97, 24, v10
	s_delay_alu instid0(VALU_DEP_3) | instskip(NEXT) | instid1(VALU_DEP_3)
	v_clz_i32_u32_e32 v86, v85
	v_cmp_eq_u32_e32 vcc_lo, 0, v96
	s_delay_alu instid0(VALU_DEP_2) | instskip(NEXT) | instid1(VALU_DEP_1)
	v_min_u32_e32 v86, 32, v86
	v_subrev_nc_u32_e32 v87, 28, v86
	v_sub_nc_u32_e32 v86, 29, v86
	s_delay_alu instid0(VALU_DEP_2) | instskip(NEXT) | instid1(VALU_DEP_1)
	v_lshlrev_b32_e32 v87, v87, v10
	v_dual_cndmask_b32 v86, v96, v86 :: v_dual_and_b32 v87, 7, v87
	s_delay_alu instid0(VALU_DEP_1) | instskip(NEXT) | instid1(VALU_DEP_2)
	v_lshl_add_u32 v86, v86, 23, 0x3b800000
	v_cndmask_b32_e32 v85, v85, v87, vcc_lo
	v_and_b32_e32 v87, 0x80000000, v97
	s_delay_alu instid0(VALU_DEP_2) | instskip(NEXT) | instid1(VALU_DEP_1)
	v_lshlrev_b32_e32 v85, 20, v85
	v_or3_b32 v85, v87, v86, v85
.LBB4_5829:                             ;   in Loop: Header=BB4_5816 Depth=2
	s_or_b32 exec_lo, exec_lo, s23
	s_delay_alu instid0(VALU_DEP_1) | instskip(NEXT) | instid1(VALU_DEP_1)
	v_mul_f32_e32 v86, s22, v85
	v_and_b32_e32 v85, 0x7f800000, v86
	s_delay_alu instid0(VALU_DEP_1)
	v_cmp_ne_u32_e32 vcc_lo, 0x7f800000, v85
	v_mov_b32_e32 v85, 0x80
	s_and_saveexec_b32 s23, vcc_lo
	s_cbranch_execz .LBB4_5837
; %bb.5830:                             ;   in Loop: Header=BB4_5816 Depth=2
	v_mov_b32_e32 v85, 0
	s_mov_b32 s24, exec_lo
	v_cmpx_ne_u32_e32 0, v86
	s_cbranch_execz .LBB4_5836
; %bb.5831:                             ;   in Loop: Header=BB4_5816 Depth=2
	v_bfe_u32 v85, v86, 23, 8
	s_delay_alu instid0(VALU_DEP_1) | instskip(SKIP_1) | instid1(VALU_DEP_2)
	v_sub_nc_u32_e32 v96, 0x78, v85
	v_cmp_gt_u32_e32 vcc_lo, 0x79, v85
	v_dual_cndmask_b32 v96, 0, v96 :: v_dual_and_b32 v87, 0x7fffff, v86
	s_delay_alu instid0(VALU_DEP_1) | instskip(SKIP_2) | instid1(VALU_DEP_4)
	v_or_b32_e32 v97, 0x800000, v87
	v_cmp_eq_u32_e32 vcc_lo, 0, v85
	v_add_nc_u32_e32 v85, 0xffffff89, v85
	v_cndmask_b32_e64 v96, v96, 0x77, vcc_lo
	s_delay_alu instid0(VALU_DEP_2) | instskip(SKIP_1) | instid1(VALU_DEP_3)
	v_cndmask_b32_e64 v85, v85, 0xffffff8a, vcc_lo
	v_cndmask_b32_e32 v87, v97, v87, vcc_lo
	v_lshl_add_u32 v97, 0x100000, v96, -1
	v_lshlrev_b32_e64 v100, v96, 0x80000
	s_delay_alu instid0(VALU_DEP_3) | instskip(SKIP_1) | instid1(VALU_DEP_4)
	v_lshrrev_b32_e32 v98, v96, v87
	v_add_nc_u32_e32 v96, v96, v85
	v_and_b32_e32 v87, v97, v87
	s_delay_alu instid0(VALU_DEP_3) | instskip(NEXT) | instid1(VALU_DEP_2)
	v_bfe_u32 v99, v98, 20, 1
	v_cmp_eq_u32_e64 s10, v87, v100
	s_delay_alu instid0(VALU_DEP_2) | instskip(NEXT) | instid1(VALU_DEP_1)
	v_add_nc_u32_e32 v97, -1, v99
	v_cndmask_b32_e64 v87, 0, v97, s10
	v_lshrrev_b32_e32 v97, 23, v98
	s_mov_b32 s10, exec_lo
	s_delay_alu instid0(VALU_DEP_2) | instskip(NEXT) | instid1(VALU_DEP_2)
	v_add_nc_u32_e32 v87, v87, v98
	v_xor_b32_e32 v97, 1, v97
	s_delay_alu instid0(VALU_DEP_2) | instskip(NEXT) | instid1(VALU_DEP_1)
	v_and_b32_e32 v85, 0xfffff, v87
	v_add_nc_u32_e32 v87, v85, v98
                                        ; implicit-def: $vgpr85
	s_delay_alu instid0(VALU_DEP_3)
	v_cmpx_ne_u32_e64 v96, v97
	s_xor_b32 s10, exec_lo, s10
; %bb.5832:                             ;   in Loop: Header=BB4_5816 Depth=2
	s_delay_alu instid0(VALU_DEP_2) | instskip(SKIP_2) | instid1(VALU_DEP_2)
	v_cmp_lt_u32_e32 vcc_lo, 0xffffff, v87
	v_sub_nc_u32_e32 v85, v96, v97
	v_cndmask_b32_e64 v96, 0, 1, vcc_lo
	v_add_co_ci_u32_e32 v85, vcc_lo, 0, v85, vcc_lo
	s_delay_alu instid0(VALU_DEP_2)
	v_lshrrev_b32_e32 v87, v96, v87
; %bb.5833:                             ;   in Loop: Header=BB4_5816 Depth=2
	s_and_not1_saveexec_b32 s10, s10
; %bb.5834:                             ;   in Loop: Header=BB4_5816 Depth=2
	s_delay_alu instid0(VALU_DEP_1)
	v_bfe_u32 v85, v87, 23, 1
; %bb.5835:                             ;   in Loop: Header=BB4_5816 Depth=2
	s_or_b32 exec_lo, exec_lo, s10
	v_lshrrev_b32_e32 v87, 20, v87
	s_delay_alu instid0(VALU_DEP_2) | instskip(SKIP_2) | instid1(VALU_DEP_2)
	v_cmp_gt_i32_e32 vcc_lo, 16, v85
	v_lshrrev_b32_e32 v86, 24, v86
	v_min_i32_e32 v96, 15, v85
	v_dual_cndmask_b32 v87, 7, v87 :: v_dual_and_b32 v86, 0x80, v86
	s_delay_alu instid0(VALU_DEP_1) | instskip(SKIP_1) | instid1(VALU_DEP_2)
	v_or_b32_e32 v85, v85, v87
	v_and_b32_e32 v97, 7, v87
	v_cmp_ne_u32_e32 vcc_lo, 0, v85
	v_lshlrev_b32_e32 v96, 3, v96
	s_delay_alu instid0(VALU_DEP_1) | instskip(NEXT) | instid1(VALU_DEP_1)
	v_or3_b32 v86, v96, v86, v97
	v_cndmask_b32_e32 v85, 0, v86, vcc_lo
.LBB4_5836:                             ;   in Loop: Header=BB4_5816 Depth=2
	s_or_b32 exec_lo, exec_lo, s24
.LBB4_5837:                             ;   in Loop: Header=BB4_5816 Depth=2
	s_delay_alu instid0(SALU_CYCLE_1) | instskip(SKIP_3) | instid1(VALU_DEP_1)
	s_or_b32 exec_lo, exec_lo, s23
	v_lshrrev_b16 v86, 8, v10
	s_mov_b32 s10, 0
	s_mov_b32 s24, exec_lo
                                        ; implicit-def: $sgpr23
	v_cmpx_lt_i16_e32 0x7f, v86
	s_xor_b32 s24, exec_lo, s24
	s_cbranch_execnz .LBB4_6595
; %bb.5838:                             ;   in Loop: Header=BB4_5816 Depth=2
	s_or_saveexec_b32 s24, s24
	v_mov_b32_e32 v87, s23
	s_xor_b32 exec_lo, exec_lo, s24
	s_cbranch_execnz .LBB4_6598
.LBB4_5839:                             ;   in Loop: Header=BB4_5816 Depth=2
	s_or_b32 exec_lo, exec_lo, s24
	s_and_saveexec_b32 s23, s10
	s_cbranch_execz .LBB4_5841
.LBB4_5840:                             ;   in Loop: Header=BB4_5816 Depth=2
	v_and_b32_e32 v87, 0xffff, v86
	v_lshlrev_b32_e32 v86, 24, v86
	s_delay_alu instid0(VALU_DEP_2) | instskip(NEXT) | instid1(VALU_DEP_2)
	v_and_b32_e32 v96, 7, v87
	v_and_b32_e32 v86, 0x80000000, v86
	s_delay_alu instid0(VALU_DEP_2) | instskip(NEXT) | instid1(VALU_DEP_1)
	v_clz_i32_u32_e32 v97, v96
	v_min_u32_e32 v97, 32, v97
	s_delay_alu instid0(VALU_DEP_1) | instskip(SKIP_1) | instid1(VALU_DEP_2)
	v_subrev_nc_u32_e32 v98, 28, v97
	v_sub_nc_u32_e32 v97, 29, v97
	v_lshlrev_b32_e32 v98, v98, v87
	v_bfe_u32 v87, v87, 3, 4
	s_delay_alu instid0(VALU_DEP_2) | instskip(NEXT) | instid1(VALU_DEP_2)
	v_and_b32_e32 v98, 7, v98
	v_cmp_eq_u32_e32 vcc_lo, 0, v87
	s_delay_alu instid0(VALU_DEP_2) | instskip(NEXT) | instid1(VALU_DEP_1)
	v_dual_cndmask_b32 v87, v87, v97 :: v_dual_cndmask_b32 v96, v96, v98
	v_lshl_add_u32 v87, v87, 23, 0x3b800000
	s_delay_alu instid0(VALU_DEP_2) | instskip(NEXT) | instid1(VALU_DEP_1)
	v_lshlrev_b32_e32 v96, 20, v96
	v_or3_b32 v87, v86, v87, v96
.LBB4_5841:                             ;   in Loop: Header=BB4_5816 Depth=2
	s_or_b32 exec_lo, exec_lo, s23
	s_delay_alu instid0(VALU_DEP_1) | instskip(NEXT) | instid1(VALU_DEP_1)
	v_mul_f32_e32 v87, s22, v87
	v_and_b32_e32 v86, 0x7f800000, v87
	s_delay_alu instid0(VALU_DEP_1)
	v_cmp_ne_u32_e32 vcc_lo, 0x7f800000, v86
	v_mov_b32_e32 v86, 0x80
	s_and_saveexec_b32 s23, vcc_lo
	s_cbranch_execz .LBB4_5849
; %bb.5842:                             ;   in Loop: Header=BB4_5816 Depth=2
	v_mov_b32_e32 v86, 0
	s_mov_b32 s24, exec_lo
	v_cmpx_ne_u32_e32 0, v87
	s_cbranch_execz .LBB4_5848
; %bb.5843:                             ;   in Loop: Header=BB4_5816 Depth=2
	v_bfe_u32 v86, v87, 23, 8
	s_delay_alu instid0(VALU_DEP_1) | instskip(SKIP_1) | instid1(VALU_DEP_2)
	v_sub_nc_u32_e32 v97, 0x78, v86
	v_cmp_gt_u32_e32 vcc_lo, 0x79, v86
	v_dual_cndmask_b32 v97, 0, v97 :: v_dual_and_b32 v96, 0x7fffff, v87
	s_delay_alu instid0(VALU_DEP_1) | instskip(SKIP_2) | instid1(VALU_DEP_4)
	v_or_b32_e32 v98, 0x800000, v96
	v_cmp_eq_u32_e32 vcc_lo, 0, v86
	v_add_nc_u32_e32 v86, 0xffffff89, v86
	v_cndmask_b32_e64 v97, v97, 0x77, vcc_lo
	s_delay_alu instid0(VALU_DEP_2) | instskip(SKIP_1) | instid1(VALU_DEP_3)
	v_cndmask_b32_e64 v86, v86, 0xffffff8a, vcc_lo
	v_cndmask_b32_e32 v96, v98, v96, vcc_lo
	v_lshl_add_u32 v98, 0x100000, v97, -1
	v_lshlrev_b32_e64 v101, v97, 0x80000
	s_delay_alu instid0(VALU_DEP_3) | instskip(SKIP_1) | instid1(VALU_DEP_4)
	v_lshrrev_b32_e32 v99, v97, v96
	v_add_nc_u32_e32 v97, v97, v86
	v_and_b32_e32 v96, v98, v96
	s_delay_alu instid0(VALU_DEP_3) | instskip(NEXT) | instid1(VALU_DEP_2)
	v_bfe_u32 v100, v99, 20, 1
	v_cmp_eq_u32_e64 s10, v96, v101
	s_delay_alu instid0(VALU_DEP_2) | instskip(NEXT) | instid1(VALU_DEP_1)
	v_add_nc_u32_e32 v98, -1, v100
	v_cndmask_b32_e64 v96, 0, v98, s10
	v_lshrrev_b32_e32 v98, 23, v99
	s_mov_b32 s10, exec_lo
	s_delay_alu instid0(VALU_DEP_2) | instskip(NEXT) | instid1(VALU_DEP_2)
	v_add_nc_u32_e32 v96, v96, v99
	v_xor_b32_e32 v98, 1, v98
	s_delay_alu instid0(VALU_DEP_2) | instskip(NEXT) | instid1(VALU_DEP_1)
	v_and_b32_e32 v86, 0xfffff, v96
	v_add_nc_u32_e32 v96, v86, v99
                                        ; implicit-def: $vgpr86
	s_delay_alu instid0(VALU_DEP_3)
	v_cmpx_ne_u32_e64 v97, v98
	s_xor_b32 s10, exec_lo, s10
; %bb.5844:                             ;   in Loop: Header=BB4_5816 Depth=2
	s_delay_alu instid0(VALU_DEP_2) | instskip(SKIP_2) | instid1(VALU_DEP_2)
	v_cmp_lt_u32_e32 vcc_lo, 0xffffff, v96
	v_sub_nc_u32_e32 v86, v97, v98
	v_cndmask_b32_e64 v97, 0, 1, vcc_lo
	v_add_co_ci_u32_e32 v86, vcc_lo, 0, v86, vcc_lo
	s_delay_alu instid0(VALU_DEP_2)
	v_lshrrev_b32_e32 v96, v97, v96
; %bb.5845:                             ;   in Loop: Header=BB4_5816 Depth=2
	s_and_not1_saveexec_b32 s10, s10
; %bb.5846:                             ;   in Loop: Header=BB4_5816 Depth=2
	s_delay_alu instid0(VALU_DEP_1)
	v_bfe_u32 v86, v96, 23, 1
; %bb.5847:                             ;   in Loop: Header=BB4_5816 Depth=2
	s_or_b32 exec_lo, exec_lo, s10
	v_lshrrev_b32_e32 v96, 20, v96
	s_delay_alu instid0(VALU_DEP_2) | instskip(SKIP_2) | instid1(VALU_DEP_2)
	v_cmp_gt_i32_e32 vcc_lo, 16, v86
	v_lshrrev_b32_e32 v87, 24, v87
	v_min_i32_e32 v97, 15, v86
	v_dual_cndmask_b32 v96, 7, v96 :: v_dual_and_b32 v87, 0x80, v87
	s_delay_alu instid0(VALU_DEP_1) | instskip(SKIP_1) | instid1(VALU_DEP_2)
	v_or_b32_e32 v86, v86, v96
	v_and_b32_e32 v98, 7, v96
	v_cmp_ne_u32_e32 vcc_lo, 0, v86
	v_lshlrev_b32_e32 v97, 3, v97
	s_delay_alu instid0(VALU_DEP_1) | instskip(NEXT) | instid1(VALU_DEP_1)
	v_or3_b32 v87, v97, v87, v98
	v_cndmask_b32_e32 v86, 0, v87, vcc_lo
.LBB4_5848:                             ;   in Loop: Header=BB4_5816 Depth=2
	s_or_b32 exec_lo, exec_lo, s24
.LBB4_5849:                             ;   in Loop: Header=BB4_5816 Depth=2
	s_delay_alu instid0(SALU_CYCLE_1) | instskip(SKIP_3) | instid1(VALU_DEP_1)
	s_or_b32 exec_lo, exec_lo, s23
	v_lshrrev_b32_e32 v87, 16, v10
	s_mov_b32 s10, 0
	s_mov_b32 s24, exec_lo
                                        ; implicit-def: $sgpr23
	v_and_b32_e32 v97, 0xff, v87
	s_delay_alu instid0(VALU_DEP_1)
	v_cmpx_lt_i16_e32 0x7f, v97
	s_xor_b32 s24, exec_lo, s24
	s_cbranch_execnz .LBB4_6599
; %bb.5850:                             ;   in Loop: Header=BB4_5816 Depth=2
	s_or_saveexec_b32 s24, s24
	v_mov_b32_e32 v96, s23
	s_xor_b32 exec_lo, exec_lo, s24
	s_cbranch_execnz .LBB4_6602
.LBB4_5851:                             ;   in Loop: Header=BB4_5816 Depth=2
	s_or_b32 exec_lo, exec_lo, s24
	s_and_saveexec_b32 s23, s10
	s_cbranch_execz .LBB4_5853
.LBB4_5852:                             ;   in Loop: Header=BB4_5816 Depth=2
	v_bfe_u32 v96, v10, 16, 3
	v_lshlrev_b32_e32 v99, 8, v10
	s_delay_alu instid0(VALU_DEP_2) | instskip(NEXT) | instid1(VALU_DEP_1)
	v_clz_i32_u32_e32 v97, v96
	v_min_u32_e32 v97, 32, v97
	s_delay_alu instid0(VALU_DEP_1) | instskip(SKIP_1) | instid1(VALU_DEP_2)
	v_subrev_nc_u32_e32 v98, 28, v97
	v_sub_nc_u32_e32 v97, 29, v97
	v_lshlrev_b32_e32 v87, v98, v87
	v_bfe_u32 v98, v10, 19, 4
	s_delay_alu instid0(VALU_DEP_2) | instskip(NEXT) | instid1(VALU_DEP_2)
	v_and_b32_e32 v87, 7, v87
	v_cmp_eq_u32_e32 vcc_lo, 0, v98
	v_cndmask_b32_e32 v97, v98, v97, vcc_lo
	s_delay_alu instid0(VALU_DEP_3) | instskip(SKIP_1) | instid1(VALU_DEP_3)
	v_cndmask_b32_e32 v87, v96, v87, vcc_lo
	v_and_b32_e32 v96, 0x80000000, v99
	v_lshl_add_u32 v97, v97, 23, 0x3b800000
	s_delay_alu instid0(VALU_DEP_3) | instskip(NEXT) | instid1(VALU_DEP_1)
	v_lshlrev_b32_e32 v87, 20, v87
	v_or3_b32 v96, v96, v97, v87
.LBB4_5853:                             ;   in Loop: Header=BB4_5816 Depth=2
	s_or_b32 exec_lo, exec_lo, s23
	s_delay_alu instid0(VALU_DEP_1) | instskip(NEXT) | instid1(VALU_DEP_1)
	v_mul_f32_e32 v96, s22, v96
	v_and_b32_e32 v87, 0x7f800000, v96
	s_delay_alu instid0(VALU_DEP_1)
	v_cmp_ne_u32_e32 vcc_lo, 0x7f800000, v87
	v_mov_b32_e32 v87, 0x80
	s_and_saveexec_b32 s23, vcc_lo
	s_cbranch_execz .LBB4_5861
; %bb.5854:                             ;   in Loop: Header=BB4_5816 Depth=2
	v_mov_b32_e32 v87, 0
	s_mov_b32 s24, exec_lo
	v_cmpx_ne_u32_e32 0, v96
	s_cbranch_execz .LBB4_5860
; %bb.5855:                             ;   in Loop: Header=BB4_5816 Depth=2
	v_bfe_u32 v87, v96, 23, 8
	s_delay_alu instid0(VALU_DEP_1) | instskip(SKIP_1) | instid1(VALU_DEP_2)
	v_sub_nc_u32_e32 v98, 0x78, v87
	v_cmp_gt_u32_e32 vcc_lo, 0x79, v87
	v_dual_cndmask_b32 v98, 0, v98 :: v_dual_and_b32 v97, 0x7fffff, v96
	s_delay_alu instid0(VALU_DEP_1) | instskip(SKIP_2) | instid1(VALU_DEP_4)
	v_or_b32_e32 v99, 0x800000, v97
	v_cmp_eq_u32_e32 vcc_lo, 0, v87
	v_add_nc_u32_e32 v87, 0xffffff89, v87
	v_cndmask_b32_e64 v98, v98, 0x77, vcc_lo
	s_delay_alu instid0(VALU_DEP_2) | instskip(SKIP_1) | instid1(VALU_DEP_3)
	v_cndmask_b32_e64 v87, v87, 0xffffff8a, vcc_lo
	v_cndmask_b32_e32 v97, v99, v97, vcc_lo
	v_lshl_add_u32 v99, 0x100000, v98, -1
	v_lshlrev_b32_e64 v102, v98, 0x80000
	s_delay_alu instid0(VALU_DEP_3) | instskip(SKIP_1) | instid1(VALU_DEP_4)
	v_lshrrev_b32_e32 v100, v98, v97
	v_add_nc_u32_e32 v98, v98, v87
	v_and_b32_e32 v97, v99, v97
	s_delay_alu instid0(VALU_DEP_3) | instskip(NEXT) | instid1(VALU_DEP_2)
	v_bfe_u32 v101, v100, 20, 1
	v_cmp_eq_u32_e64 s10, v97, v102
	s_delay_alu instid0(VALU_DEP_2) | instskip(NEXT) | instid1(VALU_DEP_1)
	v_add_nc_u32_e32 v99, -1, v101
	v_cndmask_b32_e64 v97, 0, v99, s10
	v_lshrrev_b32_e32 v99, 23, v100
	s_mov_b32 s10, exec_lo
	s_delay_alu instid0(VALU_DEP_2) | instskip(NEXT) | instid1(VALU_DEP_2)
	v_add_nc_u32_e32 v97, v97, v100
	v_xor_b32_e32 v99, 1, v99
	s_delay_alu instid0(VALU_DEP_2) | instskip(NEXT) | instid1(VALU_DEP_1)
	v_and_b32_e32 v87, 0xfffff, v97
	v_add_nc_u32_e32 v97, v87, v100
                                        ; implicit-def: $vgpr87
	s_delay_alu instid0(VALU_DEP_3)
	v_cmpx_ne_u32_e64 v98, v99
	s_xor_b32 s10, exec_lo, s10
; %bb.5856:                             ;   in Loop: Header=BB4_5816 Depth=2
	s_delay_alu instid0(VALU_DEP_2) | instskip(SKIP_2) | instid1(VALU_DEP_2)
	v_cmp_lt_u32_e32 vcc_lo, 0xffffff, v97
	v_sub_nc_u32_e32 v87, v98, v99
	v_cndmask_b32_e64 v98, 0, 1, vcc_lo
	v_add_co_ci_u32_e32 v87, vcc_lo, 0, v87, vcc_lo
	s_delay_alu instid0(VALU_DEP_2)
	v_lshrrev_b32_e32 v97, v98, v97
; %bb.5857:                             ;   in Loop: Header=BB4_5816 Depth=2
	s_and_not1_saveexec_b32 s10, s10
; %bb.5858:                             ;   in Loop: Header=BB4_5816 Depth=2
	s_delay_alu instid0(VALU_DEP_1)
	v_bfe_u32 v87, v97, 23, 1
; %bb.5859:                             ;   in Loop: Header=BB4_5816 Depth=2
	s_or_b32 exec_lo, exec_lo, s10
	v_lshrrev_b32_e32 v97, 20, v97
	s_delay_alu instid0(VALU_DEP_2) | instskip(SKIP_2) | instid1(VALU_DEP_2)
	v_cmp_gt_i32_e32 vcc_lo, 16, v87
	v_lshrrev_b32_e32 v96, 24, v96
	v_min_i32_e32 v98, 15, v87
	v_dual_cndmask_b32 v97, 7, v97 :: v_dual_and_b32 v96, 0x80, v96
	s_delay_alu instid0(VALU_DEP_1) | instskip(SKIP_1) | instid1(VALU_DEP_2)
	v_or_b32_e32 v87, v87, v97
	v_and_b32_e32 v99, 7, v97
	v_cmp_ne_u32_e32 vcc_lo, 0, v87
	v_lshlrev_b32_e32 v98, 3, v98
	s_delay_alu instid0(VALU_DEP_1) | instskip(NEXT) | instid1(VALU_DEP_1)
	v_or3_b32 v96, v98, v96, v99
	v_cndmask_b32_e32 v87, 0, v96, vcc_lo
.LBB4_5860:                             ;   in Loop: Header=BB4_5816 Depth=2
	s_or_b32 exec_lo, exec_lo, s24
.LBB4_5861:                             ;   in Loop: Header=BB4_5816 Depth=2
	s_delay_alu instid0(SALU_CYCLE_1) | instskip(SKIP_3) | instid1(VALU_DEP_1)
	s_or_b32 exec_lo, exec_lo, s23
	v_lshrrev_b32_e32 v96, 24, v10
	s_mov_b32 s10, 0
	s_mov_b32 s24, exec_lo
                                        ; implicit-def: $sgpr23
	v_cmpx_lt_i16_e32 0x7f, v96
	s_xor_b32 s24, exec_lo, s24
	s_cbranch_execnz .LBB4_6603
; %bb.5862:                             ;   in Loop: Header=BB4_5816 Depth=2
	s_or_saveexec_b32 s24, s24
	v_mov_b32_e32 v97, s23
	s_xor_b32 exec_lo, exec_lo, s24
	s_cbranch_execnz .LBB4_6606
.LBB4_5863:                             ;   in Loop: Header=BB4_5816 Depth=2
	s_or_b32 exec_lo, exec_lo, s24
	s_and_saveexec_b32 s23, s10
	s_cbranch_execz .LBB4_5865
.LBB4_5864:                             ;   in Loop: Header=BB4_5816 Depth=2
	v_bfe_u32 v97, v10, 24, 3
	s_delay_alu instid0(VALU_DEP_1) | instskip(NEXT) | instid1(VALU_DEP_1)
	v_clz_i32_u32_e32 v98, v97
	v_min_u32_e32 v98, 32, v98
	s_delay_alu instid0(VALU_DEP_1) | instskip(SKIP_1) | instid1(VALU_DEP_2)
	v_subrev_nc_u32_e32 v99, 28, v98
	v_sub_nc_u32_e32 v98, 29, v98
	v_lshlrev_b32_e32 v96, v99, v96
	v_bfe_u32 v99, v10, 27, 4
	v_and_b32_e32 v10, 0x80000000, v10
	s_delay_alu instid0(VALU_DEP_3) | instskip(NEXT) | instid1(VALU_DEP_3)
	v_and_b32_e32 v96, 7, v96
	v_cmp_eq_u32_e32 vcc_lo, 0, v99
	v_cndmask_b32_e32 v98, v99, v98, vcc_lo
	s_delay_alu instid0(VALU_DEP_3) | instskip(NEXT) | instid1(VALU_DEP_2)
	v_cndmask_b32_e32 v96, v97, v96, vcc_lo
	v_lshl_add_u32 v97, v98, 23, 0x3b800000
	s_delay_alu instid0(VALU_DEP_2) | instskip(NEXT) | instid1(VALU_DEP_1)
	v_lshlrev_b32_e32 v96, 20, v96
	v_or3_b32 v97, v10, v97, v96
.LBB4_5865:                             ;   in Loop: Header=BB4_5816 Depth=2
	s_or_b32 exec_lo, exec_lo, s23
	s_delay_alu instid0(VALU_DEP_1) | instskip(NEXT) | instid1(VALU_DEP_1)
	v_mul_f32_e32 v10, s22, v97
	v_and_b32_e32 v96, 0x7f800000, v10
	s_delay_alu instid0(VALU_DEP_1)
	v_cmp_ne_u32_e32 vcc_lo, 0x7f800000, v96
	v_mov_b32_e32 v96, 0x80
	s_and_saveexec_b32 s23, vcc_lo
	s_cbranch_execz .LBB4_5873
; %bb.5866:                             ;   in Loop: Header=BB4_5816 Depth=2
	v_mov_b32_e32 v96, 0
	s_mov_b32 s24, exec_lo
	v_cmpx_ne_u32_e32 0, v10
	s_cbranch_execz .LBB4_5872
; %bb.5867:                             ;   in Loop: Header=BB4_5816 Depth=2
	v_bfe_u32 v96, v10, 23, 8
	v_and_b32_e32 v97, 0x7fffff, v10
	s_delay_alu instid0(VALU_DEP_2) | instskip(SKIP_1) | instid1(VALU_DEP_3)
	v_sub_nc_u32_e32 v98, 0x78, v96
	v_cmp_gt_u32_e32 vcc_lo, 0x79, v96
	v_or_b32_e32 v99, 0x800000, v97
	s_delay_alu instid0(VALU_DEP_3) | instskip(SKIP_1) | instid1(VALU_DEP_3)
	v_cndmask_b32_e32 v98, 0, v98, vcc_lo
	v_cmp_eq_u32_e32 vcc_lo, 0, v96
	v_dual_cndmask_b32 v97, v99, v97 :: v_dual_add_nc_u32 v96, 0xffffff89, v96
	s_delay_alu instid0(VALU_DEP_3) | instskip(NEXT) | instid1(VALU_DEP_2)
	v_cndmask_b32_e64 v98, v98, 0x77, vcc_lo
	v_cndmask_b32_e64 v96, v96, 0xffffff8a, vcc_lo
	s_delay_alu instid0(VALU_DEP_2) | instskip(SKIP_2) | instid1(VALU_DEP_4)
	v_lshrrev_b32_e32 v100, v98, v97
	v_lshl_add_u32 v99, 0x100000, v98, -1
	v_lshlrev_b32_e64 v102, v98, 0x80000
	v_add_nc_u32_e32 v98, v98, v96
	s_delay_alu instid0(VALU_DEP_4) | instskip(NEXT) | instid1(VALU_DEP_4)
	v_bfe_u32 v101, v100, 20, 1
	v_and_b32_e32 v97, v99, v97
	s_delay_alu instid0(VALU_DEP_2) | instskip(NEXT) | instid1(VALU_DEP_2)
	v_add_nc_u32_e32 v99, -1, v101
	v_cmp_eq_u32_e64 s10, v97, v102
	s_delay_alu instid0(VALU_DEP_1) | instskip(SKIP_2) | instid1(VALU_DEP_2)
	v_cndmask_b32_e64 v97, 0, v99, s10
	v_lshrrev_b32_e32 v99, 23, v100
	s_mov_b32 s10, exec_lo
	v_add_nc_u32_e32 v97, v97, v100
	s_delay_alu instid0(VALU_DEP_2) | instskip(NEXT) | instid1(VALU_DEP_2)
	v_xor_b32_e32 v99, 1, v99
	v_and_b32_e32 v96, 0xfffff, v97
	s_delay_alu instid0(VALU_DEP_1) | instskip(NEXT) | instid1(VALU_DEP_3)
	v_add_nc_u32_e32 v97, v96, v100
                                        ; implicit-def: $vgpr96
	v_cmpx_ne_u32_e64 v98, v99
	s_xor_b32 s10, exec_lo, s10
; %bb.5868:                             ;   in Loop: Header=BB4_5816 Depth=2
	s_delay_alu instid0(VALU_DEP_2) | instskip(SKIP_2) | instid1(VALU_DEP_2)
	v_cmp_lt_u32_e32 vcc_lo, 0xffffff, v97
	v_sub_nc_u32_e32 v96, v98, v99
	v_cndmask_b32_e64 v98, 0, 1, vcc_lo
	v_add_co_ci_u32_e32 v96, vcc_lo, 0, v96, vcc_lo
	s_delay_alu instid0(VALU_DEP_2)
	v_lshrrev_b32_e32 v97, v98, v97
; %bb.5869:                             ;   in Loop: Header=BB4_5816 Depth=2
	s_and_not1_saveexec_b32 s10, s10
; %bb.5870:                             ;   in Loop: Header=BB4_5816 Depth=2
	s_delay_alu instid0(VALU_DEP_1)
	v_bfe_u32 v96, v97, 23, 1
; %bb.5871:                             ;   in Loop: Header=BB4_5816 Depth=2
	s_or_b32 exec_lo, exec_lo, s10
	v_lshrrev_b32_e32 v97, 20, v97
	s_delay_alu instid0(VALU_DEP_2) | instskip(SKIP_2) | instid1(VALU_DEP_2)
	v_cmp_gt_i32_e32 vcc_lo, 16, v96
	v_lshrrev_b32_e32 v10, 24, v10
	v_min_i32_e32 v98, 15, v96
	v_dual_cndmask_b32 v97, 7, v97 :: v_dual_and_b32 v10, 0x80, v10
	s_delay_alu instid0(VALU_DEP_2) | instskip(NEXT) | instid1(VALU_DEP_2)
	v_lshlrev_b32_e32 v98, 3, v98
	v_or_b32_e32 v96, v96, v97
	s_delay_alu instid0(VALU_DEP_1) | instskip(SKIP_1) | instid1(VALU_DEP_1)
	v_cmp_ne_u32_e32 vcc_lo, 0, v96
	v_and_b32_e32 v99, 7, v97
	v_or3_b32 v10, v98, v10, v99
	s_delay_alu instid0(VALU_DEP_1)
	v_cndmask_b32_e32 v96, 0, v10, vcc_lo
.LBB4_5872:                             ;   in Loop: Header=BB4_5816 Depth=2
	s_or_b32 exec_lo, exec_lo, s24
.LBB4_5873:                             ;   in Loop: Header=BB4_5816 Depth=2
	s_delay_alu instid0(SALU_CYCLE_1) | instskip(SKIP_3) | instid1(VALU_DEP_1)
	s_or_b32 exec_lo, exec_lo, s23
	v_and_b32_e32 v97, 0xff, v11
	s_mov_b32 s10, 0
	s_mov_b32 s24, exec_lo
                                        ; implicit-def: $sgpr23
	v_cmpx_lt_i16_e32 0x7f, v97
	s_xor_b32 s24, exec_lo, s24
	s_cbranch_execnz .LBB4_6607
; %bb.5874:                             ;   in Loop: Header=BB4_5816 Depth=2
	s_or_saveexec_b32 s24, s24
	v_mov_b32_e32 v10, s23
	s_xor_b32 exec_lo, exec_lo, s24
	s_cbranch_execnz .LBB4_6610
.LBB4_5875:                             ;   in Loop: Header=BB4_5816 Depth=2
	s_or_b32 exec_lo, exec_lo, s24
	s_and_saveexec_b32 s23, s10
	s_cbranch_execz .LBB4_5877
.LBB4_5876:                             ;   in Loop: Header=BB4_5816 Depth=2
	v_bfe_u32 v99, v11, 3, 4
	v_lshlrev_b32_e32 v100, 24, v11
	s_delay_alu instid0(VALU_DEP_2) | instskip(SKIP_1) | instid1(VALU_DEP_1)
	v_cmp_eq_u32_e32 vcc_lo, 0, v99
	v_and_b32_e32 v10, 7, v11
	v_clz_i32_u32_e32 v97, v10
	s_delay_alu instid0(VALU_DEP_1) | instskip(NEXT) | instid1(VALU_DEP_1)
	v_min_u32_e32 v97, 32, v97
	v_subrev_nc_u32_e32 v98, 28, v97
	v_sub_nc_u32_e32 v97, 29, v97
	s_delay_alu instid0(VALU_DEP_1) | instskip(NEXT) | instid1(VALU_DEP_1)
	v_dual_cndmask_b32 v97, v99, v97 :: v_dual_lshlrev_b32 v98, v98, v11
	v_and_b32_e32 v98, 7, v98
	s_delay_alu instid0(VALU_DEP_2) | instskip(NEXT) | instid1(VALU_DEP_2)
	v_lshl_add_u32 v97, v97, 23, 0x3b800000
	v_cndmask_b32_e32 v10, v10, v98, vcc_lo
	v_and_b32_e32 v98, 0x80000000, v100
	s_delay_alu instid0(VALU_DEP_2) | instskip(NEXT) | instid1(VALU_DEP_1)
	v_lshlrev_b32_e32 v10, 20, v10
	v_or3_b32 v10, v98, v97, v10
.LBB4_5877:                             ;   in Loop: Header=BB4_5816 Depth=2
	s_or_b32 exec_lo, exec_lo, s23
	s_delay_alu instid0(VALU_DEP_1) | instskip(NEXT) | instid1(VALU_DEP_1)
	v_mul_f32_e32 v10, s22, v10
	v_and_b32_e32 v97, 0x7f800000, v10
	s_delay_alu instid0(VALU_DEP_1)
	v_cmp_ne_u32_e32 vcc_lo, 0x7f800000, v97
	v_mov_b32_e32 v97, 0x80
	s_and_saveexec_b32 s23, vcc_lo
	s_cbranch_execz .LBB4_5885
; %bb.5878:                             ;   in Loop: Header=BB4_5816 Depth=2
	v_mov_b32_e32 v97, 0
	s_mov_b32 s24, exec_lo
	v_cmpx_ne_u32_e32 0, v10
	s_cbranch_execz .LBB4_5884
; %bb.5879:                             ;   in Loop: Header=BB4_5816 Depth=2
	v_bfe_u32 v97, v10, 23, 8
	s_delay_alu instid0(VALU_DEP_1) | instskip(SKIP_1) | instid1(VALU_DEP_2)
	v_sub_nc_u32_e32 v99, 0x78, v97
	v_cmp_gt_u32_e32 vcc_lo, 0x79, v97
	v_dual_cndmask_b32 v99, 0, v99 :: v_dual_and_b32 v98, 0x7fffff, v10
	s_delay_alu instid0(VALU_DEP_1) | instskip(SKIP_2) | instid1(VALU_DEP_4)
	v_or_b32_e32 v100, 0x800000, v98
	v_cmp_eq_u32_e32 vcc_lo, 0, v97
	v_add_nc_u32_e32 v97, 0xffffff89, v97
	v_cndmask_b32_e64 v99, v99, 0x77, vcc_lo
	s_delay_alu instid0(VALU_DEP_4) | instskip(NEXT) | instid1(VALU_DEP_3)
	v_cndmask_b32_e32 v98, v100, v98, vcc_lo
	v_cndmask_b32_e64 v97, v97, 0xffffff8a, vcc_lo
	s_delay_alu instid0(VALU_DEP_3) | instskip(NEXT) | instid1(VALU_DEP_3)
	v_lshl_add_u32 v100, 0x100000, v99, -1
	v_lshrrev_b32_e32 v101, v99, v98
	v_lshlrev_b32_e64 v103, v99, 0x80000
	s_delay_alu instid0(VALU_DEP_4) | instskip(NEXT) | instid1(VALU_DEP_4)
	v_add_nc_u32_e32 v99, v99, v97
	v_and_b32_e32 v98, v100, v98
	s_delay_alu instid0(VALU_DEP_4) | instskip(NEXT) | instid1(VALU_DEP_2)
	v_bfe_u32 v102, v101, 20, 1
	v_cmp_eq_u32_e64 s10, v98, v103
	s_delay_alu instid0(VALU_DEP_2) | instskip(NEXT) | instid1(VALU_DEP_1)
	v_add_nc_u32_e32 v100, -1, v102
	v_cndmask_b32_e64 v98, 0, v100, s10
	v_lshrrev_b32_e32 v100, 23, v101
	s_mov_b32 s10, exec_lo
	s_delay_alu instid0(VALU_DEP_2) | instskip(NEXT) | instid1(VALU_DEP_2)
	v_add_nc_u32_e32 v98, v98, v101
	v_xor_b32_e32 v100, 1, v100
	s_delay_alu instid0(VALU_DEP_2) | instskip(NEXT) | instid1(VALU_DEP_1)
	v_and_b32_e32 v97, 0xfffff, v98
	v_add_nc_u32_e32 v98, v97, v101
                                        ; implicit-def: $vgpr97
	s_delay_alu instid0(VALU_DEP_3)
	v_cmpx_ne_u32_e64 v99, v100
	s_xor_b32 s10, exec_lo, s10
; %bb.5880:                             ;   in Loop: Header=BB4_5816 Depth=2
	s_delay_alu instid0(VALU_DEP_2) | instskip(SKIP_2) | instid1(VALU_DEP_2)
	v_cmp_lt_u32_e32 vcc_lo, 0xffffff, v98
	v_sub_nc_u32_e32 v97, v99, v100
	v_cndmask_b32_e64 v99, 0, 1, vcc_lo
	v_add_co_ci_u32_e32 v97, vcc_lo, 0, v97, vcc_lo
	s_delay_alu instid0(VALU_DEP_2)
	v_lshrrev_b32_e32 v98, v99, v98
; %bb.5881:                             ;   in Loop: Header=BB4_5816 Depth=2
	s_and_not1_saveexec_b32 s10, s10
; %bb.5882:                             ;   in Loop: Header=BB4_5816 Depth=2
	s_delay_alu instid0(VALU_DEP_1)
	v_bfe_u32 v97, v98, 23, 1
; %bb.5883:                             ;   in Loop: Header=BB4_5816 Depth=2
	s_or_b32 exec_lo, exec_lo, s10
	v_lshrrev_b32_e32 v98, 20, v98
	s_delay_alu instid0(VALU_DEP_2) | instskip(SKIP_2) | instid1(VALU_DEP_3)
	v_min_i32_e32 v99, 15, v97
	v_cmp_gt_i32_e32 vcc_lo, 16, v97
	v_lshrrev_b32_e32 v10, 24, v10
	v_dual_cndmask_b32 v98, 7, v98 :: v_dual_lshlrev_b32 v99, 3, v99
	s_delay_alu instid0(VALU_DEP_2) | instskip(NEXT) | instid1(VALU_DEP_2)
	v_and_b32_e32 v10, 0x80, v10
	v_and_b32_e32 v99, 0xf8, v99
	s_delay_alu instid0(VALU_DEP_3) | instskip(SKIP_1) | instid1(VALU_DEP_2)
	v_and_b32_e32 v100, 7, v98
	v_or_b32_e32 v97, v97, v98
	v_or3_b32 v10, v99, v10, v100
	s_delay_alu instid0(VALU_DEP_2) | instskip(NEXT) | instid1(VALU_DEP_2)
	v_cmp_ne_u32_e32 vcc_lo, 0, v97
	v_cndmask_b32_e32 v97, 0, v10, vcc_lo
.LBB4_5884:                             ;   in Loop: Header=BB4_5816 Depth=2
	s_or_b32 exec_lo, exec_lo, s24
.LBB4_5885:                             ;   in Loop: Header=BB4_5816 Depth=2
	s_delay_alu instid0(SALU_CYCLE_1) | instskip(SKIP_3) | instid1(VALU_DEP_1)
	s_or_b32 exec_lo, exec_lo, s23
	v_lshrrev_b16 v10, 8, v11
	s_mov_b32 s10, 0
	s_mov_b32 s24, exec_lo
                                        ; implicit-def: $sgpr23
	v_cmpx_lt_i16_e32 0x7f, v10
	s_xor_b32 s24, exec_lo, s24
	s_cbranch_execnz .LBB4_6611
; %bb.5886:                             ;   in Loop: Header=BB4_5816 Depth=2
	s_or_saveexec_b32 s24, s24
	v_mov_b32_e32 v98, s23
	s_xor_b32 exec_lo, exec_lo, s24
	s_cbranch_execnz .LBB4_6614
.LBB4_5887:                             ;   in Loop: Header=BB4_5816 Depth=2
	s_or_b32 exec_lo, exec_lo, s24
	s_and_saveexec_b32 s23, s10
	s_cbranch_execz .LBB4_5889
.LBB4_5888:                             ;   in Loop: Header=BB4_5816 Depth=2
	v_and_b32_e32 v98, 0xffff, v10
	v_lshlrev_b32_e32 v10, 24, v10
	s_delay_alu instid0(VALU_DEP_2) | instskip(NEXT) | instid1(VALU_DEP_2)
	v_and_b32_e32 v99, 7, v98
	v_and_b32_e32 v10, 0x80000000, v10
	s_delay_alu instid0(VALU_DEP_2) | instskip(NEXT) | instid1(VALU_DEP_1)
	v_clz_i32_u32_e32 v100, v99
	v_min_u32_e32 v100, 32, v100
	s_delay_alu instid0(VALU_DEP_1) | instskip(SKIP_1) | instid1(VALU_DEP_2)
	v_subrev_nc_u32_e32 v101, 28, v100
	v_sub_nc_u32_e32 v100, 29, v100
	v_lshlrev_b32_e32 v101, v101, v98
	v_bfe_u32 v98, v98, 3, 4
	s_delay_alu instid0(VALU_DEP_2) | instskip(NEXT) | instid1(VALU_DEP_2)
	v_and_b32_e32 v101, 7, v101
	v_cmp_eq_u32_e32 vcc_lo, 0, v98
	s_delay_alu instid0(VALU_DEP_2) | instskip(NEXT) | instid1(VALU_DEP_1)
	v_dual_cndmask_b32 v98, v98, v100 :: v_dual_cndmask_b32 v99, v99, v101
	v_lshl_add_u32 v98, v98, 23, 0x3b800000
	s_delay_alu instid0(VALU_DEP_2) | instskip(NEXT) | instid1(VALU_DEP_1)
	v_lshlrev_b32_e32 v99, 20, v99
	v_or3_b32 v98, v10, v98, v99
.LBB4_5889:                             ;   in Loop: Header=BB4_5816 Depth=2
	s_or_b32 exec_lo, exec_lo, s23
	s_delay_alu instid0(VALU_DEP_1) | instskip(NEXT) | instid1(VALU_DEP_1)
	v_mul_f32_e32 v10, s22, v98
	v_and_b32_e32 v98, 0x7f800000, v10
	s_delay_alu instid0(VALU_DEP_1)
	v_cmp_ne_u32_e32 vcc_lo, 0x7f800000, v98
	v_mov_b32_e32 v98, 0x8000
	s_and_saveexec_b32 s23, vcc_lo
	s_cbranch_execz .LBB4_5897
; %bb.5890:                             ;   in Loop: Header=BB4_5816 Depth=2
	v_mov_b32_e32 v98, 0
	s_mov_b32 s24, exec_lo
	v_cmpx_ne_u32_e32 0, v10
	s_cbranch_execz .LBB4_5896
; %bb.5891:                             ;   in Loop: Header=BB4_5816 Depth=2
	v_bfe_u32 v98, v10, 23, 8
	s_delay_alu instid0(VALU_DEP_1) | instskip(SKIP_1) | instid1(VALU_DEP_2)
	v_sub_nc_u32_e32 v100, 0x78, v98
	v_cmp_gt_u32_e32 vcc_lo, 0x79, v98
	v_dual_cndmask_b32 v100, 0, v100 :: v_dual_and_b32 v99, 0x7fffff, v10
	s_delay_alu instid0(VALU_DEP_1) | instskip(SKIP_2) | instid1(VALU_DEP_4)
	v_or_b32_e32 v101, 0x800000, v99
	v_cmp_eq_u32_e32 vcc_lo, 0, v98
	v_add_nc_u32_e32 v98, 0xffffff89, v98
	v_cndmask_b32_e64 v100, v100, 0x77, vcc_lo
	s_delay_alu instid0(VALU_DEP_4) | instskip(NEXT) | instid1(VALU_DEP_3)
	v_cndmask_b32_e32 v99, v101, v99, vcc_lo
	v_cndmask_b32_e64 v98, v98, 0xffffff8a, vcc_lo
	s_delay_alu instid0(VALU_DEP_3) | instskip(NEXT) | instid1(VALU_DEP_3)
	v_lshl_add_u32 v101, 0x100000, v100, -1
	v_lshrrev_b32_e32 v102, v100, v99
	v_lshlrev_b32_e64 v112, v100, 0x80000
	s_delay_alu instid0(VALU_DEP_4) | instskip(NEXT) | instid1(VALU_DEP_4)
	v_add_nc_u32_e32 v100, v100, v98
	v_and_b32_e32 v99, v101, v99
	s_delay_alu instid0(VALU_DEP_4) | instskip(NEXT) | instid1(VALU_DEP_2)
	v_bfe_u32 v103, v102, 20, 1
	v_cmp_eq_u32_e64 s10, v99, v112
	s_delay_alu instid0(VALU_DEP_2) | instskip(NEXT) | instid1(VALU_DEP_1)
	v_add_nc_u32_e32 v101, -1, v103
	v_cndmask_b32_e64 v99, 0, v101, s10
	v_lshrrev_b32_e32 v101, 23, v102
	s_mov_b32 s10, exec_lo
	s_delay_alu instid0(VALU_DEP_2) | instskip(NEXT) | instid1(VALU_DEP_2)
	v_add_nc_u32_e32 v99, v99, v102
	v_xor_b32_e32 v101, 1, v101
	s_delay_alu instid0(VALU_DEP_2) | instskip(NEXT) | instid1(VALU_DEP_1)
	v_and_b32_e32 v98, 0xfffff, v99
	v_add_nc_u32_e32 v99, v98, v102
                                        ; implicit-def: $vgpr98
	s_delay_alu instid0(VALU_DEP_3)
	v_cmpx_ne_u32_e64 v100, v101
	s_xor_b32 s10, exec_lo, s10
; %bb.5892:                             ;   in Loop: Header=BB4_5816 Depth=2
	s_delay_alu instid0(VALU_DEP_2) | instskip(SKIP_2) | instid1(VALU_DEP_2)
	v_cmp_lt_u32_e32 vcc_lo, 0xffffff, v99
	v_sub_nc_u32_e32 v98, v100, v101
	v_cndmask_b32_e64 v100, 0, 1, vcc_lo
	v_add_co_ci_u32_e32 v98, vcc_lo, 0, v98, vcc_lo
	s_delay_alu instid0(VALU_DEP_2)
	v_lshrrev_b32_e32 v99, v100, v99
; %bb.5893:                             ;   in Loop: Header=BB4_5816 Depth=2
	s_and_not1_saveexec_b32 s10, s10
; %bb.5894:                             ;   in Loop: Header=BB4_5816 Depth=2
	s_delay_alu instid0(VALU_DEP_1)
	v_bfe_u32 v98, v99, 23, 1
; %bb.5895:                             ;   in Loop: Header=BB4_5816 Depth=2
	s_or_b32 exec_lo, exec_lo, s10
	v_lshrrev_b32_e32 v99, 20, v99
	s_delay_alu instid0(VALU_DEP_2) | instskip(SKIP_2) | instid1(VALU_DEP_2)
	v_cmp_gt_i32_e32 vcc_lo, 16, v98
	v_min_i32_e32 v100, 15, v98
	v_lshrrev_b32_e32 v10, 24, v10
	v_dual_cndmask_b32 v99, 7, v99 :: v_dual_lshlrev_b32 v100, 3, v100
	s_delay_alu instid0(VALU_DEP_2) | instskip(NEXT) | instid1(VALU_DEP_2)
	v_and_b32_e32 v10, 0x80, v10
	v_or_b32_e32 v98, v98, v99
	s_delay_alu instid0(VALU_DEP_3) | instskip(NEXT) | instid1(VALU_DEP_2)
	v_and_b32_e32 v100, 0xf8, v100
	v_cmp_ne_u32_e32 vcc_lo, 0, v98
	v_and_b32_e32 v101, 7, v99
	s_delay_alu instid0(VALU_DEP_1) | instskip(NEXT) | instid1(VALU_DEP_1)
	v_or3_b32 v10, v10, v100, v101
	v_lshlrev_b32_e32 v10, 8, v10
	s_delay_alu instid0(VALU_DEP_1)
	v_cndmask_b32_e32 v98, 0, v10, vcc_lo
.LBB4_5896:                             ;   in Loop: Header=BB4_5816 Depth=2
	s_or_b32 exec_lo, exec_lo, s24
.LBB4_5897:                             ;   in Loop: Header=BB4_5816 Depth=2
	s_delay_alu instid0(SALU_CYCLE_1) | instskip(SKIP_3) | instid1(VALU_DEP_1)
	s_or_b32 exec_lo, exec_lo, s23
	v_lshrrev_b32_e32 v10, 16, v11
	s_mov_b32 s10, 0
	s_mov_b32 s24, exec_lo
                                        ; implicit-def: $sgpr23
	v_and_b32_e32 v100, 0xff, v10
	s_delay_alu instid0(VALU_DEP_1)
	v_cmpx_lt_i16_e32 0x7f, v100
	s_xor_b32 s24, exec_lo, s24
	s_cbranch_execnz .LBB4_6615
; %bb.5898:                             ;   in Loop: Header=BB4_5816 Depth=2
	s_or_saveexec_b32 s24, s24
	v_mov_b32_e32 v99, s23
	s_xor_b32 exec_lo, exec_lo, s24
	s_cbranch_execnz .LBB4_6618
.LBB4_5899:                             ;   in Loop: Header=BB4_5816 Depth=2
	s_or_b32 exec_lo, exec_lo, s24
	s_and_saveexec_b32 s23, s10
	s_cbranch_execz .LBB4_5901
.LBB4_5900:                             ;   in Loop: Header=BB4_5816 Depth=2
	v_bfe_u32 v99, v11, 16, 3
	v_lshlrev_b32_e32 v102, 8, v11
	s_delay_alu instid0(VALU_DEP_2) | instskip(NEXT) | instid1(VALU_DEP_1)
	v_clz_i32_u32_e32 v100, v99
	v_min_u32_e32 v100, 32, v100
	s_delay_alu instid0(VALU_DEP_1) | instskip(SKIP_1) | instid1(VALU_DEP_2)
	v_subrev_nc_u32_e32 v101, 28, v100
	v_sub_nc_u32_e32 v100, 29, v100
	v_lshlrev_b32_e32 v10, v101, v10
	v_bfe_u32 v101, v11, 19, 4
	s_delay_alu instid0(VALU_DEP_2) | instskip(NEXT) | instid1(VALU_DEP_2)
	v_and_b32_e32 v10, 7, v10
	v_cmp_eq_u32_e32 vcc_lo, 0, v101
	v_cndmask_b32_e32 v100, v101, v100, vcc_lo
	s_delay_alu instid0(VALU_DEP_3) | instskip(SKIP_1) | instid1(VALU_DEP_3)
	v_cndmask_b32_e32 v10, v99, v10, vcc_lo
	v_and_b32_e32 v99, 0x80000000, v102
	v_lshl_add_u32 v100, v100, 23, 0x3b800000
	s_delay_alu instid0(VALU_DEP_3) | instskip(NEXT) | instid1(VALU_DEP_1)
	v_lshlrev_b32_e32 v10, 20, v10
	v_or3_b32 v99, v99, v100, v10
.LBB4_5901:                             ;   in Loop: Header=BB4_5816 Depth=2
	s_or_b32 exec_lo, exec_lo, s23
	s_delay_alu instid0(VALU_DEP_1) | instskip(NEXT) | instid1(VALU_DEP_1)
	v_mul_f32_e32 v10, s22, v99
	v_and_b32_e32 v99, 0x7f800000, v10
	s_delay_alu instid0(VALU_DEP_1)
	v_cmp_ne_u32_e32 vcc_lo, 0x7f800000, v99
	v_mov_b32_e32 v99, 0x80
	s_and_saveexec_b32 s23, vcc_lo
	s_cbranch_execz .LBB4_5909
; %bb.5902:                             ;   in Loop: Header=BB4_5816 Depth=2
	v_mov_b32_e32 v99, 0
	s_mov_b32 s24, exec_lo
	v_cmpx_ne_u32_e32 0, v10
	s_cbranch_execz .LBB4_5908
; %bb.5903:                             ;   in Loop: Header=BB4_5816 Depth=2
	v_bfe_u32 v99, v10, 23, 8
	s_delay_alu instid0(VALU_DEP_1) | instskip(SKIP_1) | instid1(VALU_DEP_2)
	v_sub_nc_u32_e32 v101, 0x78, v99
	v_cmp_gt_u32_e32 vcc_lo, 0x79, v99
	v_dual_cndmask_b32 v101, 0, v101 :: v_dual_and_b32 v100, 0x7fffff, v10
	s_delay_alu instid0(VALU_DEP_1) | instskip(SKIP_2) | instid1(VALU_DEP_4)
	v_or_b32_e32 v102, 0x800000, v100
	v_cmp_eq_u32_e32 vcc_lo, 0, v99
	v_add_nc_u32_e32 v99, 0xffffff89, v99
	v_cndmask_b32_e64 v101, v101, 0x77, vcc_lo
	s_delay_alu instid0(VALU_DEP_4) | instskip(NEXT) | instid1(VALU_DEP_3)
	v_cndmask_b32_e32 v100, v102, v100, vcc_lo
	v_cndmask_b32_e64 v99, v99, 0xffffff8a, vcc_lo
	s_delay_alu instid0(VALU_DEP_3) | instskip(NEXT) | instid1(VALU_DEP_3)
	v_lshl_add_u32 v102, 0x100000, v101, -1
	v_lshrrev_b32_e32 v103, v101, v100
	v_lshlrev_b32_e64 v113, v101, 0x80000
	s_delay_alu instid0(VALU_DEP_4) | instskip(NEXT) | instid1(VALU_DEP_4)
	v_add_nc_u32_e32 v101, v101, v99
	v_and_b32_e32 v100, v102, v100
	s_delay_alu instid0(VALU_DEP_4) | instskip(NEXT) | instid1(VALU_DEP_2)
	v_bfe_u32 v112, v103, 20, 1
	v_cmp_eq_u32_e64 s10, v100, v113
	s_delay_alu instid0(VALU_DEP_2) | instskip(NEXT) | instid1(VALU_DEP_1)
	v_add_nc_u32_e32 v102, -1, v112
	v_cndmask_b32_e64 v100, 0, v102, s10
	v_lshrrev_b32_e32 v102, 23, v103
	s_mov_b32 s10, exec_lo
	s_delay_alu instid0(VALU_DEP_2) | instskip(NEXT) | instid1(VALU_DEP_2)
	v_add_nc_u32_e32 v100, v100, v103
	v_xor_b32_e32 v102, 1, v102
	s_delay_alu instid0(VALU_DEP_2) | instskip(NEXT) | instid1(VALU_DEP_1)
	v_and_b32_e32 v99, 0xfffff, v100
	v_add_nc_u32_e32 v100, v99, v103
                                        ; implicit-def: $vgpr99
	s_delay_alu instid0(VALU_DEP_3)
	v_cmpx_ne_u32_e64 v101, v102
	s_xor_b32 s10, exec_lo, s10
; %bb.5904:                             ;   in Loop: Header=BB4_5816 Depth=2
	s_delay_alu instid0(VALU_DEP_2) | instskip(SKIP_2) | instid1(VALU_DEP_2)
	v_cmp_lt_u32_e32 vcc_lo, 0xffffff, v100
	v_sub_nc_u32_e32 v99, v101, v102
	v_cndmask_b32_e64 v101, 0, 1, vcc_lo
	v_add_co_ci_u32_e32 v99, vcc_lo, 0, v99, vcc_lo
	s_delay_alu instid0(VALU_DEP_2)
	v_lshrrev_b32_e32 v100, v101, v100
; %bb.5905:                             ;   in Loop: Header=BB4_5816 Depth=2
	s_and_not1_saveexec_b32 s10, s10
; %bb.5906:                             ;   in Loop: Header=BB4_5816 Depth=2
	s_delay_alu instid0(VALU_DEP_1)
	v_bfe_u32 v99, v100, 23, 1
; %bb.5907:                             ;   in Loop: Header=BB4_5816 Depth=2
	s_or_b32 exec_lo, exec_lo, s10
	v_lshrrev_b32_e32 v100, 20, v100
	s_delay_alu instid0(VALU_DEP_2) | instskip(SKIP_2) | instid1(VALU_DEP_2)
	v_cmp_gt_i32_e32 vcc_lo, 16, v99
	v_min_i32_e32 v101, 15, v99
	v_lshrrev_b32_e32 v10, 24, v10
	v_dual_cndmask_b32 v100, 7, v100 :: v_dual_lshlrev_b32 v101, 3, v101
	s_delay_alu instid0(VALU_DEP_2) | instskip(NEXT) | instid1(VALU_DEP_2)
	v_and_b32_e32 v10, 0x80, v10
	v_or_b32_e32 v99, v99, v100
	s_delay_alu instid0(VALU_DEP_3) | instskip(NEXT) | instid1(VALU_DEP_2)
	v_and_b32_e32 v101, 0xf8, v101
	v_cmp_ne_u32_e32 vcc_lo, 0, v99
	v_and_b32_e32 v102, 7, v100
	s_delay_alu instid0(VALU_DEP_1) | instskip(NEXT) | instid1(VALU_DEP_1)
	v_or3_b32 v10, v101, v10, v102
	v_cndmask_b32_e32 v99, 0, v10, vcc_lo
.LBB4_5908:                             ;   in Loop: Header=BB4_5816 Depth=2
	s_or_b32 exec_lo, exec_lo, s24
.LBB4_5909:                             ;   in Loop: Header=BB4_5816 Depth=2
	s_delay_alu instid0(SALU_CYCLE_1) | instskip(SKIP_3) | instid1(VALU_DEP_1)
	s_or_b32 exec_lo, exec_lo, s23
	v_lshrrev_b32_e32 v10, 24, v11
	s_mov_b32 s10, 0
	s_mov_b32 s24, exec_lo
                                        ; implicit-def: $sgpr23
	v_cmpx_lt_i16_e32 0x7f, v10
	s_xor_b32 s24, exec_lo, s24
	s_cbranch_execnz .LBB4_6619
; %bb.5910:                             ;   in Loop: Header=BB4_5816 Depth=2
	s_or_saveexec_b32 s24, s24
	v_mov_b32_e32 v100, s23
	s_xor_b32 exec_lo, exec_lo, s24
	s_cbranch_execnz .LBB4_6622
.LBB4_5911:                             ;   in Loop: Header=BB4_5816 Depth=2
	s_or_b32 exec_lo, exec_lo, s24
	s_and_saveexec_b32 s23, s10
	s_cbranch_execz .LBB4_5913
.LBB4_5912:                             ;   in Loop: Header=BB4_5816 Depth=2
	v_bfe_u32 v100, v11, 24, 3
	s_delay_alu instid0(VALU_DEP_1) | instskip(NEXT) | instid1(VALU_DEP_1)
	v_clz_i32_u32_e32 v101, v100
	v_min_u32_e32 v101, 32, v101
	s_delay_alu instid0(VALU_DEP_1) | instskip(SKIP_1) | instid1(VALU_DEP_2)
	v_subrev_nc_u32_e32 v102, 28, v101
	v_sub_nc_u32_e32 v101, 29, v101
	v_lshlrev_b32_e32 v10, v102, v10
	v_bfe_u32 v102, v11, 27, 4
	v_and_b32_e32 v11, 0x80000000, v11
	s_delay_alu instid0(VALU_DEP_2) | instskip(NEXT) | instid1(VALU_DEP_4)
	v_cmp_eq_u32_e32 vcc_lo, 0, v102
	v_dual_cndmask_b32 v101, v102, v101 :: v_dual_and_b32 v10, 7, v10
	s_delay_alu instid0(VALU_DEP_1) | instskip(NEXT) | instid1(VALU_DEP_2)
	v_cndmask_b32_e32 v10, v100, v10, vcc_lo
	v_lshl_add_u32 v100, v101, 23, 0x3b800000
	s_delay_alu instid0(VALU_DEP_2) | instskip(NEXT) | instid1(VALU_DEP_1)
	v_lshlrev_b32_e32 v10, 20, v10
	v_or3_b32 v100, v11, v100, v10
.LBB4_5913:                             ;   in Loop: Header=BB4_5816 Depth=2
	s_or_b32 exec_lo, exec_lo, s23
	s_delay_alu instid0(VALU_DEP_1) | instskip(SKIP_2) | instid1(VALU_DEP_2)
	v_mul_f32_e32 v10, s22, v100
	v_mov_b32_e32 v100, 0x8000
	s_mov_b32 s23, exec_lo
	v_and_b32_e32 v11, 0x7f800000, v10
	s_delay_alu instid0(VALU_DEP_1)
	v_cmpx_ne_u32_e32 0x7f800000, v11
	s_cbranch_execz .LBB4_5921
; %bb.5914:                             ;   in Loop: Header=BB4_5816 Depth=2
	v_mov_b32_e32 v100, 0
	s_mov_b32 s24, exec_lo
	v_cmpx_ne_u32_e32 0, v10
	s_cbranch_execz .LBB4_5920
; %bb.5915:                             ;   in Loop: Header=BB4_5816 Depth=2
	v_bfe_u32 v11, v10, 23, 8
	s_delay_alu instid0(VALU_DEP_1) | instskip(SKIP_1) | instid1(VALU_DEP_2)
	v_sub_nc_u32_e32 v101, 0x78, v11
	v_cmp_gt_u32_e32 vcc_lo, 0x79, v11
	v_dual_cndmask_b32 v101, 0, v101 :: v_dual_and_b32 v100, 0x7fffff, v10
	s_delay_alu instid0(VALU_DEP_1) | instskip(SKIP_2) | instid1(VALU_DEP_4)
	v_or_b32_e32 v102, 0x800000, v100
	v_cmp_eq_u32_e32 vcc_lo, 0, v11
	v_add_nc_u32_e32 v11, 0xffffff89, v11
	v_cndmask_b32_e64 v101, v101, 0x77, vcc_lo
	s_delay_alu instid0(VALU_DEP_4) | instskip(NEXT) | instid1(VALU_DEP_3)
	v_cndmask_b32_e32 v100, v102, v100, vcc_lo
	v_cndmask_b32_e64 v11, v11, 0xffffff8a, vcc_lo
	s_delay_alu instid0(VALU_DEP_3) | instskip(NEXT) | instid1(VALU_DEP_3)
	v_lshl_add_u32 v102, 0x100000, v101, -1
	v_lshrrev_b32_e32 v103, v101, v100
	v_lshlrev_b32_e64 v113, v101, 0x80000
	s_delay_alu instid0(VALU_DEP_4) | instskip(NEXT) | instid1(VALU_DEP_4)
	v_add_nc_u32_e32 v101, v101, v11
	v_and_b32_e32 v100, v102, v100
	s_delay_alu instid0(VALU_DEP_4) | instskip(NEXT) | instid1(VALU_DEP_2)
	v_bfe_u32 v112, v103, 20, 1
	v_cmp_eq_u32_e64 s10, v100, v113
	s_delay_alu instid0(VALU_DEP_2) | instskip(NEXT) | instid1(VALU_DEP_1)
	v_add_nc_u32_e32 v102, -1, v112
	v_cndmask_b32_e64 v100, 0, v102, s10
	v_lshrrev_b32_e32 v102, 23, v103
	s_mov_b32 s10, exec_lo
	s_delay_alu instid0(VALU_DEP_2) | instskip(NEXT) | instid1(VALU_DEP_2)
	v_add_nc_u32_e32 v100, v100, v103
	v_xor_b32_e32 v102, 1, v102
	s_delay_alu instid0(VALU_DEP_2) | instskip(NEXT) | instid1(VALU_DEP_1)
	v_and_b32_e32 v11, 0xfffff, v100
	v_add_nc_u32_e32 v100, v11, v103
                                        ; implicit-def: $vgpr11
	s_delay_alu instid0(VALU_DEP_3)
	v_cmpx_ne_u32_e64 v101, v102
	s_xor_b32 s10, exec_lo, s10
; %bb.5916:                             ;   in Loop: Header=BB4_5816 Depth=2
	s_delay_alu instid0(VALU_DEP_2) | instskip(SKIP_2) | instid1(VALU_DEP_2)
	v_cmp_lt_u32_e32 vcc_lo, 0xffffff, v100
	v_sub_nc_u32_e32 v11, v101, v102
	v_cndmask_b32_e64 v101, 0, 1, vcc_lo
	v_add_co_ci_u32_e32 v11, vcc_lo, 0, v11, vcc_lo
	s_delay_alu instid0(VALU_DEP_2)
	v_lshrrev_b32_e32 v100, v101, v100
; %bb.5917:                             ;   in Loop: Header=BB4_5816 Depth=2
	s_and_not1_saveexec_b32 s10, s10
; %bb.5918:                             ;   in Loop: Header=BB4_5816 Depth=2
	s_delay_alu instid0(VALU_DEP_1)
	v_bfe_u32 v11, v100, 23, 1
; %bb.5919:                             ;   in Loop: Header=BB4_5816 Depth=2
	s_or_b32 exec_lo, exec_lo, s10
	v_lshrrev_b32_e32 v100, 20, v100
	s_delay_alu instid0(VALU_DEP_2) | instskip(SKIP_2) | instid1(VALU_DEP_2)
	v_cmp_gt_i32_e32 vcc_lo, 16, v11
	v_min_i32_e32 v101, 15, v11
	v_lshrrev_b32_e32 v10, 24, v10
	v_dual_cndmask_b32 v100, 7, v100 :: v_dual_lshlrev_b32 v101, 3, v101
	s_delay_alu instid0(VALU_DEP_2) | instskip(NEXT) | instid1(VALU_DEP_2)
	v_and_b32_e32 v10, 0x80, v10
	v_or_b32_e32 v11, v11, v100
	v_and_b32_e32 v102, 7, v100
	s_delay_alu instid0(VALU_DEP_2) | instskip(SKIP_1) | instid1(VALU_DEP_1)
	v_cmp_ne_u32_e32 vcc_lo, 0, v11
	v_and_b32_e32 v101, 0xf8, v101
	v_or3_b32 v10, v10, v101, v102
	s_delay_alu instid0(VALU_DEP_1) | instskip(NEXT) | instid1(VALU_DEP_1)
	v_lshlrev_b32_e32 v10, 8, v10
	v_cndmask_b32_e32 v100, 0, v10, vcc_lo
.LBB4_5920:                             ;   in Loop: Header=BB4_5816 Depth=2
	s_or_b32 exec_lo, exec_lo, s24
.LBB4_5921:                             ;   in Loop: Header=BB4_5816 Depth=2
	s_delay_alu instid0(SALU_CYCLE_1) | instskip(SKIP_3) | instid1(VALU_DEP_1)
	s_or_b32 exec_lo, exec_lo, s23
	v_and_b32_e32 v11, 0xff, v12
	s_mov_b32 s10, 0
	s_mov_b32 s24, exec_lo
                                        ; implicit-def: $sgpr23
	v_cmpx_lt_i16_e32 0x7f, v11
	s_xor_b32 s24, exec_lo, s24
	s_cbranch_execnz .LBB4_6623
; %bb.5922:                             ;   in Loop: Header=BB4_5816 Depth=2
	s_or_saveexec_b32 s24, s24
	v_mov_b32_e32 v10, s23
	s_xor_b32 exec_lo, exec_lo, s24
	s_cbranch_execnz .LBB4_6626
.LBB4_5923:                             ;   in Loop: Header=BB4_5816 Depth=2
	s_or_b32 exec_lo, exec_lo, s24
	s_and_saveexec_b32 s23, s10
	s_cbranch_execz .LBB4_5925
.LBB4_5924:                             ;   in Loop: Header=BB4_5816 Depth=2
	v_bfe_u32 v102, v12, 3, 4
	s_delay_alu instid0(VALU_DEP_1) | instskip(SKIP_1) | instid1(VALU_DEP_1)
	v_cmp_eq_u32_e32 vcc_lo, 0, v102
	v_and_b32_e32 v10, 7, v12
	v_clz_i32_u32_e32 v11, v10
	s_delay_alu instid0(VALU_DEP_1) | instskip(NEXT) | instid1(VALU_DEP_1)
	v_min_u32_e32 v11, 32, v11
	v_subrev_nc_u32_e32 v101, 28, v11
	v_sub_nc_u32_e32 v11, 29, v11
	s_delay_alu instid0(VALU_DEP_2) | instskip(NEXT) | instid1(VALU_DEP_2)
	v_lshlrev_b32_e32 v101, v101, v12
	v_cndmask_b32_e32 v11, v102, v11, vcc_lo
	s_delay_alu instid0(VALU_DEP_2) | instskip(SKIP_1) | instid1(VALU_DEP_3)
	v_and_b32_e32 v101, 7, v101
	v_lshlrev_b32_e32 v103, 24, v12
	v_lshl_add_u32 v11, v11, 23, 0x3b800000
	s_delay_alu instid0(VALU_DEP_2) | instskip(NEXT) | instid1(VALU_DEP_1)
	v_dual_cndmask_b32 v10, v10, v101 :: v_dual_and_b32 v101, 0x80000000, v103
	v_lshlrev_b32_e32 v10, 20, v10
	s_delay_alu instid0(VALU_DEP_1)
	v_or3_b32 v10, v101, v11, v10
.LBB4_5925:                             ;   in Loop: Header=BB4_5816 Depth=2
	s_or_b32 exec_lo, exec_lo, s23
	s_delay_alu instid0(VALU_DEP_1) | instskip(SKIP_1) | instid1(VALU_DEP_1)
	v_dual_mul_f32 v10, s22, v10 :: v_dual_mov_b32 v101, 0x80
	s_mov_b32 s23, exec_lo
	v_and_b32_e32 v11, 0x7f800000, v10
	s_delay_alu instid0(VALU_DEP_1)
	v_cmpx_ne_u32_e32 0x7f800000, v11
	s_cbranch_execz .LBB4_5933
; %bb.5926:                             ;   in Loop: Header=BB4_5816 Depth=2
	v_mov_b32_e32 v101, 0
	s_mov_b32 s24, exec_lo
	v_cmpx_ne_u32_e32 0, v10
	s_cbranch_execz .LBB4_5932
; %bb.5927:                             ;   in Loop: Header=BB4_5816 Depth=2
	v_bfe_u32 v11, v10, 23, 8
	v_and_b32_e32 v101, 0x7fffff, v10
	s_delay_alu instid0(VALU_DEP_2) | instskip(SKIP_1) | instid1(VALU_DEP_3)
	v_sub_nc_u32_e32 v102, 0x78, v11
	v_cmp_gt_u32_e32 vcc_lo, 0x79, v11
	v_or_b32_e32 v103, 0x800000, v101
	s_delay_alu instid0(VALU_DEP_3) | instskip(SKIP_2) | instid1(VALU_DEP_4)
	v_cndmask_b32_e32 v102, 0, v102, vcc_lo
	v_cmp_eq_u32_e32 vcc_lo, 0, v11
	v_add_nc_u32_e32 v11, 0xffffff89, v11
	v_cndmask_b32_e32 v101, v103, v101, vcc_lo
	s_delay_alu instid0(VALU_DEP_4) | instskip(NEXT) | instid1(VALU_DEP_3)
	v_cndmask_b32_e64 v102, v102, 0x77, vcc_lo
	v_cndmask_b32_e64 v11, v11, 0xffffff8a, vcc_lo
	s_delay_alu instid0(VALU_DEP_2) | instskip(SKIP_2) | instid1(VALU_DEP_4)
	v_lshrrev_b32_e32 v112, v102, v101
	v_lshl_add_u32 v103, 0x100000, v102, -1
	v_lshlrev_b32_e64 v114, v102, 0x80000
	v_add_nc_u32_e32 v102, v102, v11
	s_delay_alu instid0(VALU_DEP_4) | instskip(NEXT) | instid1(VALU_DEP_4)
	v_bfe_u32 v113, v112, 20, 1
	v_and_b32_e32 v101, v103, v101
	s_delay_alu instid0(VALU_DEP_2) | instskip(NEXT) | instid1(VALU_DEP_2)
	v_add_nc_u32_e32 v103, -1, v113
	v_cmp_eq_u32_e64 s10, v101, v114
	s_delay_alu instid0(VALU_DEP_1) | instskip(SKIP_2) | instid1(VALU_DEP_2)
	v_cndmask_b32_e64 v101, 0, v103, s10
	v_lshrrev_b32_e32 v103, 23, v112
	s_mov_b32 s10, exec_lo
	v_add_nc_u32_e32 v101, v101, v112
	s_delay_alu instid0(VALU_DEP_2) | instskip(NEXT) | instid1(VALU_DEP_2)
	v_xor_b32_e32 v103, 1, v103
	v_and_b32_e32 v11, 0xfffff, v101
	s_delay_alu instid0(VALU_DEP_1) | instskip(NEXT) | instid1(VALU_DEP_3)
	v_add_nc_u32_e32 v101, v11, v112
                                        ; implicit-def: $vgpr11
	v_cmpx_ne_u32_e64 v102, v103
	s_xor_b32 s10, exec_lo, s10
; %bb.5928:                             ;   in Loop: Header=BB4_5816 Depth=2
	s_delay_alu instid0(VALU_DEP_2) | instskip(SKIP_2) | instid1(VALU_DEP_2)
	v_cmp_lt_u32_e32 vcc_lo, 0xffffff, v101
	v_sub_nc_u32_e32 v11, v102, v103
	v_cndmask_b32_e64 v102, 0, 1, vcc_lo
	v_add_co_ci_u32_e32 v11, vcc_lo, 0, v11, vcc_lo
	s_delay_alu instid0(VALU_DEP_2)
	v_lshrrev_b32_e32 v101, v102, v101
; %bb.5929:                             ;   in Loop: Header=BB4_5816 Depth=2
	s_and_not1_saveexec_b32 s10, s10
; %bb.5930:                             ;   in Loop: Header=BB4_5816 Depth=2
	s_delay_alu instid0(VALU_DEP_1)
	v_bfe_u32 v11, v101, 23, 1
; %bb.5931:                             ;   in Loop: Header=BB4_5816 Depth=2
	s_or_b32 exec_lo, exec_lo, s10
	v_lshrrev_b32_e32 v101, 20, v101
	s_delay_alu instid0(VALU_DEP_2) | instskip(SKIP_2) | instid1(VALU_DEP_2)
	v_cmp_gt_i32_e32 vcc_lo, 16, v11
	v_lshrrev_b32_e32 v10, 24, v10
	v_min_i32_e32 v102, 15, v11
	v_dual_cndmask_b32 v101, 7, v101 :: v_dual_and_b32 v10, 0x80, v10
	s_delay_alu instid0(VALU_DEP_2) | instskip(NEXT) | instid1(VALU_DEP_2)
	v_lshlrev_b32_e32 v102, 3, v102
	v_and_b32_e32 v103, 7, v101
	v_or_b32_e32 v11, v11, v101
	s_delay_alu instid0(VALU_DEP_2) | instskip(NEXT) | instid1(VALU_DEP_2)
	v_or3_b32 v10, v102, v10, v103
	v_cmp_ne_u32_e32 vcc_lo, 0, v11
	s_delay_alu instid0(VALU_DEP_2)
	v_cndmask_b32_e32 v101, 0, v10, vcc_lo
.LBB4_5932:                             ;   in Loop: Header=BB4_5816 Depth=2
	s_or_b32 exec_lo, exec_lo, s24
.LBB4_5933:                             ;   in Loop: Header=BB4_5816 Depth=2
	s_delay_alu instid0(SALU_CYCLE_1) | instskip(SKIP_3) | instid1(VALU_DEP_1)
	s_or_b32 exec_lo, exec_lo, s23
	v_lshrrev_b16 v10, 8, v12
	s_mov_b32 s10, 0
	s_mov_b32 s24, exec_lo
                                        ; implicit-def: $sgpr23
	v_cmpx_lt_i16_e32 0x7f, v10
	s_xor_b32 s24, exec_lo, s24
	s_cbranch_execnz .LBB4_6627
; %bb.5934:                             ;   in Loop: Header=BB4_5816 Depth=2
	s_or_saveexec_b32 s24, s24
	v_mov_b32_e32 v11, s23
	s_xor_b32 exec_lo, exec_lo, s24
	s_cbranch_execnz .LBB4_6630
.LBB4_5935:                             ;   in Loop: Header=BB4_5816 Depth=2
	s_or_b32 exec_lo, exec_lo, s24
	s_and_saveexec_b32 s23, s10
	s_cbranch_execz .LBB4_5937
.LBB4_5936:                             ;   in Loop: Header=BB4_5816 Depth=2
	v_and_b32_e32 v11, 0xffff, v10
	v_lshlrev_b32_e32 v10, 24, v10
	s_delay_alu instid0(VALU_DEP_2) | instskip(NEXT) | instid1(VALU_DEP_2)
	v_and_b32_e32 v102, 7, v11
	v_and_b32_e32 v10, 0x80000000, v10
	s_delay_alu instid0(VALU_DEP_2) | instskip(NEXT) | instid1(VALU_DEP_1)
	v_clz_i32_u32_e32 v103, v102
	v_min_u32_e32 v103, 32, v103
	s_delay_alu instid0(VALU_DEP_1) | instskip(SKIP_1) | instid1(VALU_DEP_2)
	v_subrev_nc_u32_e32 v112, 28, v103
	v_sub_nc_u32_e32 v103, 29, v103
	v_lshlrev_b32_e32 v112, v112, v11
	v_bfe_u32 v11, v11, 3, 4
	s_delay_alu instid0(VALU_DEP_1) | instskip(NEXT) | instid1(VALU_DEP_3)
	v_cmp_eq_u32_e32 vcc_lo, 0, v11
	v_dual_cndmask_b32 v11, v11, v103 :: v_dual_and_b32 v112, 7, v112
	s_delay_alu instid0(VALU_DEP_1) | instskip(NEXT) | instid1(VALU_DEP_2)
	v_cndmask_b32_e32 v102, v102, v112, vcc_lo
	v_lshl_add_u32 v11, v11, 23, 0x3b800000
	s_delay_alu instid0(VALU_DEP_2) | instskip(NEXT) | instid1(VALU_DEP_1)
	v_lshlrev_b32_e32 v102, 20, v102
	v_or3_b32 v11, v10, v11, v102
.LBB4_5937:                             ;   in Loop: Header=BB4_5816 Depth=2
	s_or_b32 exec_lo, exec_lo, s23
	s_delay_alu instid0(VALU_DEP_1) | instskip(SKIP_2) | instid1(VALU_DEP_2)
	v_mul_f32_e32 v10, s22, v11
	v_mov_b32_e32 v102, 0x80
	s_mov_b32 s23, exec_lo
	v_and_b32_e32 v11, 0x7f800000, v10
	s_delay_alu instid0(VALU_DEP_1)
	v_cmpx_ne_u32_e32 0x7f800000, v11
	s_cbranch_execz .LBB4_5945
; %bb.5938:                             ;   in Loop: Header=BB4_5816 Depth=2
	v_mov_b32_e32 v102, 0
	s_mov_b32 s24, exec_lo
	v_cmpx_ne_u32_e32 0, v10
	s_cbranch_execz .LBB4_5944
; %bb.5939:                             ;   in Loop: Header=BB4_5816 Depth=2
	v_bfe_u32 v11, v10, 23, 8
	s_delay_alu instid0(VALU_DEP_1) | instskip(SKIP_1) | instid1(VALU_DEP_2)
	v_sub_nc_u32_e32 v103, 0x78, v11
	v_cmp_gt_u32_e32 vcc_lo, 0x79, v11
	v_dual_cndmask_b32 v103, 0, v103 :: v_dual_and_b32 v102, 0x7fffff, v10
	s_delay_alu instid0(VALU_DEP_1) | instskip(SKIP_2) | instid1(VALU_DEP_4)
	v_or_b32_e32 v112, 0x800000, v102
	v_cmp_eq_u32_e32 vcc_lo, 0, v11
	v_add_nc_u32_e32 v11, 0xffffff89, v11
	v_cndmask_b32_e64 v103, v103, 0x77, vcc_lo
	s_delay_alu instid0(VALU_DEP_4) | instskip(NEXT) | instid1(VALU_DEP_3)
	v_cndmask_b32_e32 v102, v112, v102, vcc_lo
	v_cndmask_b32_e64 v11, v11, 0xffffff8a, vcc_lo
	s_delay_alu instid0(VALU_DEP_3) | instskip(NEXT) | instid1(VALU_DEP_3)
	v_lshl_add_u32 v112, 0x100000, v103, -1
	v_lshrrev_b32_e32 v113, v103, v102
	v_lshlrev_b32_e64 v115, v103, 0x80000
	s_delay_alu instid0(VALU_DEP_4) | instskip(NEXT) | instid1(VALU_DEP_4)
	v_add_nc_u32_e32 v103, v103, v11
	v_and_b32_e32 v102, v112, v102
	s_delay_alu instid0(VALU_DEP_4) | instskip(NEXT) | instid1(VALU_DEP_2)
	v_bfe_u32 v114, v113, 20, 1
	v_cmp_eq_u32_e64 s10, v102, v115
	s_delay_alu instid0(VALU_DEP_2) | instskip(NEXT) | instid1(VALU_DEP_1)
	v_add_nc_u32_e32 v112, -1, v114
	v_cndmask_b32_e64 v102, 0, v112, s10
	v_lshrrev_b32_e32 v112, 23, v113
	s_mov_b32 s10, exec_lo
	s_delay_alu instid0(VALU_DEP_2) | instskip(NEXT) | instid1(VALU_DEP_2)
	v_add_nc_u32_e32 v102, v102, v113
	v_xor_b32_e32 v112, 1, v112
	s_delay_alu instid0(VALU_DEP_2) | instskip(NEXT) | instid1(VALU_DEP_1)
	v_and_b32_e32 v11, 0xfffff, v102
	v_add_nc_u32_e32 v102, v11, v113
                                        ; implicit-def: $vgpr11
	s_delay_alu instid0(VALU_DEP_3)
	v_cmpx_ne_u32_e64 v103, v112
	s_xor_b32 s10, exec_lo, s10
; %bb.5940:                             ;   in Loop: Header=BB4_5816 Depth=2
	s_delay_alu instid0(VALU_DEP_2) | instskip(SKIP_2) | instid1(VALU_DEP_2)
	v_cmp_lt_u32_e32 vcc_lo, 0xffffff, v102
	v_sub_nc_u32_e32 v11, v103, v112
	v_cndmask_b32_e64 v103, 0, 1, vcc_lo
	v_add_co_ci_u32_e32 v11, vcc_lo, 0, v11, vcc_lo
	s_delay_alu instid0(VALU_DEP_2)
	v_lshrrev_b32_e32 v102, v103, v102
; %bb.5941:                             ;   in Loop: Header=BB4_5816 Depth=2
	s_and_not1_saveexec_b32 s10, s10
; %bb.5942:                             ;   in Loop: Header=BB4_5816 Depth=2
	s_delay_alu instid0(VALU_DEP_1)
	v_bfe_u32 v11, v102, 23, 1
; %bb.5943:                             ;   in Loop: Header=BB4_5816 Depth=2
	s_or_b32 exec_lo, exec_lo, s10
	v_lshrrev_b32_e32 v102, 20, v102
	s_delay_alu instid0(VALU_DEP_2) | instskip(SKIP_2) | instid1(VALU_DEP_4)
	v_cmp_gt_i32_e32 vcc_lo, 16, v11
	v_lshrrev_b32_e32 v10, 24, v10
	v_min_i32_e32 v103, 15, v11
	v_cndmask_b32_e32 v102, 7, v102, vcc_lo
	s_delay_alu instid0(VALU_DEP_3) | instskip(NEXT) | instid1(VALU_DEP_3)
	v_and_b32_e32 v10, 0x80, v10
	v_lshlrev_b32_e32 v103, 3, v103
	s_delay_alu instid0(VALU_DEP_3) | instskip(SKIP_1) | instid1(VALU_DEP_2)
	v_and_b32_e32 v112, 7, v102
	v_or_b32_e32 v11, v11, v102
	v_or3_b32 v10, v103, v10, v112
	s_delay_alu instid0(VALU_DEP_2) | instskip(NEXT) | instid1(VALU_DEP_2)
	v_cmp_ne_u32_e32 vcc_lo, 0, v11
	v_cndmask_b32_e32 v102, 0, v10, vcc_lo
.LBB4_5944:                             ;   in Loop: Header=BB4_5816 Depth=2
	s_or_b32 exec_lo, exec_lo, s24
.LBB4_5945:                             ;   in Loop: Header=BB4_5816 Depth=2
	s_delay_alu instid0(SALU_CYCLE_1) | instskip(SKIP_3) | instid1(VALU_DEP_1)
	s_or_b32 exec_lo, exec_lo, s23
	v_lshrrev_b32_e32 v10, 16, v12
	s_mov_b32 s10, 0
	s_mov_b32 s24, exec_lo
                                        ; implicit-def: $sgpr23
	v_and_b32_e32 v103, 0xff, v10
	s_delay_alu instid0(VALU_DEP_1)
	v_cmpx_lt_i16_e32 0x7f, v103
	s_xor_b32 s24, exec_lo, s24
	s_cbranch_execnz .LBB4_6631
; %bb.5946:                             ;   in Loop: Header=BB4_5816 Depth=2
	s_or_saveexec_b32 s24, s24
	v_mov_b32_e32 v11, s23
	s_xor_b32 exec_lo, exec_lo, s24
	s_cbranch_execnz .LBB4_6634
.LBB4_5947:                             ;   in Loop: Header=BB4_5816 Depth=2
	s_or_b32 exec_lo, exec_lo, s24
	s_and_saveexec_b32 s23, s10
	s_cbranch_execz .LBB4_5949
.LBB4_5948:                             ;   in Loop: Header=BB4_5816 Depth=2
	v_bfe_u32 v11, v12, 16, 3
	s_delay_alu instid0(VALU_DEP_1) | instskip(NEXT) | instid1(VALU_DEP_1)
	v_clz_i32_u32_e32 v103, v11
	v_min_u32_e32 v103, 32, v103
	s_delay_alu instid0(VALU_DEP_1) | instskip(SKIP_1) | instid1(VALU_DEP_2)
	v_subrev_nc_u32_e32 v112, 28, v103
	v_sub_nc_u32_e32 v103, 29, v103
	v_lshlrev_b32_e32 v10, v112, v10
	v_bfe_u32 v112, v12, 19, 4
	s_delay_alu instid0(VALU_DEP_1) | instskip(NEXT) | instid1(VALU_DEP_3)
	v_cmp_eq_u32_e32 vcc_lo, 0, v112
	v_dual_cndmask_b32 v103, v112, v103 :: v_dual_and_b32 v10, 7, v10
	s_delay_alu instid0(VALU_DEP_1) | instskip(NEXT) | instid1(VALU_DEP_2)
	v_dual_cndmask_b32 v10, v11, v10 :: v_dual_lshlrev_b32 v113, 8, v12
	v_lshl_add_u32 v103, v103, 23, 0x3b800000
	s_delay_alu instid0(VALU_DEP_2) | instskip(NEXT) | instid1(VALU_DEP_3)
	v_and_b32_e32 v11, 0x80000000, v113
	v_lshlrev_b32_e32 v10, 20, v10
	s_delay_alu instid0(VALU_DEP_1)
	v_or3_b32 v11, v11, v103, v10
.LBB4_5949:                             ;   in Loop: Header=BB4_5816 Depth=2
	s_or_b32 exec_lo, exec_lo, s23
	s_delay_alu instid0(VALU_DEP_1) | instskip(SKIP_1) | instid1(VALU_DEP_1)
	v_dual_mul_f32 v10, s22, v11 :: v_dual_mov_b32 v103, 0x80
	s_mov_b32 s23, exec_lo
	v_and_b32_e32 v11, 0x7f800000, v10
	s_delay_alu instid0(VALU_DEP_1)
	v_cmpx_ne_u32_e32 0x7f800000, v11
	s_cbranch_execz .LBB4_5957
; %bb.5950:                             ;   in Loop: Header=BB4_5816 Depth=2
	v_mov_b32_e32 v103, 0
	s_mov_b32 s24, exec_lo
	v_cmpx_ne_u32_e32 0, v10
	s_cbranch_execz .LBB4_5956
; %bb.5951:                             ;   in Loop: Header=BB4_5816 Depth=2
	v_bfe_u32 v11, v10, 23, 8
	s_delay_alu instid0(VALU_DEP_1) | instskip(SKIP_1) | instid1(VALU_DEP_2)
	v_sub_nc_u32_e32 v112, 0x78, v11
	v_cmp_gt_u32_e32 vcc_lo, 0x79, v11
	v_dual_cndmask_b32 v112, 0, v112 :: v_dual_and_b32 v103, 0x7fffff, v10
	s_delay_alu instid0(VALU_DEP_1) | instskip(SKIP_2) | instid1(VALU_DEP_4)
	v_or_b32_e32 v113, 0x800000, v103
	v_cmp_eq_u32_e32 vcc_lo, 0, v11
	v_add_nc_u32_e32 v11, 0xffffff89, v11
	v_cndmask_b32_e64 v112, v112, 0x77, vcc_lo
	s_delay_alu instid0(VALU_DEP_4) | instskip(NEXT) | instid1(VALU_DEP_3)
	v_cndmask_b32_e32 v103, v113, v103, vcc_lo
	v_cndmask_b32_e64 v11, v11, 0xffffff8a, vcc_lo
	s_delay_alu instid0(VALU_DEP_3) | instskip(NEXT) | instid1(VALU_DEP_3)
	v_lshl_add_u32 v113, 0x100000, v112, -1
	v_lshrrev_b32_e32 v114, v112, v103
	v_lshlrev_b32_e64 v116, v112, 0x80000
	s_delay_alu instid0(VALU_DEP_4) | instskip(NEXT) | instid1(VALU_DEP_4)
	v_add_nc_u32_e32 v112, v112, v11
	v_and_b32_e32 v103, v113, v103
	s_delay_alu instid0(VALU_DEP_4) | instskip(NEXT) | instid1(VALU_DEP_2)
	v_bfe_u32 v115, v114, 20, 1
	v_cmp_eq_u32_e64 s10, v103, v116
	s_delay_alu instid0(VALU_DEP_2) | instskip(NEXT) | instid1(VALU_DEP_1)
	v_add_nc_u32_e32 v113, -1, v115
	v_cndmask_b32_e64 v103, 0, v113, s10
	v_lshrrev_b32_e32 v113, 23, v114
	s_mov_b32 s10, exec_lo
	s_delay_alu instid0(VALU_DEP_2) | instskip(NEXT) | instid1(VALU_DEP_2)
	v_add_nc_u32_e32 v103, v103, v114
	v_xor_b32_e32 v113, 1, v113
	s_delay_alu instid0(VALU_DEP_2) | instskip(NEXT) | instid1(VALU_DEP_1)
	v_and_b32_e32 v11, 0xfffff, v103
	v_add_nc_u32_e32 v103, v11, v114
                                        ; implicit-def: $vgpr11
	s_delay_alu instid0(VALU_DEP_3)
	v_cmpx_ne_u32_e64 v112, v113
	s_xor_b32 s10, exec_lo, s10
; %bb.5952:                             ;   in Loop: Header=BB4_5816 Depth=2
	s_delay_alu instid0(VALU_DEP_2) | instskip(SKIP_2) | instid1(VALU_DEP_2)
	v_cmp_lt_u32_e32 vcc_lo, 0xffffff, v103
	v_sub_nc_u32_e32 v11, v112, v113
	v_cndmask_b32_e64 v112, 0, 1, vcc_lo
	v_add_co_ci_u32_e32 v11, vcc_lo, 0, v11, vcc_lo
	s_delay_alu instid0(VALU_DEP_2)
	v_lshrrev_b32_e32 v103, v112, v103
; %bb.5953:                             ;   in Loop: Header=BB4_5816 Depth=2
	s_and_not1_saveexec_b32 s10, s10
; %bb.5954:                             ;   in Loop: Header=BB4_5816 Depth=2
	s_delay_alu instid0(VALU_DEP_1)
	v_bfe_u32 v11, v103, 23, 1
; %bb.5955:                             ;   in Loop: Header=BB4_5816 Depth=2
	s_or_b32 exec_lo, exec_lo, s10
	v_lshrrev_b32_e32 v103, 20, v103
	s_delay_alu instid0(VALU_DEP_2) | instskip(SKIP_2) | instid1(VALU_DEP_2)
	v_cmp_gt_i32_e32 vcc_lo, 16, v11
	v_lshrrev_b32_e32 v10, 24, v10
	v_min_i32_e32 v112, 15, v11
	v_dual_cndmask_b32 v103, 7, v103 :: v_dual_and_b32 v10, 0x80, v10
	s_delay_alu instid0(VALU_DEP_1) | instskip(SKIP_1) | instid1(VALU_DEP_2)
	v_or_b32_e32 v11, v11, v103
	v_and_b32_e32 v113, 7, v103
	v_cmp_ne_u32_e32 vcc_lo, 0, v11
	v_lshlrev_b32_e32 v112, 3, v112
	s_delay_alu instid0(VALU_DEP_1) | instskip(NEXT) | instid1(VALU_DEP_1)
	v_or3_b32 v10, v112, v10, v113
	v_cndmask_b32_e32 v103, 0, v10, vcc_lo
.LBB4_5956:                             ;   in Loop: Header=BB4_5816 Depth=2
	s_or_b32 exec_lo, exec_lo, s24
.LBB4_5957:                             ;   in Loop: Header=BB4_5816 Depth=2
	s_delay_alu instid0(SALU_CYCLE_1) | instskip(SKIP_3) | instid1(VALU_DEP_1)
	s_or_b32 exec_lo, exec_lo, s23
	v_lshrrev_b32_e32 v10, 24, v12
	s_mov_b32 s10, 0
	s_mov_b32 s24, exec_lo
                                        ; implicit-def: $sgpr23
	v_cmpx_lt_i16_e32 0x7f, v10
	s_xor_b32 s24, exec_lo, s24
	s_cbranch_execnz .LBB4_6635
; %bb.5958:                             ;   in Loop: Header=BB4_5816 Depth=2
	s_or_saveexec_b32 s24, s24
	v_mov_b32_e32 v11, s23
	s_xor_b32 exec_lo, exec_lo, s24
	s_cbranch_execnz .LBB4_6638
.LBB4_5959:                             ;   in Loop: Header=BB4_5816 Depth=2
	s_or_b32 exec_lo, exec_lo, s24
	s_and_saveexec_b32 s23, s10
	s_cbranch_execz .LBB4_5961
.LBB4_5960:                             ;   in Loop: Header=BB4_5816 Depth=2
	v_bfe_u32 v11, v12, 24, 3
	s_delay_alu instid0(VALU_DEP_1) | instskip(NEXT) | instid1(VALU_DEP_1)
	v_clz_i32_u32_e32 v112, v11
	v_min_u32_e32 v112, 32, v112
	s_delay_alu instid0(VALU_DEP_1) | instskip(SKIP_1) | instid1(VALU_DEP_2)
	v_subrev_nc_u32_e32 v113, 28, v112
	v_sub_nc_u32_e32 v112, 29, v112
	v_lshlrev_b32_e32 v10, v113, v10
	v_bfe_u32 v113, v12, 27, 4
	s_delay_alu instid0(VALU_DEP_2) | instskip(NEXT) | instid1(VALU_DEP_2)
	v_and_b32_e32 v10, 7, v10
	v_cmp_eq_u32_e32 vcc_lo, 0, v113
	v_cndmask_b32_e32 v112, v113, v112, vcc_lo
	s_delay_alu instid0(VALU_DEP_3) | instskip(NEXT) | instid1(VALU_DEP_2)
	v_dual_cndmask_b32 v10, v11, v10 :: v_dual_and_b32 v11, 0x80000000, v12
	v_lshl_add_u32 v12, v112, 23, 0x3b800000
	s_delay_alu instid0(VALU_DEP_2) | instskip(NEXT) | instid1(VALU_DEP_1)
	v_lshlrev_b32_e32 v10, 20, v10
	v_or3_b32 v11, v11, v12, v10
.LBB4_5961:                             ;   in Loop: Header=BB4_5816 Depth=2
	s_or_b32 exec_lo, exec_lo, s23
	s_delay_alu instid0(VALU_DEP_1) | instskip(SKIP_2) | instid1(VALU_DEP_2)
	v_mul_f32_e32 v10, s22, v11
	v_mov_b32_e32 v112, 0x80
	s_mov_b32 s23, exec_lo
	v_and_b32_e32 v11, 0x7f800000, v10
	s_delay_alu instid0(VALU_DEP_1)
	v_cmpx_ne_u32_e32 0x7f800000, v11
	s_cbranch_execz .LBB4_5969
; %bb.5962:                             ;   in Loop: Header=BB4_5816 Depth=2
	v_mov_b32_e32 v112, 0
	s_mov_b32 s24, exec_lo
	v_cmpx_ne_u32_e32 0, v10
	s_cbranch_execz .LBB4_5968
; %bb.5963:                             ;   in Loop: Header=BB4_5816 Depth=2
	v_bfe_u32 v11, v10, 23, 8
	v_and_b32_e32 v12, 0x7fffff, v10
	s_delay_alu instid0(VALU_DEP_2) | instskip(SKIP_1) | instid1(VALU_DEP_3)
	v_sub_nc_u32_e32 v112, 0x78, v11
	v_cmp_gt_u32_e32 vcc_lo, 0x79, v11
	v_or_b32_e32 v113, 0x800000, v12
	s_delay_alu instid0(VALU_DEP_3) | instskip(SKIP_2) | instid1(VALU_DEP_3)
	v_cndmask_b32_e32 v112, 0, v112, vcc_lo
	v_cmp_eq_u32_e32 vcc_lo, 0, v11
	v_add_nc_u32_e32 v11, 0xffffff89, v11
	v_cndmask_b32_e64 v112, v112, 0x77, vcc_lo
	v_cndmask_b32_e32 v12, v113, v12, vcc_lo
	s_delay_alu instid0(VALU_DEP_3) | instskip(NEXT) | instid1(VALU_DEP_3)
	v_cndmask_b32_e64 v11, v11, 0xffffff8a, vcc_lo
	v_lshl_add_u32 v113, 0x100000, v112, -1
	s_delay_alu instid0(VALU_DEP_3) | instskip(SKIP_1) | instid1(VALU_DEP_4)
	v_lshrrev_b32_e32 v114, v112, v12
	v_lshlrev_b32_e64 v116, v112, 0x80000
	v_add_nc_u32_e32 v112, v112, v11
	s_delay_alu instid0(VALU_DEP_4) | instskip(NEXT) | instid1(VALU_DEP_4)
	v_and_b32_e32 v12, v113, v12
	v_bfe_u32 v115, v114, 20, 1
	s_delay_alu instid0(VALU_DEP_2) | instskip(NEXT) | instid1(VALU_DEP_2)
	v_cmp_eq_u32_e64 s10, v12, v116
	v_add_nc_u32_e32 v113, -1, v115
	s_delay_alu instid0(VALU_DEP_1) | instskip(SKIP_2) | instid1(VALU_DEP_2)
	v_cndmask_b32_e64 v12, 0, v113, s10
	v_lshrrev_b32_e32 v113, 23, v114
	s_mov_b32 s10, exec_lo
	v_add_nc_u32_e32 v12, v12, v114
	s_delay_alu instid0(VALU_DEP_2) | instskip(NEXT) | instid1(VALU_DEP_2)
	v_xor_b32_e32 v113, 1, v113
	v_and_b32_e32 v11, 0xfffff, v12
	s_delay_alu instid0(VALU_DEP_1) | instskip(NEXT) | instid1(VALU_DEP_3)
	v_add_nc_u32_e32 v12, v11, v114
                                        ; implicit-def: $vgpr11
	v_cmpx_ne_u32_e64 v112, v113
	s_xor_b32 s10, exec_lo, s10
; %bb.5964:                             ;   in Loop: Header=BB4_5816 Depth=2
	s_delay_alu instid0(VALU_DEP_2) | instskip(SKIP_2) | instid1(VALU_DEP_2)
	v_cmp_lt_u32_e32 vcc_lo, 0xffffff, v12
	v_sub_nc_u32_e32 v11, v112, v113
	v_cndmask_b32_e64 v112, 0, 1, vcc_lo
	v_add_co_ci_u32_e32 v11, vcc_lo, 0, v11, vcc_lo
	s_delay_alu instid0(VALU_DEP_2)
	v_lshrrev_b32_e32 v12, v112, v12
; %bb.5965:                             ;   in Loop: Header=BB4_5816 Depth=2
	s_and_not1_saveexec_b32 s10, s10
; %bb.5966:                             ;   in Loop: Header=BB4_5816 Depth=2
	s_delay_alu instid0(VALU_DEP_1)
	v_bfe_u32 v11, v12, 23, 1
; %bb.5967:                             ;   in Loop: Header=BB4_5816 Depth=2
	s_or_b32 exec_lo, exec_lo, s10
	v_lshrrev_b32_e32 v12, 20, v12
	s_delay_alu instid0(VALU_DEP_2) | instskip(SKIP_2) | instid1(VALU_DEP_4)
	v_cmp_gt_i32_e32 vcc_lo, 16, v11
	v_lshrrev_b32_e32 v10, 24, v10
	v_min_i32_e32 v112, 15, v11
	v_cndmask_b32_e32 v12, 7, v12, vcc_lo
	s_delay_alu instid0(VALU_DEP_3) | instskip(NEXT) | instid1(VALU_DEP_3)
	v_and_b32_e32 v10, 0x80, v10
	v_lshlrev_b32_e32 v112, 3, v112
	s_delay_alu instid0(VALU_DEP_3) | instskip(NEXT) | instid1(VALU_DEP_1)
	v_or_b32_e32 v11, v11, v12
	v_cmp_ne_u32_e32 vcc_lo, 0, v11
	v_and_b32_e32 v113, 7, v12
	s_delay_alu instid0(VALU_DEP_1) | instskip(NEXT) | instid1(VALU_DEP_1)
	v_or3_b32 v10, v112, v10, v113
	v_cndmask_b32_e32 v112, 0, v10, vcc_lo
.LBB4_5968:                             ;   in Loop: Header=BB4_5816 Depth=2
	s_or_b32 exec_lo, exec_lo, s24
.LBB4_5969:                             ;   in Loop: Header=BB4_5816 Depth=2
	s_delay_alu instid0(SALU_CYCLE_1) | instskip(SKIP_3) | instid1(VALU_DEP_1)
	s_or_b32 exec_lo, exec_lo, s23
	v_and_b32_e32 v11, 0xff, v13
	s_mov_b32 s10, 0
	s_mov_b32 s24, exec_lo
                                        ; implicit-def: $sgpr23
	v_cmpx_lt_i16_e32 0x7f, v11
	s_xor_b32 s24, exec_lo, s24
	s_cbranch_execnz .LBB4_6639
; %bb.5970:                             ;   in Loop: Header=BB4_5816 Depth=2
	s_or_saveexec_b32 s24, s24
	v_mov_b32_e32 v10, s23
	s_xor_b32 exec_lo, exec_lo, s24
	s_cbranch_execnz .LBB4_6642
.LBB4_5971:                             ;   in Loop: Header=BB4_5816 Depth=2
	s_or_b32 exec_lo, exec_lo, s24
	s_and_saveexec_b32 s23, s10
	s_cbranch_execz .LBB4_5973
.LBB4_5972:                             ;   in Loop: Header=BB4_5816 Depth=2
	v_bfe_u32 v113, v13, 3, 4
	v_lshlrev_b32_e32 v114, 24, v13
	s_delay_alu instid0(VALU_DEP_2) | instskip(SKIP_1) | instid1(VALU_DEP_1)
	v_cmp_eq_u32_e32 vcc_lo, 0, v113
	v_and_b32_e32 v10, 7, v13
	v_clz_i32_u32_e32 v11, v10
	s_delay_alu instid0(VALU_DEP_1) | instskip(NEXT) | instid1(VALU_DEP_1)
	v_min_u32_e32 v11, 32, v11
	v_subrev_nc_u32_e32 v12, 28, v11
	v_sub_nc_u32_e32 v11, 29, v11
	s_delay_alu instid0(VALU_DEP_1) | instskip(NEXT) | instid1(VALU_DEP_1)
	v_dual_cndmask_b32 v11, v113, v11 :: v_dual_lshlrev_b32 v12, v12, v13
	v_and_b32_e32 v12, 7, v12
	s_delay_alu instid0(VALU_DEP_2) | instskip(NEXT) | instid1(VALU_DEP_2)
	v_lshl_add_u32 v11, v11, 23, 0x3b800000
	v_cndmask_b32_e32 v10, v10, v12, vcc_lo
	v_and_b32_e32 v12, 0x80000000, v114
	s_delay_alu instid0(VALU_DEP_2) | instskip(NEXT) | instid1(VALU_DEP_1)
	v_lshlrev_b32_e32 v10, 20, v10
	v_or3_b32 v10, v12, v11, v10
.LBB4_5973:                             ;   in Loop: Header=BB4_5816 Depth=2
	s_or_b32 exec_lo, exec_lo, s23
	s_delay_alu instid0(VALU_DEP_1) | instskip(SKIP_1) | instid1(VALU_DEP_1)
	v_dual_mul_f32 v10, s22, v10 :: v_dual_mov_b32 v113, 0x80
	s_mov_b32 s23, exec_lo
	v_and_b32_e32 v11, 0x7f800000, v10
	s_delay_alu instid0(VALU_DEP_1)
	v_cmpx_ne_u32_e32 0x7f800000, v11
	s_cbranch_execz .LBB4_5981
; %bb.5974:                             ;   in Loop: Header=BB4_5816 Depth=2
	v_mov_b32_e32 v113, 0
	s_mov_b32 s24, exec_lo
	v_cmpx_ne_u32_e32 0, v10
	s_cbranch_execz .LBB4_5980
; %bb.5975:                             ;   in Loop: Header=BB4_5816 Depth=2
	v_bfe_u32 v11, v10, 23, 8
	s_delay_alu instid0(VALU_DEP_1) | instskip(SKIP_1) | instid1(VALU_DEP_2)
	v_sub_nc_u32_e32 v113, 0x78, v11
	v_cmp_gt_u32_e32 vcc_lo, 0x79, v11
	v_dual_cndmask_b32 v113, 0, v113 :: v_dual_and_b32 v12, 0x7fffff, v10
	s_delay_alu instid0(VALU_DEP_1) | instskip(SKIP_2) | instid1(VALU_DEP_4)
	v_or_b32_e32 v114, 0x800000, v12
	v_cmp_eq_u32_e32 vcc_lo, 0, v11
	v_add_nc_u32_e32 v11, 0xffffff89, v11
	v_cndmask_b32_e64 v113, v113, 0x77, vcc_lo
	s_delay_alu instid0(VALU_DEP_4) | instskip(NEXT) | instid1(VALU_DEP_3)
	v_cndmask_b32_e32 v12, v114, v12, vcc_lo
	v_cndmask_b32_e64 v11, v11, 0xffffff8a, vcc_lo
	s_delay_alu instid0(VALU_DEP_3) | instskip(NEXT) | instid1(VALU_DEP_3)
	v_lshl_add_u32 v114, 0x100000, v113, -1
	v_lshrrev_b32_e32 v115, v113, v12
	v_lshlrev_b32_e64 v117, v113, 0x80000
	s_delay_alu instid0(VALU_DEP_4) | instskip(NEXT) | instid1(VALU_DEP_4)
	v_add_nc_u32_e32 v113, v113, v11
	v_and_b32_e32 v12, v114, v12
	s_delay_alu instid0(VALU_DEP_4) | instskip(NEXT) | instid1(VALU_DEP_2)
	v_bfe_u32 v116, v115, 20, 1
	v_cmp_eq_u32_e64 s10, v12, v117
	s_delay_alu instid0(VALU_DEP_2) | instskip(NEXT) | instid1(VALU_DEP_1)
	v_add_nc_u32_e32 v114, -1, v116
	v_cndmask_b32_e64 v12, 0, v114, s10
	v_lshrrev_b32_e32 v114, 23, v115
	s_mov_b32 s10, exec_lo
	s_delay_alu instid0(VALU_DEP_2) | instskip(NEXT) | instid1(VALU_DEP_2)
	v_add_nc_u32_e32 v12, v12, v115
	v_xor_b32_e32 v114, 1, v114
	s_delay_alu instid0(VALU_DEP_2) | instskip(NEXT) | instid1(VALU_DEP_1)
	v_and_b32_e32 v11, 0xfffff, v12
	v_add_nc_u32_e32 v12, v11, v115
                                        ; implicit-def: $vgpr11
	s_delay_alu instid0(VALU_DEP_3)
	v_cmpx_ne_u32_e64 v113, v114
	s_xor_b32 s10, exec_lo, s10
; %bb.5976:                             ;   in Loop: Header=BB4_5816 Depth=2
	s_delay_alu instid0(VALU_DEP_2) | instskip(SKIP_2) | instid1(VALU_DEP_2)
	v_cmp_lt_u32_e32 vcc_lo, 0xffffff, v12
	v_sub_nc_u32_e32 v11, v113, v114
	v_cndmask_b32_e64 v113, 0, 1, vcc_lo
	v_add_co_ci_u32_e32 v11, vcc_lo, 0, v11, vcc_lo
	s_delay_alu instid0(VALU_DEP_2)
	v_lshrrev_b32_e32 v12, v113, v12
; %bb.5977:                             ;   in Loop: Header=BB4_5816 Depth=2
	s_and_not1_saveexec_b32 s10, s10
; %bb.5978:                             ;   in Loop: Header=BB4_5816 Depth=2
	s_delay_alu instid0(VALU_DEP_1)
	v_bfe_u32 v11, v12, 23, 1
; %bb.5979:                             ;   in Loop: Header=BB4_5816 Depth=2
	s_or_b32 exec_lo, exec_lo, s10
	v_lshrrev_b32_e32 v12, 20, v12
	s_delay_alu instid0(VALU_DEP_2) | instskip(SKIP_2) | instid1(VALU_DEP_2)
	v_cmp_gt_i32_e32 vcc_lo, 16, v11
	v_min_i32_e32 v113, 15, v11
	v_lshrrev_b32_e32 v10, 24, v10
	v_dual_cndmask_b32 v12, 7, v12 :: v_dual_lshlrev_b32 v113, 3, v113
	s_delay_alu instid0(VALU_DEP_2) | instskip(NEXT) | instid1(VALU_DEP_2)
	v_and_b32_e32 v10, 0x80, v10
	v_or_b32_e32 v11, v11, v12
	s_delay_alu instid0(VALU_DEP_3) | instskip(NEXT) | instid1(VALU_DEP_2)
	v_and_b32_e32 v113, 0xf8, v113
	v_cmp_ne_u32_e32 vcc_lo, 0, v11
	v_and_b32_e32 v114, 7, v12
	s_delay_alu instid0(VALU_DEP_1) | instskip(NEXT) | instid1(VALU_DEP_1)
	v_or3_b32 v10, v113, v10, v114
	v_cndmask_b32_e32 v113, 0, v10, vcc_lo
.LBB4_5980:                             ;   in Loop: Header=BB4_5816 Depth=2
	s_or_b32 exec_lo, exec_lo, s24
.LBB4_5981:                             ;   in Loop: Header=BB4_5816 Depth=2
	s_delay_alu instid0(SALU_CYCLE_1) | instskip(SKIP_3) | instid1(VALU_DEP_1)
	s_or_b32 exec_lo, exec_lo, s23
	v_lshrrev_b16 v10, 8, v13
	s_mov_b32 s10, 0
	s_mov_b32 s24, exec_lo
                                        ; implicit-def: $sgpr23
	v_cmpx_lt_i16_e32 0x7f, v10
	s_xor_b32 s24, exec_lo, s24
	s_cbranch_execnz .LBB4_6643
; %bb.5982:                             ;   in Loop: Header=BB4_5816 Depth=2
	s_or_saveexec_b32 s24, s24
	v_mov_b32_e32 v11, s23
	s_xor_b32 exec_lo, exec_lo, s24
	s_cbranch_execnz .LBB4_6646
.LBB4_5983:                             ;   in Loop: Header=BB4_5816 Depth=2
	s_or_b32 exec_lo, exec_lo, s24
	s_and_saveexec_b32 s23, s10
	s_cbranch_execz .LBB4_5985
.LBB4_5984:                             ;   in Loop: Header=BB4_5816 Depth=2
	v_and_b32_e32 v11, 0xffff, v10
	v_lshlrev_b32_e32 v10, 24, v10
	s_delay_alu instid0(VALU_DEP_2) | instskip(NEXT) | instid1(VALU_DEP_2)
	v_and_b32_e32 v12, 7, v11
	v_and_b32_e32 v10, 0x80000000, v10
	s_delay_alu instid0(VALU_DEP_2) | instskip(NEXT) | instid1(VALU_DEP_1)
	v_clz_i32_u32_e32 v114, v12
	v_min_u32_e32 v114, 32, v114
	s_delay_alu instid0(VALU_DEP_1) | instskip(SKIP_1) | instid1(VALU_DEP_2)
	v_subrev_nc_u32_e32 v115, 28, v114
	v_sub_nc_u32_e32 v114, 29, v114
	v_lshlrev_b32_e32 v115, v115, v11
	v_bfe_u32 v11, v11, 3, 4
	s_delay_alu instid0(VALU_DEP_2) | instskip(NEXT) | instid1(VALU_DEP_2)
	v_and_b32_e32 v115, 7, v115
	v_cmp_eq_u32_e32 vcc_lo, 0, v11
	s_delay_alu instid0(VALU_DEP_2) | instskip(NEXT) | instid1(VALU_DEP_1)
	v_dual_cndmask_b32 v11, v11, v114 :: v_dual_cndmask_b32 v12, v12, v115
	v_lshl_add_u32 v11, v11, 23, 0x3b800000
	s_delay_alu instid0(VALU_DEP_2) | instskip(NEXT) | instid1(VALU_DEP_1)
	v_lshlrev_b32_e32 v12, 20, v12
	v_or3_b32 v11, v10, v11, v12
.LBB4_5985:                             ;   in Loop: Header=BB4_5816 Depth=2
	s_or_b32 exec_lo, exec_lo, s23
	s_delay_alu instid0(VALU_DEP_1) | instskip(SKIP_2) | instid1(VALU_DEP_2)
	v_mul_f32_e32 v10, s22, v11
	v_mov_b32_e32 v114, 0x8000
	s_mov_b32 s23, exec_lo
	v_and_b32_e32 v11, 0x7f800000, v10
	s_delay_alu instid0(VALU_DEP_1)
	v_cmpx_ne_u32_e32 0x7f800000, v11
	s_cbranch_execz .LBB4_5993
; %bb.5986:                             ;   in Loop: Header=BB4_5816 Depth=2
	v_mov_b32_e32 v114, 0
	s_mov_b32 s24, exec_lo
	v_cmpx_ne_u32_e32 0, v10
	s_cbranch_execz .LBB4_5992
; %bb.5987:                             ;   in Loop: Header=BB4_5816 Depth=2
	v_bfe_u32 v11, v10, 23, 8
	v_and_b32_e32 v12, 0x7fffff, v10
	s_delay_alu instid0(VALU_DEP_2) | instskip(SKIP_1) | instid1(VALU_DEP_3)
	v_sub_nc_u32_e32 v114, 0x78, v11
	v_cmp_gt_u32_e32 vcc_lo, 0x79, v11
	v_or_b32_e32 v115, 0x800000, v12
	s_delay_alu instid0(VALU_DEP_3) | instskip(SKIP_2) | instid1(VALU_DEP_3)
	v_cndmask_b32_e32 v114, 0, v114, vcc_lo
	v_cmp_eq_u32_e32 vcc_lo, 0, v11
	v_add_nc_u32_e32 v11, 0xffffff89, v11
	v_cndmask_b32_e64 v114, v114, 0x77, vcc_lo
	v_cndmask_b32_e32 v12, v115, v12, vcc_lo
	s_delay_alu instid0(VALU_DEP_3) | instskip(NEXT) | instid1(VALU_DEP_3)
	v_cndmask_b32_e64 v11, v11, 0xffffff8a, vcc_lo
	v_lshl_add_u32 v115, 0x100000, v114, -1
	s_delay_alu instid0(VALU_DEP_3) | instskip(SKIP_1) | instid1(VALU_DEP_4)
	v_lshrrev_b32_e32 v116, v114, v12
	v_lshlrev_b32_e64 v118, v114, 0x80000
	v_add_nc_u32_e32 v114, v114, v11
	s_delay_alu instid0(VALU_DEP_4) | instskip(NEXT) | instid1(VALU_DEP_4)
	v_and_b32_e32 v12, v115, v12
	v_bfe_u32 v117, v116, 20, 1
	s_delay_alu instid0(VALU_DEP_2) | instskip(NEXT) | instid1(VALU_DEP_2)
	v_cmp_eq_u32_e64 s10, v12, v118
	v_add_nc_u32_e32 v115, -1, v117
	s_delay_alu instid0(VALU_DEP_1) | instskip(SKIP_2) | instid1(VALU_DEP_2)
	v_cndmask_b32_e64 v12, 0, v115, s10
	v_lshrrev_b32_e32 v115, 23, v116
	s_mov_b32 s10, exec_lo
	v_add_nc_u32_e32 v12, v12, v116
	s_delay_alu instid0(VALU_DEP_2) | instskip(NEXT) | instid1(VALU_DEP_2)
	v_xor_b32_e32 v115, 1, v115
	v_and_b32_e32 v11, 0xfffff, v12
	s_delay_alu instid0(VALU_DEP_1) | instskip(NEXT) | instid1(VALU_DEP_3)
	v_add_nc_u32_e32 v12, v11, v116
                                        ; implicit-def: $vgpr11
	v_cmpx_ne_u32_e64 v114, v115
	s_xor_b32 s10, exec_lo, s10
; %bb.5988:                             ;   in Loop: Header=BB4_5816 Depth=2
	s_delay_alu instid0(VALU_DEP_2) | instskip(SKIP_2) | instid1(VALU_DEP_2)
	v_cmp_lt_u32_e32 vcc_lo, 0xffffff, v12
	v_sub_nc_u32_e32 v11, v114, v115
	v_cndmask_b32_e64 v114, 0, 1, vcc_lo
	v_add_co_ci_u32_e32 v11, vcc_lo, 0, v11, vcc_lo
	s_delay_alu instid0(VALU_DEP_2)
	v_lshrrev_b32_e32 v12, v114, v12
; %bb.5989:                             ;   in Loop: Header=BB4_5816 Depth=2
	s_and_not1_saveexec_b32 s10, s10
; %bb.5990:                             ;   in Loop: Header=BB4_5816 Depth=2
	s_delay_alu instid0(VALU_DEP_1)
	v_bfe_u32 v11, v12, 23, 1
; %bb.5991:                             ;   in Loop: Header=BB4_5816 Depth=2
	s_or_b32 exec_lo, exec_lo, s10
	v_lshrrev_b32_e32 v12, 20, v12
	s_delay_alu instid0(VALU_DEP_2) | instskip(SKIP_2) | instid1(VALU_DEP_4)
	v_cmp_gt_i32_e32 vcc_lo, 16, v11
	v_min_i32_e32 v114, 15, v11
	v_lshrrev_b32_e32 v10, 24, v10
	v_cndmask_b32_e32 v12, 7, v12, vcc_lo
	s_delay_alu instid0(VALU_DEP_3) | instskip(NEXT) | instid1(VALU_DEP_3)
	v_lshlrev_b32_e32 v114, 3, v114
	v_and_b32_e32 v10, 0x80, v10
	s_delay_alu instid0(VALU_DEP_3) | instskip(NEXT) | instid1(VALU_DEP_3)
	v_or_b32_e32 v11, v11, v12
	v_and_b32_e32 v114, 0xf8, v114
	s_delay_alu instid0(VALU_DEP_2) | instskip(SKIP_1) | instid1(VALU_DEP_1)
	v_cmp_ne_u32_e32 vcc_lo, 0, v11
	v_and_b32_e32 v115, 7, v12
	v_or3_b32 v10, v10, v114, v115
	s_delay_alu instid0(VALU_DEP_1) | instskip(NEXT) | instid1(VALU_DEP_1)
	v_lshlrev_b32_e32 v10, 8, v10
	v_cndmask_b32_e32 v114, 0, v10, vcc_lo
.LBB4_5992:                             ;   in Loop: Header=BB4_5816 Depth=2
	s_or_b32 exec_lo, exec_lo, s24
.LBB4_5993:                             ;   in Loop: Header=BB4_5816 Depth=2
	s_delay_alu instid0(SALU_CYCLE_1) | instskip(SKIP_3) | instid1(VALU_DEP_1)
	s_or_b32 exec_lo, exec_lo, s23
	v_lshrrev_b32_e32 v10, 16, v13
	s_mov_b32 s10, 0
	s_mov_b32 s24, exec_lo
                                        ; implicit-def: $sgpr23
	v_and_b32_e32 v12, 0xff, v10
	s_delay_alu instid0(VALU_DEP_1)
	v_cmpx_lt_i16_e32 0x7f, v12
	s_xor_b32 s24, exec_lo, s24
	s_cbranch_execnz .LBB4_6647
; %bb.5994:                             ;   in Loop: Header=BB4_5816 Depth=2
	s_or_saveexec_b32 s24, s24
	v_mov_b32_e32 v11, s23
	s_xor_b32 exec_lo, exec_lo, s24
	s_cbranch_execnz .LBB4_6650
.LBB4_5995:                             ;   in Loop: Header=BB4_5816 Depth=2
	s_or_b32 exec_lo, exec_lo, s24
	s_and_saveexec_b32 s23, s10
	s_cbranch_execz .LBB4_5997
.LBB4_5996:                             ;   in Loop: Header=BB4_5816 Depth=2
	v_bfe_u32 v11, v13, 16, 3
	v_lshlrev_b32_e32 v116, 8, v13
	s_delay_alu instid0(VALU_DEP_2) | instskip(NEXT) | instid1(VALU_DEP_1)
	v_clz_i32_u32_e32 v12, v11
	v_min_u32_e32 v12, 32, v12
	s_delay_alu instid0(VALU_DEP_1) | instskip(SKIP_1) | instid1(VALU_DEP_2)
	v_subrev_nc_u32_e32 v115, 28, v12
	v_sub_nc_u32_e32 v12, 29, v12
	v_lshlrev_b32_e32 v10, v115, v10
	v_bfe_u32 v115, v13, 19, 4
	s_delay_alu instid0(VALU_DEP_2) | instskip(NEXT) | instid1(VALU_DEP_2)
	v_and_b32_e32 v10, 7, v10
	v_cmp_eq_u32_e32 vcc_lo, 0, v115
	v_cndmask_b32_e32 v12, v115, v12, vcc_lo
	s_delay_alu instid0(VALU_DEP_3) | instskip(NEXT) | instid1(VALU_DEP_2)
	v_dual_cndmask_b32 v10, v11, v10 :: v_dual_and_b32 v11, 0x80000000, v116
	v_lshl_add_u32 v12, v12, 23, 0x3b800000
	s_delay_alu instid0(VALU_DEP_2) | instskip(NEXT) | instid1(VALU_DEP_1)
	v_lshlrev_b32_e32 v10, 20, v10
	v_or3_b32 v11, v11, v12, v10
.LBB4_5997:                             ;   in Loop: Header=BB4_5816 Depth=2
	s_or_b32 exec_lo, exec_lo, s23
	s_delay_alu instid0(VALU_DEP_1) | instskip(SKIP_1) | instid1(VALU_DEP_1)
	v_dual_mul_f32 v10, s22, v11 :: v_dual_mov_b32 v115, 0x80
	s_mov_b32 s23, exec_lo
	v_and_b32_e32 v11, 0x7f800000, v10
	s_delay_alu instid0(VALU_DEP_1)
	v_cmpx_ne_u32_e32 0x7f800000, v11
	s_cbranch_execz .LBB4_6005
; %bb.5998:                             ;   in Loop: Header=BB4_5816 Depth=2
	v_mov_b32_e32 v115, 0
	s_mov_b32 s24, exec_lo
	v_cmpx_ne_u32_e32 0, v10
	s_cbranch_execz .LBB4_6004
; %bb.5999:                             ;   in Loop: Header=BB4_5816 Depth=2
	v_bfe_u32 v11, v10, 23, 8
	s_delay_alu instid0(VALU_DEP_1) | instskip(SKIP_1) | instid1(VALU_DEP_2)
	v_sub_nc_u32_e32 v115, 0x78, v11
	v_cmp_gt_u32_e32 vcc_lo, 0x79, v11
	v_dual_cndmask_b32 v115, 0, v115 :: v_dual_and_b32 v12, 0x7fffff, v10
	s_delay_alu instid0(VALU_DEP_1) | instskip(SKIP_2) | instid1(VALU_DEP_4)
	v_or_b32_e32 v116, 0x800000, v12
	v_cmp_eq_u32_e32 vcc_lo, 0, v11
	v_add_nc_u32_e32 v11, 0xffffff89, v11
	v_cndmask_b32_e64 v115, v115, 0x77, vcc_lo
	s_delay_alu instid0(VALU_DEP_4) | instskip(NEXT) | instid1(VALU_DEP_3)
	v_cndmask_b32_e32 v12, v116, v12, vcc_lo
	v_cndmask_b32_e64 v11, v11, 0xffffff8a, vcc_lo
	s_delay_alu instid0(VALU_DEP_3) | instskip(NEXT) | instid1(VALU_DEP_3)
	v_lshl_add_u32 v116, 0x100000, v115, -1
	v_lshrrev_b32_e32 v117, v115, v12
	v_lshlrev_b32_e64 v119, v115, 0x80000
	s_delay_alu instid0(VALU_DEP_4) | instskip(NEXT) | instid1(VALU_DEP_4)
	v_add_nc_u32_e32 v115, v115, v11
	v_and_b32_e32 v12, v116, v12
	s_delay_alu instid0(VALU_DEP_4) | instskip(NEXT) | instid1(VALU_DEP_2)
	v_bfe_u32 v118, v117, 20, 1
	v_cmp_eq_u32_e64 s10, v12, v119
	s_delay_alu instid0(VALU_DEP_2) | instskip(NEXT) | instid1(VALU_DEP_1)
	v_add_nc_u32_e32 v116, -1, v118
	v_cndmask_b32_e64 v12, 0, v116, s10
	v_lshrrev_b32_e32 v116, 23, v117
	s_mov_b32 s10, exec_lo
	s_delay_alu instid0(VALU_DEP_2) | instskip(NEXT) | instid1(VALU_DEP_2)
	v_add_nc_u32_e32 v12, v12, v117
	v_xor_b32_e32 v116, 1, v116
	s_delay_alu instid0(VALU_DEP_2) | instskip(NEXT) | instid1(VALU_DEP_1)
	v_and_b32_e32 v11, 0xfffff, v12
	v_add_nc_u32_e32 v12, v11, v117
                                        ; implicit-def: $vgpr11
	s_delay_alu instid0(VALU_DEP_3)
	v_cmpx_ne_u32_e64 v115, v116
	s_xor_b32 s10, exec_lo, s10
; %bb.6000:                             ;   in Loop: Header=BB4_5816 Depth=2
	s_delay_alu instid0(VALU_DEP_2) | instskip(SKIP_2) | instid1(VALU_DEP_2)
	v_cmp_lt_u32_e32 vcc_lo, 0xffffff, v12
	v_sub_nc_u32_e32 v11, v115, v116
	v_cndmask_b32_e64 v115, 0, 1, vcc_lo
	v_add_co_ci_u32_e32 v11, vcc_lo, 0, v11, vcc_lo
	s_delay_alu instid0(VALU_DEP_2)
	v_lshrrev_b32_e32 v12, v115, v12
; %bb.6001:                             ;   in Loop: Header=BB4_5816 Depth=2
	s_and_not1_saveexec_b32 s10, s10
; %bb.6002:                             ;   in Loop: Header=BB4_5816 Depth=2
	s_delay_alu instid0(VALU_DEP_1)
	v_bfe_u32 v11, v12, 23, 1
; %bb.6003:                             ;   in Loop: Header=BB4_5816 Depth=2
	s_or_b32 exec_lo, exec_lo, s10
	v_lshrrev_b32_e32 v12, 20, v12
	s_delay_alu instid0(VALU_DEP_2) | instskip(SKIP_2) | instid1(VALU_DEP_2)
	v_cmp_gt_i32_e32 vcc_lo, 16, v11
	v_min_i32_e32 v115, 15, v11
	v_lshrrev_b32_e32 v10, 24, v10
	v_dual_cndmask_b32 v12, 7, v12 :: v_dual_lshlrev_b32 v115, 3, v115
	s_delay_alu instid0(VALU_DEP_2) | instskip(NEXT) | instid1(VALU_DEP_2)
	v_and_b32_e32 v10, 0x80, v10
	v_or_b32_e32 v11, v11, v12
	s_delay_alu instid0(VALU_DEP_3) | instskip(NEXT) | instid1(VALU_DEP_2)
	v_and_b32_e32 v115, 0xf8, v115
	v_cmp_ne_u32_e32 vcc_lo, 0, v11
	v_and_b32_e32 v116, 7, v12
	s_delay_alu instid0(VALU_DEP_1) | instskip(NEXT) | instid1(VALU_DEP_1)
	v_or3_b32 v10, v115, v10, v116
	v_cndmask_b32_e32 v115, 0, v10, vcc_lo
.LBB4_6004:                             ;   in Loop: Header=BB4_5816 Depth=2
	s_or_b32 exec_lo, exec_lo, s24
.LBB4_6005:                             ;   in Loop: Header=BB4_5816 Depth=2
	s_delay_alu instid0(SALU_CYCLE_1) | instskip(SKIP_3) | instid1(VALU_DEP_1)
	s_or_b32 exec_lo, exec_lo, s23
	v_lshrrev_b32_e32 v10, 24, v13
	s_mov_b32 s10, 0
	s_mov_b32 s24, exec_lo
                                        ; implicit-def: $sgpr23
	v_cmpx_lt_i16_e32 0x7f, v10
	s_xor_b32 s24, exec_lo, s24
	s_cbranch_execnz .LBB4_6651
; %bb.6006:                             ;   in Loop: Header=BB4_5816 Depth=2
	s_or_saveexec_b32 s24, s24
	v_mov_b32_e32 v11, s23
	s_xor_b32 exec_lo, exec_lo, s24
	s_cbranch_execnz .LBB4_6654
.LBB4_6007:                             ;   in Loop: Header=BB4_5816 Depth=2
	s_or_b32 exec_lo, exec_lo, s24
	s_and_saveexec_b32 s23, s10
	s_cbranch_execz .LBB4_6009
.LBB4_6008:                             ;   in Loop: Header=BB4_5816 Depth=2
	v_bfe_u32 v11, v13, 24, 3
	s_delay_alu instid0(VALU_DEP_1) | instskip(NEXT) | instid1(VALU_DEP_1)
	v_clz_i32_u32_e32 v12, v11
	v_min_u32_e32 v12, 32, v12
	s_delay_alu instid0(VALU_DEP_1) | instskip(SKIP_1) | instid1(VALU_DEP_2)
	v_subrev_nc_u32_e32 v116, 28, v12
	v_sub_nc_u32_e32 v12, 29, v12
	v_lshlrev_b32_e32 v10, v116, v10
	v_bfe_u32 v116, v13, 27, 4
	s_delay_alu instid0(VALU_DEP_2) | instskip(NEXT) | instid1(VALU_DEP_2)
	v_and_b32_e32 v10, 7, v10
	v_cmp_eq_u32_e32 vcc_lo, 0, v116
	v_cndmask_b32_e32 v12, v116, v12, vcc_lo
	s_delay_alu instid0(VALU_DEP_3) | instskip(NEXT) | instid1(VALU_DEP_2)
	v_dual_cndmask_b32 v10, v11, v10 :: v_dual_and_b32 v11, 0x80000000, v13
	v_lshl_add_u32 v12, v12, 23, 0x3b800000
	s_delay_alu instid0(VALU_DEP_2) | instskip(NEXT) | instid1(VALU_DEP_1)
	v_lshlrev_b32_e32 v10, 20, v10
	v_or3_b32 v11, v11, v12, v10
.LBB4_6009:                             ;   in Loop: Header=BB4_5816 Depth=2
	s_or_b32 exec_lo, exec_lo, s23
	s_delay_alu instid0(VALU_DEP_1) | instskip(SKIP_2) | instid1(VALU_DEP_2)
	v_mul_f32_e32 v10, s22, v11
	v_mov_b32_e32 v116, 0x8000
	s_mov_b32 s23, exec_lo
	v_and_b32_e32 v11, 0x7f800000, v10
	s_delay_alu instid0(VALU_DEP_1)
	v_cmpx_ne_u32_e32 0x7f800000, v11
	s_cbranch_execz .LBB4_6017
; %bb.6010:                             ;   in Loop: Header=BB4_5816 Depth=2
	v_mov_b32_e32 v116, 0
	s_mov_b32 s24, exec_lo
	v_cmpx_ne_u32_e32 0, v10
	s_cbranch_execz .LBB4_6016
; %bb.6011:                             ;   in Loop: Header=BB4_5816 Depth=2
	v_bfe_u32 v11, v10, 23, 8
	s_delay_alu instid0(VALU_DEP_1) | instskip(SKIP_1) | instid1(VALU_DEP_2)
	v_sub_nc_u32_e32 v13, 0x78, v11
	v_cmp_gt_u32_e32 vcc_lo, 0x79, v11
	v_dual_cndmask_b32 v13, 0, v13 :: v_dual_and_b32 v12, 0x7fffff, v10
	s_delay_alu instid0(VALU_DEP_1) | instskip(SKIP_2) | instid1(VALU_DEP_4)
	v_or_b32_e32 v116, 0x800000, v12
	v_cmp_eq_u32_e32 vcc_lo, 0, v11
	v_add_nc_u32_e32 v11, 0xffffff89, v11
	v_cndmask_b32_e64 v13, v13, 0x77, vcc_lo
	s_delay_alu instid0(VALU_DEP_4) | instskip(NEXT) | instid1(VALU_DEP_3)
	v_cndmask_b32_e32 v12, v116, v12, vcc_lo
	v_cndmask_b32_e64 v11, v11, 0xffffff8a, vcc_lo
	s_delay_alu instid0(VALU_DEP_3) | instskip(NEXT) | instid1(VALU_DEP_3)
	v_lshl_add_u32 v116, 0x100000, v13, -1
	v_lshrrev_b32_e32 v117, v13, v12
	v_lshlrev_b32_e64 v119, v13, 0x80000
	s_delay_alu instid0(VALU_DEP_4) | instskip(NEXT) | instid1(VALU_DEP_4)
	v_add_nc_u32_e32 v13, v13, v11
	v_and_b32_e32 v12, v116, v12
	s_delay_alu instid0(VALU_DEP_4) | instskip(NEXT) | instid1(VALU_DEP_2)
	v_bfe_u32 v118, v117, 20, 1
	v_cmp_eq_u32_e64 s10, v12, v119
	s_delay_alu instid0(VALU_DEP_2) | instskip(NEXT) | instid1(VALU_DEP_1)
	v_add_nc_u32_e32 v116, -1, v118
	v_cndmask_b32_e64 v12, 0, v116, s10
	v_lshrrev_b32_e32 v116, 23, v117
	s_mov_b32 s10, exec_lo
	s_delay_alu instid0(VALU_DEP_2) | instskip(NEXT) | instid1(VALU_DEP_2)
	v_add_nc_u32_e32 v12, v12, v117
	v_xor_b32_e32 v116, 1, v116
	s_delay_alu instid0(VALU_DEP_2) | instskip(NEXT) | instid1(VALU_DEP_1)
	v_and_b32_e32 v11, 0xfffff, v12
	v_add_nc_u32_e32 v12, v11, v117
                                        ; implicit-def: $vgpr11
	s_delay_alu instid0(VALU_DEP_3)
	v_cmpx_ne_u32_e64 v13, v116
	s_xor_b32 s10, exec_lo, s10
; %bb.6012:                             ;   in Loop: Header=BB4_5816 Depth=2
	s_delay_alu instid0(VALU_DEP_2) | instskip(SKIP_2) | instid1(VALU_DEP_2)
	v_cmp_lt_u32_e32 vcc_lo, 0xffffff, v12
	v_sub_nc_u32_e32 v11, v13, v116
	v_cndmask_b32_e64 v13, 0, 1, vcc_lo
	v_add_co_ci_u32_e32 v11, vcc_lo, 0, v11, vcc_lo
	s_delay_alu instid0(VALU_DEP_2)
	v_lshrrev_b32_e32 v12, v13, v12
; %bb.6013:                             ;   in Loop: Header=BB4_5816 Depth=2
	s_and_not1_saveexec_b32 s10, s10
; %bb.6014:                             ;   in Loop: Header=BB4_5816 Depth=2
	s_delay_alu instid0(VALU_DEP_1)
	v_bfe_u32 v11, v12, 23, 1
; %bb.6015:                             ;   in Loop: Header=BB4_5816 Depth=2
	s_or_b32 exec_lo, exec_lo, s10
	v_lshrrev_b32_e32 v12, 20, v12
	s_delay_alu instid0(VALU_DEP_2) | instskip(SKIP_2) | instid1(VALU_DEP_2)
	v_cmp_gt_i32_e32 vcc_lo, 16, v11
	v_min_i32_e32 v13, 15, v11
	v_lshrrev_b32_e32 v10, 24, v10
	v_dual_cndmask_b32 v12, 7, v12 :: v_dual_lshlrev_b32 v13, 3, v13
	s_delay_alu instid0(VALU_DEP_2) | instskip(NEXT) | instid1(VALU_DEP_2)
	v_and_b32_e32 v10, 0x80, v10
	v_or_b32_e32 v11, v11, v12
	v_and_b32_e32 v116, 7, v12
	s_delay_alu instid0(VALU_DEP_2) | instskip(SKIP_1) | instid1(VALU_DEP_1)
	v_cmp_ne_u32_e32 vcc_lo, 0, v11
	v_and_b32_e32 v13, 0xf8, v13
	v_or3_b32 v10, v10, v13, v116
	s_delay_alu instid0(VALU_DEP_1) | instskip(NEXT) | instid1(VALU_DEP_1)
	v_lshlrev_b32_e32 v10, 8, v10
	v_cndmask_b32_e32 v116, 0, v10, vcc_lo
.LBB4_6016:                             ;   in Loop: Header=BB4_5816 Depth=2
	s_or_b32 exec_lo, exec_lo, s24
.LBB4_6017:                             ;   in Loop: Header=BB4_5816 Depth=2
	s_delay_alu instid0(SALU_CYCLE_1)
	s_or_b32 exec_lo, exec_lo, s23
	global_load_b128 v[10:13], v[50:51], off offset:512 slc dlc
	s_mov_b32 s10, 0
	s_mov_b32 s24, exec_lo
                                        ; implicit-def: $sgpr23
	s_waitcnt vmcnt(0)
	v_and_b32_e32 v118, 0xff, v10
	s_delay_alu instid0(VALU_DEP_1)
	v_cmpx_lt_i16_e32 0x7f, v118
	s_xor_b32 s24, exec_lo, s24
	s_cbranch_execnz .LBB4_6655
; %bb.6018:                             ;   in Loop: Header=BB4_5816 Depth=2
	s_or_saveexec_b32 s24, s24
	v_mov_b32_e32 v117, s23
	s_xor_b32 exec_lo, exec_lo, s24
	s_cbranch_execnz .LBB4_6658
.LBB4_6019:                             ;   in Loop: Header=BB4_5816 Depth=2
	s_or_b32 exec_lo, exec_lo, s24
	s_and_saveexec_b32 s23, s10
	s_cbranch_execz .LBB4_6021
.LBB4_6020:                             ;   in Loop: Header=BB4_5816 Depth=2
	v_and_b32_e32 v117, 7, v10
	v_bfe_u32 v128, v10, 3, 4
	v_lshlrev_b32_e32 v129, 24, v10
	s_delay_alu instid0(VALU_DEP_3) | instskip(NEXT) | instid1(VALU_DEP_3)
	v_clz_i32_u32_e32 v118, v117
	v_cmp_eq_u32_e32 vcc_lo, 0, v128
	s_delay_alu instid0(VALU_DEP_2) | instskip(NEXT) | instid1(VALU_DEP_1)
	v_min_u32_e32 v118, 32, v118
	v_subrev_nc_u32_e32 v119, 28, v118
	v_sub_nc_u32_e32 v118, 29, v118
	s_delay_alu instid0(VALU_DEP_2) | instskip(NEXT) | instid1(VALU_DEP_1)
	v_lshlrev_b32_e32 v119, v119, v10
	v_dual_cndmask_b32 v118, v128, v118 :: v_dual_and_b32 v119, 7, v119
	s_delay_alu instid0(VALU_DEP_1) | instskip(NEXT) | instid1(VALU_DEP_2)
	v_lshl_add_u32 v118, v118, 23, 0x3b800000
	v_cndmask_b32_e32 v117, v117, v119, vcc_lo
	v_and_b32_e32 v119, 0x80000000, v129
	s_delay_alu instid0(VALU_DEP_2) | instskip(NEXT) | instid1(VALU_DEP_1)
	v_lshlrev_b32_e32 v117, 20, v117
	v_or3_b32 v117, v119, v118, v117
.LBB4_6021:                             ;   in Loop: Header=BB4_5816 Depth=2
	s_or_b32 exec_lo, exec_lo, s23
	s_delay_alu instid0(VALU_DEP_1) | instskip(NEXT) | instid1(VALU_DEP_1)
	v_mul_f32_e32 v118, s22, v117
	v_and_b32_e32 v117, 0x7f800000, v118
	s_delay_alu instid0(VALU_DEP_1)
	v_cmp_ne_u32_e32 vcc_lo, 0x7f800000, v117
	v_mov_b32_e32 v117, 0x80
	s_and_saveexec_b32 s23, vcc_lo
	s_cbranch_execz .LBB4_6029
; %bb.6022:                             ;   in Loop: Header=BB4_5816 Depth=2
	v_mov_b32_e32 v117, 0
	s_mov_b32 s24, exec_lo
	v_cmpx_ne_u32_e32 0, v118
	s_cbranch_execz .LBB4_6028
; %bb.6023:                             ;   in Loop: Header=BB4_5816 Depth=2
	v_bfe_u32 v117, v118, 23, 8
	s_delay_alu instid0(VALU_DEP_1) | instskip(SKIP_1) | instid1(VALU_DEP_2)
	v_sub_nc_u32_e32 v128, 0x78, v117
	v_cmp_gt_u32_e32 vcc_lo, 0x79, v117
	v_dual_cndmask_b32 v128, 0, v128 :: v_dual_and_b32 v119, 0x7fffff, v118
	s_delay_alu instid0(VALU_DEP_1) | instskip(SKIP_2) | instid1(VALU_DEP_4)
	v_or_b32_e32 v129, 0x800000, v119
	v_cmp_eq_u32_e32 vcc_lo, 0, v117
	v_add_nc_u32_e32 v117, 0xffffff89, v117
	v_cndmask_b32_e64 v128, v128, 0x77, vcc_lo
	s_delay_alu instid0(VALU_DEP_2) | instskip(SKIP_1) | instid1(VALU_DEP_3)
	v_cndmask_b32_e64 v117, v117, 0xffffff8a, vcc_lo
	v_cndmask_b32_e32 v119, v129, v119, vcc_lo
	v_lshl_add_u32 v129, 0x100000, v128, -1
	v_lshlrev_b32_e64 v132, v128, 0x80000
	s_delay_alu instid0(VALU_DEP_3) | instskip(SKIP_1) | instid1(VALU_DEP_4)
	v_lshrrev_b32_e32 v130, v128, v119
	v_add_nc_u32_e32 v128, v128, v117
	v_and_b32_e32 v119, v129, v119
	s_delay_alu instid0(VALU_DEP_3) | instskip(NEXT) | instid1(VALU_DEP_2)
	v_bfe_u32 v131, v130, 20, 1
	v_cmp_eq_u32_e64 s10, v119, v132
	s_delay_alu instid0(VALU_DEP_2) | instskip(NEXT) | instid1(VALU_DEP_1)
	v_add_nc_u32_e32 v129, -1, v131
	v_cndmask_b32_e64 v119, 0, v129, s10
	v_lshrrev_b32_e32 v129, 23, v130
	s_mov_b32 s10, exec_lo
	s_delay_alu instid0(VALU_DEP_2) | instskip(NEXT) | instid1(VALU_DEP_2)
	v_add_nc_u32_e32 v119, v119, v130
	v_xor_b32_e32 v129, 1, v129
	s_delay_alu instid0(VALU_DEP_2) | instskip(NEXT) | instid1(VALU_DEP_1)
	v_and_b32_e32 v117, 0xfffff, v119
	v_add_nc_u32_e32 v119, v117, v130
                                        ; implicit-def: $vgpr117
	s_delay_alu instid0(VALU_DEP_3)
	v_cmpx_ne_u32_e64 v128, v129
	s_xor_b32 s10, exec_lo, s10
; %bb.6024:                             ;   in Loop: Header=BB4_5816 Depth=2
	s_delay_alu instid0(VALU_DEP_2) | instskip(SKIP_2) | instid1(VALU_DEP_2)
	v_cmp_lt_u32_e32 vcc_lo, 0xffffff, v119
	v_sub_nc_u32_e32 v117, v128, v129
	v_cndmask_b32_e64 v128, 0, 1, vcc_lo
	v_add_co_ci_u32_e32 v117, vcc_lo, 0, v117, vcc_lo
	s_delay_alu instid0(VALU_DEP_2)
	v_lshrrev_b32_e32 v119, v128, v119
; %bb.6025:                             ;   in Loop: Header=BB4_5816 Depth=2
	s_and_not1_saveexec_b32 s10, s10
; %bb.6026:                             ;   in Loop: Header=BB4_5816 Depth=2
	s_delay_alu instid0(VALU_DEP_1)
	v_bfe_u32 v117, v119, 23, 1
; %bb.6027:                             ;   in Loop: Header=BB4_5816 Depth=2
	s_or_b32 exec_lo, exec_lo, s10
	v_lshrrev_b32_e32 v119, 20, v119
	s_delay_alu instid0(VALU_DEP_2) | instskip(SKIP_2) | instid1(VALU_DEP_2)
	v_cmp_gt_i32_e32 vcc_lo, 16, v117
	v_lshrrev_b32_e32 v118, 24, v118
	v_min_i32_e32 v128, 15, v117
	v_dual_cndmask_b32 v119, 7, v119 :: v_dual_and_b32 v118, 0x80, v118
	s_delay_alu instid0(VALU_DEP_1) | instskip(SKIP_1) | instid1(VALU_DEP_2)
	v_or_b32_e32 v117, v117, v119
	v_and_b32_e32 v129, 7, v119
	v_cmp_ne_u32_e32 vcc_lo, 0, v117
	v_lshlrev_b32_e32 v128, 3, v128
	s_delay_alu instid0(VALU_DEP_1) | instskip(NEXT) | instid1(VALU_DEP_1)
	v_or3_b32 v118, v128, v118, v129
	v_cndmask_b32_e32 v117, 0, v118, vcc_lo
.LBB4_6028:                             ;   in Loop: Header=BB4_5816 Depth=2
	s_or_b32 exec_lo, exec_lo, s24
.LBB4_6029:                             ;   in Loop: Header=BB4_5816 Depth=2
	s_delay_alu instid0(SALU_CYCLE_1) | instskip(SKIP_3) | instid1(VALU_DEP_1)
	s_or_b32 exec_lo, exec_lo, s23
	v_lshrrev_b16 v118, 8, v10
	s_mov_b32 s10, 0
	s_mov_b32 s24, exec_lo
                                        ; implicit-def: $sgpr23
	v_cmpx_lt_i16_e32 0x7f, v118
	s_xor_b32 s24, exec_lo, s24
	s_cbranch_execnz .LBB4_6659
; %bb.6030:                             ;   in Loop: Header=BB4_5816 Depth=2
	s_or_saveexec_b32 s24, s24
	v_mov_b32_e32 v119, s23
	s_xor_b32 exec_lo, exec_lo, s24
	s_cbranch_execnz .LBB4_6662
.LBB4_6031:                             ;   in Loop: Header=BB4_5816 Depth=2
	s_or_b32 exec_lo, exec_lo, s24
	s_and_saveexec_b32 s23, s10
	s_cbranch_execz .LBB4_6033
.LBB4_6032:                             ;   in Loop: Header=BB4_5816 Depth=2
	v_and_b32_e32 v119, 0xffff, v118
	v_lshlrev_b32_e32 v118, 24, v118
	s_delay_alu instid0(VALU_DEP_2) | instskip(NEXT) | instid1(VALU_DEP_2)
	v_and_b32_e32 v128, 7, v119
	v_and_b32_e32 v118, 0x80000000, v118
	s_delay_alu instid0(VALU_DEP_2) | instskip(NEXT) | instid1(VALU_DEP_1)
	v_clz_i32_u32_e32 v129, v128
	v_min_u32_e32 v129, 32, v129
	s_delay_alu instid0(VALU_DEP_1) | instskip(SKIP_1) | instid1(VALU_DEP_2)
	v_subrev_nc_u32_e32 v130, 28, v129
	v_sub_nc_u32_e32 v129, 29, v129
	v_lshlrev_b32_e32 v130, v130, v119
	v_bfe_u32 v119, v119, 3, 4
	s_delay_alu instid0(VALU_DEP_2) | instskip(NEXT) | instid1(VALU_DEP_2)
	v_and_b32_e32 v130, 7, v130
	v_cmp_eq_u32_e32 vcc_lo, 0, v119
	s_delay_alu instid0(VALU_DEP_2) | instskip(NEXT) | instid1(VALU_DEP_1)
	v_dual_cndmask_b32 v119, v119, v129 :: v_dual_cndmask_b32 v128, v128, v130
	v_lshl_add_u32 v119, v119, 23, 0x3b800000
	s_delay_alu instid0(VALU_DEP_2) | instskip(NEXT) | instid1(VALU_DEP_1)
	v_lshlrev_b32_e32 v128, 20, v128
	v_or3_b32 v119, v118, v119, v128
.LBB4_6033:                             ;   in Loop: Header=BB4_5816 Depth=2
	s_or_b32 exec_lo, exec_lo, s23
	s_delay_alu instid0(VALU_DEP_1) | instskip(NEXT) | instid1(VALU_DEP_1)
	v_mul_f32_e32 v119, s22, v119
	v_and_b32_e32 v118, 0x7f800000, v119
	s_delay_alu instid0(VALU_DEP_1)
	v_cmp_ne_u32_e32 vcc_lo, 0x7f800000, v118
	v_mov_b32_e32 v118, 0x80
	s_and_saveexec_b32 s23, vcc_lo
	s_cbranch_execz .LBB4_6041
; %bb.6034:                             ;   in Loop: Header=BB4_5816 Depth=2
	v_mov_b32_e32 v118, 0
	s_mov_b32 s24, exec_lo
	v_cmpx_ne_u32_e32 0, v119
	s_cbranch_execz .LBB4_6040
; %bb.6035:                             ;   in Loop: Header=BB4_5816 Depth=2
	v_bfe_u32 v118, v119, 23, 8
	s_delay_alu instid0(VALU_DEP_1) | instskip(SKIP_1) | instid1(VALU_DEP_2)
	v_sub_nc_u32_e32 v129, 0x78, v118
	v_cmp_gt_u32_e32 vcc_lo, 0x79, v118
	v_dual_cndmask_b32 v129, 0, v129 :: v_dual_and_b32 v128, 0x7fffff, v119
	s_delay_alu instid0(VALU_DEP_1) | instskip(SKIP_2) | instid1(VALU_DEP_4)
	v_or_b32_e32 v130, 0x800000, v128
	v_cmp_eq_u32_e32 vcc_lo, 0, v118
	v_add_nc_u32_e32 v118, 0xffffff89, v118
	v_cndmask_b32_e64 v129, v129, 0x77, vcc_lo
	s_delay_alu instid0(VALU_DEP_2) | instskip(SKIP_1) | instid1(VALU_DEP_3)
	v_cndmask_b32_e64 v118, v118, 0xffffff8a, vcc_lo
	v_cndmask_b32_e32 v128, v130, v128, vcc_lo
	v_lshl_add_u32 v130, 0x100000, v129, -1
	v_lshlrev_b32_e64 v133, v129, 0x80000
	s_delay_alu instid0(VALU_DEP_3) | instskip(SKIP_1) | instid1(VALU_DEP_4)
	v_lshrrev_b32_e32 v131, v129, v128
	v_add_nc_u32_e32 v129, v129, v118
	v_and_b32_e32 v128, v130, v128
	s_delay_alu instid0(VALU_DEP_3) | instskip(NEXT) | instid1(VALU_DEP_2)
	v_bfe_u32 v132, v131, 20, 1
	v_cmp_eq_u32_e64 s10, v128, v133
	s_delay_alu instid0(VALU_DEP_2) | instskip(NEXT) | instid1(VALU_DEP_1)
	v_add_nc_u32_e32 v130, -1, v132
	v_cndmask_b32_e64 v128, 0, v130, s10
	v_lshrrev_b32_e32 v130, 23, v131
	s_mov_b32 s10, exec_lo
	s_delay_alu instid0(VALU_DEP_2) | instskip(NEXT) | instid1(VALU_DEP_2)
	v_add_nc_u32_e32 v128, v128, v131
	v_xor_b32_e32 v130, 1, v130
	s_delay_alu instid0(VALU_DEP_2) | instskip(NEXT) | instid1(VALU_DEP_1)
	v_and_b32_e32 v118, 0xfffff, v128
	v_add_nc_u32_e32 v128, v118, v131
                                        ; implicit-def: $vgpr118
	s_delay_alu instid0(VALU_DEP_3)
	v_cmpx_ne_u32_e64 v129, v130
	s_xor_b32 s10, exec_lo, s10
; %bb.6036:                             ;   in Loop: Header=BB4_5816 Depth=2
	s_delay_alu instid0(VALU_DEP_2) | instskip(SKIP_2) | instid1(VALU_DEP_2)
	v_cmp_lt_u32_e32 vcc_lo, 0xffffff, v128
	v_sub_nc_u32_e32 v118, v129, v130
	v_cndmask_b32_e64 v129, 0, 1, vcc_lo
	v_add_co_ci_u32_e32 v118, vcc_lo, 0, v118, vcc_lo
	s_delay_alu instid0(VALU_DEP_2)
	v_lshrrev_b32_e32 v128, v129, v128
; %bb.6037:                             ;   in Loop: Header=BB4_5816 Depth=2
	s_and_not1_saveexec_b32 s10, s10
; %bb.6038:                             ;   in Loop: Header=BB4_5816 Depth=2
	s_delay_alu instid0(VALU_DEP_1)
	v_bfe_u32 v118, v128, 23, 1
; %bb.6039:                             ;   in Loop: Header=BB4_5816 Depth=2
	s_or_b32 exec_lo, exec_lo, s10
	v_lshrrev_b32_e32 v128, 20, v128
	s_delay_alu instid0(VALU_DEP_2) | instskip(SKIP_2) | instid1(VALU_DEP_2)
	v_cmp_gt_i32_e32 vcc_lo, 16, v118
	v_lshrrev_b32_e32 v119, 24, v119
	v_min_i32_e32 v129, 15, v118
	v_dual_cndmask_b32 v128, 7, v128 :: v_dual_and_b32 v119, 0x80, v119
	s_delay_alu instid0(VALU_DEP_1) | instskip(SKIP_1) | instid1(VALU_DEP_2)
	v_or_b32_e32 v118, v118, v128
	v_and_b32_e32 v130, 7, v128
	v_cmp_ne_u32_e32 vcc_lo, 0, v118
	v_lshlrev_b32_e32 v129, 3, v129
	s_delay_alu instid0(VALU_DEP_1) | instskip(NEXT) | instid1(VALU_DEP_1)
	v_or3_b32 v119, v129, v119, v130
	v_cndmask_b32_e32 v118, 0, v119, vcc_lo
.LBB4_6040:                             ;   in Loop: Header=BB4_5816 Depth=2
	s_or_b32 exec_lo, exec_lo, s24
.LBB4_6041:                             ;   in Loop: Header=BB4_5816 Depth=2
	s_delay_alu instid0(SALU_CYCLE_1) | instskip(SKIP_3) | instid1(VALU_DEP_1)
	s_or_b32 exec_lo, exec_lo, s23
	v_lshrrev_b32_e32 v119, 16, v10
	s_mov_b32 s10, 0
	s_mov_b32 s24, exec_lo
                                        ; implicit-def: $sgpr23
	v_and_b32_e32 v129, 0xff, v119
	s_delay_alu instid0(VALU_DEP_1)
	v_cmpx_lt_i16_e64 0x7f, v129
	s_xor_b32 s24, exec_lo, s24
	s_cbranch_execnz .LBB4_6663
; %bb.6042:                             ;   in Loop: Header=BB4_5816 Depth=2
	s_or_saveexec_b32 s24, s24
	v_mov_b32_e32 v128, s23
	s_xor_b32 exec_lo, exec_lo, s24
	s_cbranch_execnz .LBB4_6666
.LBB4_6043:                             ;   in Loop: Header=BB4_5816 Depth=2
	s_or_b32 exec_lo, exec_lo, s24
	s_and_saveexec_b32 s23, s10
	s_cbranch_execz .LBB4_6045
.LBB4_6044:                             ;   in Loop: Header=BB4_5816 Depth=2
	v_bfe_u32 v128, v10, 16, 3
	v_lshlrev_b32_e32 v131, 8, v10
	s_delay_alu instid0(VALU_DEP_2) | instskip(NEXT) | instid1(VALU_DEP_1)
	v_clz_i32_u32_e32 v129, v128
	v_min_u32_e32 v129, 32, v129
	s_delay_alu instid0(VALU_DEP_1) | instskip(SKIP_1) | instid1(VALU_DEP_2)
	v_subrev_nc_u32_e32 v130, 28, v129
	v_sub_nc_u32_e32 v129, 29, v129
	v_lshlrev_b32_e32 v119, v130, v119
	v_bfe_u32 v130, v10, 19, 4
	s_delay_alu instid0(VALU_DEP_2) | instskip(NEXT) | instid1(VALU_DEP_2)
	v_and_b32_e32 v119, 7, v119
	v_cmp_eq_u32_e32 vcc_lo, 0, v130
	v_cndmask_b32_e32 v129, v130, v129, vcc_lo
	s_delay_alu instid0(VALU_DEP_3) | instskip(SKIP_1) | instid1(VALU_DEP_3)
	v_cndmask_b32_e32 v119, v128, v119, vcc_lo
	v_and_b32_e32 v128, 0x80000000, v131
	v_lshl_add_u32 v129, v129, 23, 0x3b800000
	s_delay_alu instid0(VALU_DEP_3) | instskip(NEXT) | instid1(VALU_DEP_1)
	v_lshlrev_b32_e32 v119, 20, v119
	v_or3_b32 v128, v128, v129, v119
.LBB4_6045:                             ;   in Loop: Header=BB4_5816 Depth=2
	s_or_b32 exec_lo, exec_lo, s23
	s_delay_alu instid0(VALU_DEP_1) | instskip(NEXT) | instid1(VALU_DEP_1)
	v_mul_f32_e32 v128, s22, v128
	v_and_b32_e32 v119, 0x7f800000, v128
	s_delay_alu instid0(VALU_DEP_1)
	v_cmp_ne_u32_e32 vcc_lo, 0x7f800000, v119
	v_mov_b32_e32 v119, 0x80
	s_and_saveexec_b32 s23, vcc_lo
	s_cbranch_execz .LBB4_6053
; %bb.6046:                             ;   in Loop: Header=BB4_5816 Depth=2
	v_mov_b32_e32 v119, 0
	s_mov_b32 s24, exec_lo
	v_cmpx_ne_u32_e32 0, v128
	s_cbranch_execz .LBB4_6052
; %bb.6047:                             ;   in Loop: Header=BB4_5816 Depth=2
	v_bfe_u32 v119, v128, 23, 8
	s_delay_alu instid0(VALU_DEP_1) | instskip(SKIP_1) | instid1(VALU_DEP_2)
	v_sub_nc_u32_e32 v130, 0x78, v119
	v_cmp_gt_u32_e32 vcc_lo, 0x79, v119
	v_dual_cndmask_b32 v130, 0, v130 :: v_dual_and_b32 v129, 0x7fffff, v128
	s_delay_alu instid0(VALU_DEP_1) | instskip(SKIP_2) | instid1(VALU_DEP_4)
	v_or_b32_e32 v131, 0x800000, v129
	v_cmp_eq_u32_e32 vcc_lo, 0, v119
	v_add_nc_u32_e32 v119, 0xffffff89, v119
	v_cndmask_b32_e64 v130, v130, 0x77, vcc_lo
	s_delay_alu instid0(VALU_DEP_2) | instskip(SKIP_1) | instid1(VALU_DEP_3)
	v_cndmask_b32_e64 v119, v119, 0xffffff8a, vcc_lo
	v_cndmask_b32_e32 v129, v131, v129, vcc_lo
	v_lshl_add_u32 v131, 0x100000, v130, -1
	v_lshlrev_b32_e64 v134, v130, 0x80000
	s_delay_alu instid0(VALU_DEP_3) | instskip(SKIP_1) | instid1(VALU_DEP_4)
	v_lshrrev_b32_e32 v132, v130, v129
	v_add_nc_u32_e32 v130, v130, v119
	v_and_b32_e32 v129, v131, v129
	s_delay_alu instid0(VALU_DEP_3) | instskip(NEXT) | instid1(VALU_DEP_2)
	v_bfe_u32 v133, v132, 20, 1
	v_cmp_eq_u32_e64 s10, v129, v134
	s_delay_alu instid0(VALU_DEP_2) | instskip(NEXT) | instid1(VALU_DEP_1)
	v_add_nc_u32_e32 v131, -1, v133
	v_cndmask_b32_e64 v129, 0, v131, s10
	v_lshrrev_b32_e32 v131, 23, v132
	s_mov_b32 s10, exec_lo
	s_delay_alu instid0(VALU_DEP_2) | instskip(NEXT) | instid1(VALU_DEP_2)
	v_add_nc_u32_e32 v129, v129, v132
	v_xor_b32_e32 v131, 1, v131
	s_delay_alu instid0(VALU_DEP_2) | instskip(NEXT) | instid1(VALU_DEP_1)
	v_and_b32_e32 v119, 0xfffff, v129
	v_add_nc_u32_e32 v129, v119, v132
                                        ; implicit-def: $vgpr119
	s_delay_alu instid0(VALU_DEP_3)
	v_cmpx_ne_u32_e64 v130, v131
	s_xor_b32 s10, exec_lo, s10
; %bb.6048:                             ;   in Loop: Header=BB4_5816 Depth=2
	s_delay_alu instid0(VALU_DEP_2) | instskip(SKIP_2) | instid1(VALU_DEP_2)
	v_cmp_lt_u32_e32 vcc_lo, 0xffffff, v129
	v_sub_nc_u32_e32 v119, v130, v131
	v_cndmask_b32_e64 v130, 0, 1, vcc_lo
	v_add_co_ci_u32_e32 v119, vcc_lo, 0, v119, vcc_lo
	s_delay_alu instid0(VALU_DEP_2)
	v_lshrrev_b32_e32 v129, v130, v129
; %bb.6049:                             ;   in Loop: Header=BB4_5816 Depth=2
	s_and_not1_saveexec_b32 s10, s10
; %bb.6050:                             ;   in Loop: Header=BB4_5816 Depth=2
	s_delay_alu instid0(VALU_DEP_1)
	v_bfe_u32 v119, v129, 23, 1
; %bb.6051:                             ;   in Loop: Header=BB4_5816 Depth=2
	s_or_b32 exec_lo, exec_lo, s10
	v_lshrrev_b32_e32 v129, 20, v129
	s_delay_alu instid0(VALU_DEP_2) | instskip(SKIP_2) | instid1(VALU_DEP_2)
	v_cmp_gt_i32_e32 vcc_lo, 16, v119
	v_lshrrev_b32_e32 v128, 24, v128
	v_min_i32_e32 v130, 15, v119
	v_dual_cndmask_b32 v129, 7, v129 :: v_dual_and_b32 v128, 0x80, v128
	s_delay_alu instid0(VALU_DEP_1) | instskip(SKIP_1) | instid1(VALU_DEP_2)
	v_or_b32_e32 v119, v119, v129
	v_and_b32_e32 v131, 7, v129
	v_cmp_ne_u32_e32 vcc_lo, 0, v119
	v_lshlrev_b32_e32 v130, 3, v130
	s_delay_alu instid0(VALU_DEP_1) | instskip(NEXT) | instid1(VALU_DEP_1)
	v_or3_b32 v128, v130, v128, v131
	v_cndmask_b32_e32 v119, 0, v128, vcc_lo
.LBB4_6052:                             ;   in Loop: Header=BB4_5816 Depth=2
	s_or_b32 exec_lo, exec_lo, s24
.LBB4_6053:                             ;   in Loop: Header=BB4_5816 Depth=2
	s_delay_alu instid0(SALU_CYCLE_1) | instskip(SKIP_3) | instid1(VALU_DEP_1)
	s_or_b32 exec_lo, exec_lo, s23
	v_lshrrev_b32_e32 v128, 24, v10
	s_mov_b32 s10, 0
	s_mov_b32 s24, exec_lo
                                        ; implicit-def: $sgpr23
	v_cmpx_lt_i16_e64 0x7f, v128
	s_xor_b32 s24, exec_lo, s24
	s_cbranch_execnz .LBB4_6667
; %bb.6054:                             ;   in Loop: Header=BB4_5816 Depth=2
	s_or_saveexec_b32 s24, s24
	v_mov_b32_e32 v129, s23
	s_xor_b32 exec_lo, exec_lo, s24
	s_cbranch_execnz .LBB4_6670
.LBB4_6055:                             ;   in Loop: Header=BB4_5816 Depth=2
	s_or_b32 exec_lo, exec_lo, s24
	s_and_saveexec_b32 s23, s10
	s_cbranch_execz .LBB4_6057
.LBB4_6056:                             ;   in Loop: Header=BB4_5816 Depth=2
	v_bfe_u32 v129, v10, 24, 3
	s_delay_alu instid0(VALU_DEP_1) | instskip(NEXT) | instid1(VALU_DEP_1)
	v_clz_i32_u32_e32 v130, v129
	v_min_u32_e32 v130, 32, v130
	s_delay_alu instid0(VALU_DEP_1) | instskip(SKIP_1) | instid1(VALU_DEP_2)
	v_subrev_nc_u32_e32 v131, 28, v130
	v_sub_nc_u32_e32 v130, 29, v130
	v_lshlrev_b32_e32 v128, v131, v128
	v_bfe_u32 v131, v10, 27, 4
	v_and_b32_e32 v10, 0x80000000, v10
	s_delay_alu instid0(VALU_DEP_3) | instskip(NEXT) | instid1(VALU_DEP_3)
	v_and_b32_e32 v128, 7, v128
	v_cmp_eq_u32_e32 vcc_lo, 0, v131
	v_cndmask_b32_e32 v130, v131, v130, vcc_lo
	s_delay_alu instid0(VALU_DEP_3) | instskip(NEXT) | instid1(VALU_DEP_2)
	v_cndmask_b32_e32 v128, v129, v128, vcc_lo
	v_lshl_add_u32 v129, v130, 23, 0x3b800000
	s_delay_alu instid0(VALU_DEP_2) | instskip(NEXT) | instid1(VALU_DEP_1)
	v_lshlrev_b32_e32 v128, 20, v128
	v_or3_b32 v129, v10, v129, v128
.LBB4_6057:                             ;   in Loop: Header=BB4_5816 Depth=2
	s_or_b32 exec_lo, exec_lo, s23
	s_delay_alu instid0(VALU_DEP_1) | instskip(NEXT) | instid1(VALU_DEP_1)
	v_mul_f32_e32 v10, s22, v129
	v_and_b32_e32 v128, 0x7f800000, v10
	s_delay_alu instid0(VALU_DEP_1)
	v_cmp_ne_u32_e32 vcc_lo, 0x7f800000, v128
	v_mov_b32_e32 v128, 0x80
	s_and_saveexec_b32 s23, vcc_lo
	s_cbranch_execz .LBB4_6065
; %bb.6058:                             ;   in Loop: Header=BB4_5816 Depth=2
	v_mov_b32_e32 v128, 0
	s_mov_b32 s24, exec_lo
	v_cmpx_ne_u32_e32 0, v10
	s_cbranch_execz .LBB4_6064
; %bb.6059:                             ;   in Loop: Header=BB4_5816 Depth=2
	v_bfe_u32 v128, v10, 23, 8
	v_and_b32_e32 v129, 0x7fffff, v10
	s_delay_alu instid0(VALU_DEP_2) | instskip(SKIP_1) | instid1(VALU_DEP_3)
	v_sub_nc_u32_e32 v130, 0x78, v128
	v_cmp_gt_u32_e32 vcc_lo, 0x79, v128
	v_or_b32_e32 v131, 0x800000, v129
	s_delay_alu instid0(VALU_DEP_3) | instskip(SKIP_1) | instid1(VALU_DEP_3)
	v_cndmask_b32_e32 v130, 0, v130, vcc_lo
	v_cmp_eq_u32_e32 vcc_lo, 0, v128
	v_dual_cndmask_b32 v129, v131, v129 :: v_dual_add_nc_u32 v128, 0xffffff89, v128
	s_delay_alu instid0(VALU_DEP_3) | instskip(NEXT) | instid1(VALU_DEP_2)
	v_cndmask_b32_e64 v130, v130, 0x77, vcc_lo
	v_cndmask_b32_e64 v128, v128, 0xffffff8a, vcc_lo
	s_delay_alu instid0(VALU_DEP_2) | instskip(SKIP_2) | instid1(VALU_DEP_4)
	v_lshrrev_b32_e32 v132, v130, v129
	v_lshl_add_u32 v131, 0x100000, v130, -1
	v_lshlrev_b32_e64 v134, v130, 0x80000
	v_add_nc_u32_e32 v130, v130, v128
	s_delay_alu instid0(VALU_DEP_4) | instskip(NEXT) | instid1(VALU_DEP_4)
	v_bfe_u32 v133, v132, 20, 1
	v_and_b32_e32 v129, v131, v129
	s_delay_alu instid0(VALU_DEP_2) | instskip(NEXT) | instid1(VALU_DEP_2)
	v_add_nc_u32_e32 v131, -1, v133
	v_cmp_eq_u32_e64 s10, v129, v134
	s_delay_alu instid0(VALU_DEP_1) | instskip(SKIP_2) | instid1(VALU_DEP_2)
	v_cndmask_b32_e64 v129, 0, v131, s10
	v_lshrrev_b32_e32 v131, 23, v132
	s_mov_b32 s10, exec_lo
	v_add_nc_u32_e32 v129, v129, v132
	s_delay_alu instid0(VALU_DEP_2) | instskip(NEXT) | instid1(VALU_DEP_2)
	v_xor_b32_e32 v131, 1, v131
	v_and_b32_e32 v128, 0xfffff, v129
	s_delay_alu instid0(VALU_DEP_1) | instskip(NEXT) | instid1(VALU_DEP_3)
	v_add_nc_u32_e32 v129, v128, v132
                                        ; implicit-def: $vgpr128
	v_cmpx_ne_u32_e64 v130, v131
	s_xor_b32 s10, exec_lo, s10
; %bb.6060:                             ;   in Loop: Header=BB4_5816 Depth=2
	s_delay_alu instid0(VALU_DEP_2) | instskip(SKIP_2) | instid1(VALU_DEP_2)
	v_cmp_lt_u32_e32 vcc_lo, 0xffffff, v129
	v_sub_nc_u32_e32 v128, v130, v131
	v_cndmask_b32_e64 v130, 0, 1, vcc_lo
	v_add_co_ci_u32_e32 v128, vcc_lo, 0, v128, vcc_lo
	s_delay_alu instid0(VALU_DEP_2)
	v_lshrrev_b32_e32 v129, v130, v129
; %bb.6061:                             ;   in Loop: Header=BB4_5816 Depth=2
	s_and_not1_saveexec_b32 s10, s10
; %bb.6062:                             ;   in Loop: Header=BB4_5816 Depth=2
	s_delay_alu instid0(VALU_DEP_1)
	v_bfe_u32 v128, v129, 23, 1
; %bb.6063:                             ;   in Loop: Header=BB4_5816 Depth=2
	s_or_b32 exec_lo, exec_lo, s10
	v_lshrrev_b32_e32 v129, 20, v129
	s_delay_alu instid0(VALU_DEP_2) | instskip(SKIP_2) | instid1(VALU_DEP_2)
	v_cmp_gt_i32_e32 vcc_lo, 16, v128
	v_lshrrev_b32_e32 v10, 24, v10
	v_min_i32_e32 v130, 15, v128
	v_dual_cndmask_b32 v129, 7, v129 :: v_dual_and_b32 v10, 0x80, v10
	s_delay_alu instid0(VALU_DEP_2) | instskip(NEXT) | instid1(VALU_DEP_2)
	v_lshlrev_b32_e32 v130, 3, v130
	v_or_b32_e32 v128, v128, v129
	s_delay_alu instid0(VALU_DEP_1) | instskip(SKIP_1) | instid1(VALU_DEP_1)
	v_cmp_ne_u32_e32 vcc_lo, 0, v128
	v_and_b32_e32 v131, 7, v129
	v_or3_b32 v10, v130, v10, v131
	s_delay_alu instid0(VALU_DEP_1)
	v_cndmask_b32_e32 v128, 0, v10, vcc_lo
.LBB4_6064:                             ;   in Loop: Header=BB4_5816 Depth=2
	s_or_b32 exec_lo, exec_lo, s24
.LBB4_6065:                             ;   in Loop: Header=BB4_5816 Depth=2
	s_delay_alu instid0(SALU_CYCLE_1) | instskip(SKIP_3) | instid1(VALU_DEP_1)
	s_or_b32 exec_lo, exec_lo, s23
	v_and_b32_e32 v129, 0xff, v11
	s_mov_b32 s10, 0
	s_mov_b32 s24, exec_lo
                                        ; implicit-def: $sgpr23
	v_cmpx_lt_i16_e64 0x7f, v129
	s_xor_b32 s24, exec_lo, s24
	s_cbranch_execnz .LBB4_6671
; %bb.6066:                             ;   in Loop: Header=BB4_5816 Depth=2
	s_or_saveexec_b32 s24, s24
	v_mov_b32_e32 v10, s23
	s_xor_b32 exec_lo, exec_lo, s24
	s_cbranch_execnz .LBB4_6674
.LBB4_6067:                             ;   in Loop: Header=BB4_5816 Depth=2
	s_or_b32 exec_lo, exec_lo, s24
	s_and_saveexec_b32 s23, s10
	s_cbranch_execz .LBB4_6069
.LBB4_6068:                             ;   in Loop: Header=BB4_5816 Depth=2
	v_bfe_u32 v131, v11, 3, 4
	v_lshlrev_b32_e32 v132, 24, v11
	s_delay_alu instid0(VALU_DEP_2) | instskip(SKIP_1) | instid1(VALU_DEP_1)
	v_cmp_eq_u32_e32 vcc_lo, 0, v131
	v_and_b32_e32 v10, 7, v11
	v_clz_i32_u32_e32 v129, v10
	s_delay_alu instid0(VALU_DEP_1) | instskip(NEXT) | instid1(VALU_DEP_1)
	v_min_u32_e32 v129, 32, v129
	v_subrev_nc_u32_e32 v130, 28, v129
	v_sub_nc_u32_e32 v129, 29, v129
	s_delay_alu instid0(VALU_DEP_1) | instskip(NEXT) | instid1(VALU_DEP_1)
	v_dual_cndmask_b32 v129, v131, v129 :: v_dual_lshlrev_b32 v130, v130, v11
	v_and_b32_e32 v130, 7, v130
	s_delay_alu instid0(VALU_DEP_2) | instskip(NEXT) | instid1(VALU_DEP_2)
	v_lshl_add_u32 v129, v129, 23, 0x3b800000
	v_cndmask_b32_e32 v10, v10, v130, vcc_lo
	v_and_b32_e32 v130, 0x80000000, v132
	s_delay_alu instid0(VALU_DEP_2) | instskip(NEXT) | instid1(VALU_DEP_1)
	v_lshlrev_b32_e32 v10, 20, v10
	v_or3_b32 v10, v130, v129, v10
.LBB4_6069:                             ;   in Loop: Header=BB4_5816 Depth=2
	s_or_b32 exec_lo, exec_lo, s23
	s_delay_alu instid0(VALU_DEP_1) | instskip(NEXT) | instid1(VALU_DEP_1)
	v_mul_f32_e32 v10, s22, v10
	v_and_b32_e32 v129, 0x7f800000, v10
	s_delay_alu instid0(VALU_DEP_1)
	v_cmp_ne_u32_e32 vcc_lo, 0x7f800000, v129
	v_mov_b32_e32 v129, 0x80
	s_and_saveexec_b32 s23, vcc_lo
	s_cbranch_execz .LBB4_6077
; %bb.6070:                             ;   in Loop: Header=BB4_5816 Depth=2
	v_mov_b32_e32 v129, 0
	s_mov_b32 s24, exec_lo
	v_cmpx_ne_u32_e32 0, v10
	s_cbranch_execz .LBB4_6076
; %bb.6071:                             ;   in Loop: Header=BB4_5816 Depth=2
	v_bfe_u32 v129, v10, 23, 8
	s_delay_alu instid0(VALU_DEP_1) | instskip(SKIP_1) | instid1(VALU_DEP_2)
	v_sub_nc_u32_e32 v131, 0x78, v129
	v_cmp_gt_u32_e32 vcc_lo, 0x79, v129
	v_dual_cndmask_b32 v131, 0, v131 :: v_dual_and_b32 v130, 0x7fffff, v10
	s_delay_alu instid0(VALU_DEP_1) | instskip(SKIP_2) | instid1(VALU_DEP_4)
	v_or_b32_e32 v132, 0x800000, v130
	v_cmp_eq_u32_e32 vcc_lo, 0, v129
	v_add_nc_u32_e32 v129, 0xffffff89, v129
	v_cndmask_b32_e64 v131, v131, 0x77, vcc_lo
	s_delay_alu instid0(VALU_DEP_4) | instskip(NEXT) | instid1(VALU_DEP_3)
	v_cndmask_b32_e32 v130, v132, v130, vcc_lo
	v_cndmask_b32_e64 v129, v129, 0xffffff8a, vcc_lo
	s_delay_alu instid0(VALU_DEP_3) | instskip(NEXT) | instid1(VALU_DEP_3)
	v_lshl_add_u32 v132, 0x100000, v131, -1
	v_lshrrev_b32_e32 v133, v131, v130
	v_lshlrev_b32_e64 v135, v131, 0x80000
	s_delay_alu instid0(VALU_DEP_4) | instskip(NEXT) | instid1(VALU_DEP_4)
	v_add_nc_u32_e32 v131, v131, v129
	v_and_b32_e32 v130, v132, v130
	s_delay_alu instid0(VALU_DEP_4) | instskip(NEXT) | instid1(VALU_DEP_2)
	v_bfe_u32 v134, v133, 20, 1
	v_cmp_eq_u32_e64 s10, v130, v135
	s_delay_alu instid0(VALU_DEP_2) | instskip(NEXT) | instid1(VALU_DEP_1)
	v_add_nc_u32_e32 v132, -1, v134
	v_cndmask_b32_e64 v130, 0, v132, s10
	v_lshrrev_b32_e32 v132, 23, v133
	s_mov_b32 s10, exec_lo
	s_delay_alu instid0(VALU_DEP_2) | instskip(NEXT) | instid1(VALU_DEP_2)
	v_add_nc_u32_e32 v130, v130, v133
	v_xor_b32_e32 v132, 1, v132
	s_delay_alu instid0(VALU_DEP_2) | instskip(NEXT) | instid1(VALU_DEP_1)
	v_and_b32_e32 v129, 0xfffff, v130
	v_add_nc_u32_e32 v130, v129, v133
                                        ; implicit-def: $vgpr129
	s_delay_alu instid0(VALU_DEP_3)
	v_cmpx_ne_u32_e64 v131, v132
	s_xor_b32 s10, exec_lo, s10
; %bb.6072:                             ;   in Loop: Header=BB4_5816 Depth=2
	s_delay_alu instid0(VALU_DEP_2) | instskip(SKIP_2) | instid1(VALU_DEP_2)
	v_cmp_lt_u32_e32 vcc_lo, 0xffffff, v130
	v_sub_nc_u32_e32 v129, v131, v132
	v_cndmask_b32_e64 v131, 0, 1, vcc_lo
	v_add_co_ci_u32_e32 v129, vcc_lo, 0, v129, vcc_lo
	s_delay_alu instid0(VALU_DEP_2)
	v_lshrrev_b32_e32 v130, v131, v130
; %bb.6073:                             ;   in Loop: Header=BB4_5816 Depth=2
	s_and_not1_saveexec_b32 s10, s10
; %bb.6074:                             ;   in Loop: Header=BB4_5816 Depth=2
	s_delay_alu instid0(VALU_DEP_1)
	v_bfe_u32 v129, v130, 23, 1
; %bb.6075:                             ;   in Loop: Header=BB4_5816 Depth=2
	s_or_b32 exec_lo, exec_lo, s10
	v_lshrrev_b32_e32 v130, 20, v130
	s_delay_alu instid0(VALU_DEP_2) | instskip(SKIP_2) | instid1(VALU_DEP_3)
	v_min_i32_e32 v131, 15, v129
	v_cmp_gt_i32_e32 vcc_lo, 16, v129
	v_lshrrev_b32_e32 v10, 24, v10
	v_dual_cndmask_b32 v130, 7, v130 :: v_dual_lshlrev_b32 v131, 3, v131
	s_delay_alu instid0(VALU_DEP_2) | instskip(NEXT) | instid1(VALU_DEP_2)
	v_and_b32_e32 v10, 0x80, v10
	v_and_b32_e32 v131, 0xf8, v131
	s_delay_alu instid0(VALU_DEP_3) | instskip(SKIP_1) | instid1(VALU_DEP_2)
	v_and_b32_e32 v132, 7, v130
	v_or_b32_e32 v129, v129, v130
	v_or3_b32 v10, v131, v10, v132
	s_delay_alu instid0(VALU_DEP_2) | instskip(NEXT) | instid1(VALU_DEP_2)
	v_cmp_ne_u32_e32 vcc_lo, 0, v129
	v_cndmask_b32_e32 v129, 0, v10, vcc_lo
.LBB4_6076:                             ;   in Loop: Header=BB4_5816 Depth=2
	s_or_b32 exec_lo, exec_lo, s24
.LBB4_6077:                             ;   in Loop: Header=BB4_5816 Depth=2
	s_delay_alu instid0(SALU_CYCLE_1) | instskip(SKIP_3) | instid1(VALU_DEP_1)
	s_or_b32 exec_lo, exec_lo, s23
	v_lshrrev_b16 v10, 8, v11
	s_mov_b32 s10, 0
	s_mov_b32 s24, exec_lo
                                        ; implicit-def: $sgpr23
	v_cmpx_lt_i16_e32 0x7f, v10
	s_xor_b32 s24, exec_lo, s24
	s_cbranch_execnz .LBB4_6675
; %bb.6078:                             ;   in Loop: Header=BB4_5816 Depth=2
	s_or_saveexec_b32 s24, s24
	v_mov_b32_e32 v130, s23
	s_xor_b32 exec_lo, exec_lo, s24
	s_cbranch_execnz .LBB4_6678
.LBB4_6079:                             ;   in Loop: Header=BB4_5816 Depth=2
	s_or_b32 exec_lo, exec_lo, s24
	s_and_saveexec_b32 s23, s10
	s_cbranch_execz .LBB4_6081
.LBB4_6080:                             ;   in Loop: Header=BB4_5816 Depth=2
	v_and_b32_e32 v130, 0xffff, v10
	v_lshlrev_b32_e32 v10, 24, v10
	s_delay_alu instid0(VALU_DEP_2) | instskip(NEXT) | instid1(VALU_DEP_2)
	v_and_b32_e32 v131, 7, v130
	v_and_b32_e32 v10, 0x80000000, v10
	s_delay_alu instid0(VALU_DEP_2) | instskip(NEXT) | instid1(VALU_DEP_1)
	v_clz_i32_u32_e32 v132, v131
	v_min_u32_e32 v132, 32, v132
	s_delay_alu instid0(VALU_DEP_1) | instskip(SKIP_1) | instid1(VALU_DEP_2)
	v_subrev_nc_u32_e32 v133, 28, v132
	v_sub_nc_u32_e32 v132, 29, v132
	v_lshlrev_b32_e32 v133, v133, v130
	v_bfe_u32 v130, v130, 3, 4
	s_delay_alu instid0(VALU_DEP_2) | instskip(NEXT) | instid1(VALU_DEP_2)
	v_and_b32_e32 v133, 7, v133
	v_cmp_eq_u32_e32 vcc_lo, 0, v130
	s_delay_alu instid0(VALU_DEP_2) | instskip(NEXT) | instid1(VALU_DEP_1)
	v_dual_cndmask_b32 v130, v130, v132 :: v_dual_cndmask_b32 v131, v131, v133
	v_lshl_add_u32 v130, v130, 23, 0x3b800000
	s_delay_alu instid0(VALU_DEP_2) | instskip(NEXT) | instid1(VALU_DEP_1)
	v_lshlrev_b32_e32 v131, 20, v131
	v_or3_b32 v130, v10, v130, v131
.LBB4_6081:                             ;   in Loop: Header=BB4_5816 Depth=2
	s_or_b32 exec_lo, exec_lo, s23
	s_delay_alu instid0(VALU_DEP_1) | instskip(NEXT) | instid1(VALU_DEP_1)
	v_mul_f32_e32 v10, s22, v130
	v_and_b32_e32 v130, 0x7f800000, v10
	s_delay_alu instid0(VALU_DEP_1)
	v_cmp_ne_u32_e32 vcc_lo, 0x7f800000, v130
	v_mov_b32_e32 v130, 0x8000
	s_and_saveexec_b32 s23, vcc_lo
	s_cbranch_execz .LBB4_6089
; %bb.6082:                             ;   in Loop: Header=BB4_5816 Depth=2
	v_mov_b32_e32 v130, 0
	s_mov_b32 s24, exec_lo
	v_cmpx_ne_u32_e32 0, v10
	s_cbranch_execz .LBB4_6088
; %bb.6083:                             ;   in Loop: Header=BB4_5816 Depth=2
	v_bfe_u32 v130, v10, 23, 8
	s_delay_alu instid0(VALU_DEP_1) | instskip(SKIP_1) | instid1(VALU_DEP_2)
	v_sub_nc_u32_e32 v132, 0x78, v130
	v_cmp_gt_u32_e32 vcc_lo, 0x79, v130
	v_dual_cndmask_b32 v132, 0, v132 :: v_dual_and_b32 v131, 0x7fffff, v10
	s_delay_alu instid0(VALU_DEP_1) | instskip(SKIP_2) | instid1(VALU_DEP_4)
	v_or_b32_e32 v133, 0x800000, v131
	v_cmp_eq_u32_e32 vcc_lo, 0, v130
	v_add_nc_u32_e32 v130, 0xffffff89, v130
	v_cndmask_b32_e64 v132, v132, 0x77, vcc_lo
	s_delay_alu instid0(VALU_DEP_4) | instskip(NEXT) | instid1(VALU_DEP_3)
	v_cndmask_b32_e32 v131, v133, v131, vcc_lo
	v_cndmask_b32_e64 v130, v130, 0xffffff8a, vcc_lo
	s_delay_alu instid0(VALU_DEP_3) | instskip(NEXT) | instid1(VALU_DEP_3)
	v_lshl_add_u32 v133, 0x100000, v132, -1
	v_lshrrev_b32_e32 v134, v132, v131
	v_lshlrev_b32_e64 v144, v132, 0x80000
	s_delay_alu instid0(VALU_DEP_4) | instskip(NEXT) | instid1(VALU_DEP_4)
	v_add_nc_u32_e32 v132, v132, v130
	v_and_b32_e32 v131, v133, v131
	s_delay_alu instid0(VALU_DEP_4) | instskip(NEXT) | instid1(VALU_DEP_2)
	v_bfe_u32 v135, v134, 20, 1
	v_cmp_eq_u32_e64 s10, v131, v144
	s_delay_alu instid0(VALU_DEP_2) | instskip(NEXT) | instid1(VALU_DEP_1)
	v_add_nc_u32_e32 v133, -1, v135
	v_cndmask_b32_e64 v131, 0, v133, s10
	v_lshrrev_b32_e32 v133, 23, v134
	s_mov_b32 s10, exec_lo
	s_delay_alu instid0(VALU_DEP_2) | instskip(NEXT) | instid1(VALU_DEP_2)
	v_add_nc_u32_e32 v131, v131, v134
	v_xor_b32_e32 v133, 1, v133
	s_delay_alu instid0(VALU_DEP_2) | instskip(NEXT) | instid1(VALU_DEP_1)
	v_and_b32_e32 v130, 0xfffff, v131
	v_add_nc_u32_e32 v131, v130, v134
                                        ; implicit-def: $vgpr130
	s_delay_alu instid0(VALU_DEP_3)
	v_cmpx_ne_u32_e64 v132, v133
	s_xor_b32 s10, exec_lo, s10
; %bb.6084:                             ;   in Loop: Header=BB4_5816 Depth=2
	s_delay_alu instid0(VALU_DEP_2) | instskip(SKIP_2) | instid1(VALU_DEP_2)
	v_cmp_lt_u32_e32 vcc_lo, 0xffffff, v131
	v_sub_nc_u32_e32 v130, v132, v133
	v_cndmask_b32_e64 v132, 0, 1, vcc_lo
	v_add_co_ci_u32_e32 v130, vcc_lo, 0, v130, vcc_lo
	s_delay_alu instid0(VALU_DEP_2)
	v_lshrrev_b32_e32 v131, v132, v131
; %bb.6085:                             ;   in Loop: Header=BB4_5816 Depth=2
	s_and_not1_saveexec_b32 s10, s10
; %bb.6086:                             ;   in Loop: Header=BB4_5816 Depth=2
	s_delay_alu instid0(VALU_DEP_1)
	v_bfe_u32 v130, v131, 23, 1
; %bb.6087:                             ;   in Loop: Header=BB4_5816 Depth=2
	s_or_b32 exec_lo, exec_lo, s10
	v_lshrrev_b32_e32 v131, 20, v131
	s_delay_alu instid0(VALU_DEP_2) | instskip(SKIP_2) | instid1(VALU_DEP_2)
	v_cmp_gt_i32_e32 vcc_lo, 16, v130
	v_min_i32_e32 v132, 15, v130
	v_lshrrev_b32_e32 v10, 24, v10
	v_dual_cndmask_b32 v131, 7, v131 :: v_dual_lshlrev_b32 v132, 3, v132
	s_delay_alu instid0(VALU_DEP_2) | instskip(NEXT) | instid1(VALU_DEP_2)
	v_and_b32_e32 v10, 0x80, v10
	v_or_b32_e32 v130, v130, v131
	s_delay_alu instid0(VALU_DEP_3) | instskip(NEXT) | instid1(VALU_DEP_2)
	v_and_b32_e32 v132, 0xf8, v132
	v_cmp_ne_u32_e32 vcc_lo, 0, v130
	v_and_b32_e32 v133, 7, v131
	s_delay_alu instid0(VALU_DEP_1) | instskip(NEXT) | instid1(VALU_DEP_1)
	v_or3_b32 v10, v10, v132, v133
	v_lshlrev_b32_e32 v10, 8, v10
	s_delay_alu instid0(VALU_DEP_1)
	v_cndmask_b32_e32 v130, 0, v10, vcc_lo
.LBB4_6088:                             ;   in Loop: Header=BB4_5816 Depth=2
	s_or_b32 exec_lo, exec_lo, s24
.LBB4_6089:                             ;   in Loop: Header=BB4_5816 Depth=2
	s_delay_alu instid0(SALU_CYCLE_1) | instskip(SKIP_3) | instid1(VALU_DEP_1)
	s_or_b32 exec_lo, exec_lo, s23
	v_lshrrev_b32_e32 v10, 16, v11
	s_mov_b32 s10, 0
	s_mov_b32 s24, exec_lo
                                        ; implicit-def: $sgpr23
	v_and_b32_e32 v132, 0xff, v10
	s_delay_alu instid0(VALU_DEP_1)
	v_cmpx_lt_i16_e64 0x7f, v132
	s_xor_b32 s24, exec_lo, s24
	s_cbranch_execnz .LBB4_6679
; %bb.6090:                             ;   in Loop: Header=BB4_5816 Depth=2
	s_or_saveexec_b32 s24, s24
	v_mov_b32_e32 v131, s23
	s_xor_b32 exec_lo, exec_lo, s24
	s_cbranch_execnz .LBB4_6682
.LBB4_6091:                             ;   in Loop: Header=BB4_5816 Depth=2
	s_or_b32 exec_lo, exec_lo, s24
	s_and_saveexec_b32 s23, s10
	s_cbranch_execz .LBB4_6093
.LBB4_6092:                             ;   in Loop: Header=BB4_5816 Depth=2
	v_bfe_u32 v131, v11, 16, 3
	v_lshlrev_b32_e32 v134, 8, v11
	s_delay_alu instid0(VALU_DEP_2) | instskip(NEXT) | instid1(VALU_DEP_1)
	v_clz_i32_u32_e32 v132, v131
	v_min_u32_e32 v132, 32, v132
	s_delay_alu instid0(VALU_DEP_1) | instskip(SKIP_1) | instid1(VALU_DEP_2)
	v_subrev_nc_u32_e32 v133, 28, v132
	v_sub_nc_u32_e32 v132, 29, v132
	v_lshlrev_b32_e32 v10, v133, v10
	v_bfe_u32 v133, v11, 19, 4
	s_delay_alu instid0(VALU_DEP_2) | instskip(NEXT) | instid1(VALU_DEP_2)
	v_and_b32_e32 v10, 7, v10
	v_cmp_eq_u32_e32 vcc_lo, 0, v133
	v_cndmask_b32_e32 v132, v133, v132, vcc_lo
	s_delay_alu instid0(VALU_DEP_3) | instskip(SKIP_1) | instid1(VALU_DEP_3)
	v_cndmask_b32_e32 v10, v131, v10, vcc_lo
	v_and_b32_e32 v131, 0x80000000, v134
	v_lshl_add_u32 v132, v132, 23, 0x3b800000
	s_delay_alu instid0(VALU_DEP_3) | instskip(NEXT) | instid1(VALU_DEP_1)
	v_lshlrev_b32_e32 v10, 20, v10
	v_or3_b32 v131, v131, v132, v10
.LBB4_6093:                             ;   in Loop: Header=BB4_5816 Depth=2
	s_or_b32 exec_lo, exec_lo, s23
	s_delay_alu instid0(VALU_DEP_1) | instskip(NEXT) | instid1(VALU_DEP_1)
	v_mul_f32_e32 v10, s22, v131
	v_and_b32_e32 v131, 0x7f800000, v10
	s_delay_alu instid0(VALU_DEP_1)
	v_cmp_ne_u32_e32 vcc_lo, 0x7f800000, v131
	v_mov_b32_e32 v131, 0x80
	s_and_saveexec_b32 s23, vcc_lo
	s_cbranch_execz .LBB4_6101
; %bb.6094:                             ;   in Loop: Header=BB4_5816 Depth=2
	v_mov_b32_e32 v131, 0
	s_mov_b32 s24, exec_lo
	v_cmpx_ne_u32_e32 0, v10
	s_cbranch_execz .LBB4_6100
; %bb.6095:                             ;   in Loop: Header=BB4_5816 Depth=2
	v_bfe_u32 v131, v10, 23, 8
	s_delay_alu instid0(VALU_DEP_1) | instskip(SKIP_1) | instid1(VALU_DEP_2)
	v_sub_nc_u32_e32 v133, 0x78, v131
	v_cmp_gt_u32_e32 vcc_lo, 0x79, v131
	v_dual_cndmask_b32 v133, 0, v133 :: v_dual_and_b32 v132, 0x7fffff, v10
	s_delay_alu instid0(VALU_DEP_1) | instskip(SKIP_2) | instid1(VALU_DEP_4)
	v_or_b32_e32 v134, 0x800000, v132
	v_cmp_eq_u32_e32 vcc_lo, 0, v131
	v_add_nc_u32_e32 v131, 0xffffff89, v131
	v_cndmask_b32_e64 v133, v133, 0x77, vcc_lo
	s_delay_alu instid0(VALU_DEP_4) | instskip(NEXT) | instid1(VALU_DEP_3)
	v_cndmask_b32_e32 v132, v134, v132, vcc_lo
	v_cndmask_b32_e64 v131, v131, 0xffffff8a, vcc_lo
	s_delay_alu instid0(VALU_DEP_3) | instskip(NEXT) | instid1(VALU_DEP_3)
	v_lshl_add_u32 v134, 0x100000, v133, -1
	v_lshrrev_b32_e32 v135, v133, v132
	v_lshlrev_b32_e64 v145, v133, 0x80000
	s_delay_alu instid0(VALU_DEP_4) | instskip(NEXT) | instid1(VALU_DEP_4)
	v_add_nc_u32_e32 v133, v133, v131
	v_and_b32_e32 v132, v134, v132
	s_delay_alu instid0(VALU_DEP_4) | instskip(NEXT) | instid1(VALU_DEP_2)
	v_bfe_u32 v144, v135, 20, 1
	v_cmp_eq_u32_e64 s10, v132, v145
	s_delay_alu instid0(VALU_DEP_2) | instskip(NEXT) | instid1(VALU_DEP_1)
	v_add_nc_u32_e32 v134, -1, v144
	v_cndmask_b32_e64 v132, 0, v134, s10
	v_lshrrev_b32_e32 v134, 23, v135
	s_mov_b32 s10, exec_lo
	s_delay_alu instid0(VALU_DEP_2) | instskip(NEXT) | instid1(VALU_DEP_2)
	v_add_nc_u32_e32 v132, v132, v135
	v_xor_b32_e32 v134, 1, v134
	s_delay_alu instid0(VALU_DEP_2) | instskip(NEXT) | instid1(VALU_DEP_1)
	v_and_b32_e32 v131, 0xfffff, v132
	v_add_nc_u32_e32 v132, v131, v135
                                        ; implicit-def: $vgpr131
	s_delay_alu instid0(VALU_DEP_3)
	v_cmpx_ne_u32_e64 v133, v134
	s_xor_b32 s10, exec_lo, s10
; %bb.6096:                             ;   in Loop: Header=BB4_5816 Depth=2
	s_delay_alu instid0(VALU_DEP_2) | instskip(SKIP_2) | instid1(VALU_DEP_2)
	v_cmp_lt_u32_e32 vcc_lo, 0xffffff, v132
	v_sub_nc_u32_e32 v131, v133, v134
	v_cndmask_b32_e64 v133, 0, 1, vcc_lo
	v_add_co_ci_u32_e32 v131, vcc_lo, 0, v131, vcc_lo
	s_delay_alu instid0(VALU_DEP_2)
	v_lshrrev_b32_e32 v132, v133, v132
; %bb.6097:                             ;   in Loop: Header=BB4_5816 Depth=2
	s_and_not1_saveexec_b32 s10, s10
; %bb.6098:                             ;   in Loop: Header=BB4_5816 Depth=2
	s_delay_alu instid0(VALU_DEP_1)
	v_bfe_u32 v131, v132, 23, 1
; %bb.6099:                             ;   in Loop: Header=BB4_5816 Depth=2
	s_or_b32 exec_lo, exec_lo, s10
	v_lshrrev_b32_e32 v132, 20, v132
	s_delay_alu instid0(VALU_DEP_2) | instskip(SKIP_2) | instid1(VALU_DEP_2)
	v_cmp_gt_i32_e32 vcc_lo, 16, v131
	v_min_i32_e32 v133, 15, v131
	v_lshrrev_b32_e32 v10, 24, v10
	v_dual_cndmask_b32 v132, 7, v132 :: v_dual_lshlrev_b32 v133, 3, v133
	s_delay_alu instid0(VALU_DEP_2) | instskip(NEXT) | instid1(VALU_DEP_2)
	v_and_b32_e32 v10, 0x80, v10
	v_or_b32_e32 v131, v131, v132
	s_delay_alu instid0(VALU_DEP_3) | instskip(NEXT) | instid1(VALU_DEP_2)
	v_and_b32_e32 v133, 0xf8, v133
	v_cmp_ne_u32_e32 vcc_lo, 0, v131
	v_and_b32_e32 v134, 7, v132
	s_delay_alu instid0(VALU_DEP_1) | instskip(NEXT) | instid1(VALU_DEP_1)
	v_or3_b32 v10, v133, v10, v134
	v_cndmask_b32_e32 v131, 0, v10, vcc_lo
.LBB4_6100:                             ;   in Loop: Header=BB4_5816 Depth=2
	s_or_b32 exec_lo, exec_lo, s24
.LBB4_6101:                             ;   in Loop: Header=BB4_5816 Depth=2
	s_delay_alu instid0(SALU_CYCLE_1) | instskip(SKIP_3) | instid1(VALU_DEP_1)
	s_or_b32 exec_lo, exec_lo, s23
	v_lshrrev_b32_e32 v10, 24, v11
	s_mov_b32 s10, 0
	s_mov_b32 s24, exec_lo
                                        ; implicit-def: $sgpr23
	v_cmpx_lt_i16_e32 0x7f, v10
	s_xor_b32 s24, exec_lo, s24
	s_cbranch_execnz .LBB4_6683
; %bb.6102:                             ;   in Loop: Header=BB4_5816 Depth=2
	s_or_saveexec_b32 s24, s24
	v_mov_b32_e32 v132, s23
	s_xor_b32 exec_lo, exec_lo, s24
	s_cbranch_execnz .LBB4_6686
.LBB4_6103:                             ;   in Loop: Header=BB4_5816 Depth=2
	s_or_b32 exec_lo, exec_lo, s24
	s_and_saveexec_b32 s23, s10
	s_cbranch_execz .LBB4_6105
.LBB4_6104:                             ;   in Loop: Header=BB4_5816 Depth=2
	v_bfe_u32 v132, v11, 24, 3
	s_delay_alu instid0(VALU_DEP_1) | instskip(NEXT) | instid1(VALU_DEP_1)
	v_clz_i32_u32_e32 v133, v132
	v_min_u32_e32 v133, 32, v133
	s_delay_alu instid0(VALU_DEP_1) | instskip(SKIP_1) | instid1(VALU_DEP_2)
	v_subrev_nc_u32_e32 v134, 28, v133
	v_sub_nc_u32_e32 v133, 29, v133
	v_lshlrev_b32_e32 v10, v134, v10
	v_bfe_u32 v134, v11, 27, 4
	v_and_b32_e32 v11, 0x80000000, v11
	s_delay_alu instid0(VALU_DEP_2) | instskip(NEXT) | instid1(VALU_DEP_4)
	v_cmp_eq_u32_e32 vcc_lo, 0, v134
	v_dual_cndmask_b32 v133, v134, v133 :: v_dual_and_b32 v10, 7, v10
	s_delay_alu instid0(VALU_DEP_1) | instskip(NEXT) | instid1(VALU_DEP_2)
	v_cndmask_b32_e32 v10, v132, v10, vcc_lo
	v_lshl_add_u32 v132, v133, 23, 0x3b800000
	s_delay_alu instid0(VALU_DEP_2) | instskip(NEXT) | instid1(VALU_DEP_1)
	v_lshlrev_b32_e32 v10, 20, v10
	v_or3_b32 v132, v11, v132, v10
.LBB4_6105:                             ;   in Loop: Header=BB4_5816 Depth=2
	s_or_b32 exec_lo, exec_lo, s23
	s_delay_alu instid0(VALU_DEP_1) | instskip(SKIP_2) | instid1(VALU_DEP_2)
	v_mul_f32_e32 v10, s22, v132
	v_mov_b32_e32 v132, 0x8000
	s_mov_b32 s23, exec_lo
	v_and_b32_e32 v11, 0x7f800000, v10
	s_delay_alu instid0(VALU_DEP_1)
	v_cmpx_ne_u32_e32 0x7f800000, v11
	s_cbranch_execz .LBB4_6113
; %bb.6106:                             ;   in Loop: Header=BB4_5816 Depth=2
	v_mov_b32_e32 v132, 0
	s_mov_b32 s24, exec_lo
	v_cmpx_ne_u32_e32 0, v10
	s_cbranch_execz .LBB4_6112
; %bb.6107:                             ;   in Loop: Header=BB4_5816 Depth=2
	v_bfe_u32 v11, v10, 23, 8
	s_delay_alu instid0(VALU_DEP_1) | instskip(SKIP_1) | instid1(VALU_DEP_2)
	v_sub_nc_u32_e32 v133, 0x78, v11
	v_cmp_gt_u32_e32 vcc_lo, 0x79, v11
	v_dual_cndmask_b32 v133, 0, v133 :: v_dual_and_b32 v132, 0x7fffff, v10
	s_delay_alu instid0(VALU_DEP_1) | instskip(SKIP_2) | instid1(VALU_DEP_4)
	v_or_b32_e32 v134, 0x800000, v132
	v_cmp_eq_u32_e32 vcc_lo, 0, v11
	v_add_nc_u32_e32 v11, 0xffffff89, v11
	v_cndmask_b32_e64 v133, v133, 0x77, vcc_lo
	s_delay_alu instid0(VALU_DEP_4) | instskip(NEXT) | instid1(VALU_DEP_3)
	v_cndmask_b32_e32 v132, v134, v132, vcc_lo
	v_cndmask_b32_e64 v11, v11, 0xffffff8a, vcc_lo
	s_delay_alu instid0(VALU_DEP_3) | instskip(NEXT) | instid1(VALU_DEP_3)
	v_lshl_add_u32 v134, 0x100000, v133, -1
	v_lshrrev_b32_e32 v135, v133, v132
	v_lshlrev_b32_e64 v145, v133, 0x80000
	s_delay_alu instid0(VALU_DEP_4) | instskip(NEXT) | instid1(VALU_DEP_4)
	v_add_nc_u32_e32 v133, v133, v11
	v_and_b32_e32 v132, v134, v132
	s_delay_alu instid0(VALU_DEP_4) | instskip(NEXT) | instid1(VALU_DEP_2)
	v_bfe_u32 v144, v135, 20, 1
	v_cmp_eq_u32_e64 s10, v132, v145
	s_delay_alu instid0(VALU_DEP_2) | instskip(NEXT) | instid1(VALU_DEP_1)
	v_add_nc_u32_e32 v134, -1, v144
	v_cndmask_b32_e64 v132, 0, v134, s10
	v_lshrrev_b32_e32 v134, 23, v135
	s_mov_b32 s10, exec_lo
	s_delay_alu instid0(VALU_DEP_2) | instskip(NEXT) | instid1(VALU_DEP_2)
	v_add_nc_u32_e32 v132, v132, v135
	v_xor_b32_e32 v134, 1, v134
	s_delay_alu instid0(VALU_DEP_2) | instskip(NEXT) | instid1(VALU_DEP_1)
	v_and_b32_e32 v11, 0xfffff, v132
	v_add_nc_u32_e32 v132, v11, v135
                                        ; implicit-def: $vgpr11
	s_delay_alu instid0(VALU_DEP_3)
	v_cmpx_ne_u32_e64 v133, v134
	s_xor_b32 s10, exec_lo, s10
; %bb.6108:                             ;   in Loop: Header=BB4_5816 Depth=2
	s_delay_alu instid0(VALU_DEP_2) | instskip(SKIP_2) | instid1(VALU_DEP_2)
	v_cmp_lt_u32_e32 vcc_lo, 0xffffff, v132
	v_sub_nc_u32_e32 v11, v133, v134
	v_cndmask_b32_e64 v133, 0, 1, vcc_lo
	v_add_co_ci_u32_e32 v11, vcc_lo, 0, v11, vcc_lo
	s_delay_alu instid0(VALU_DEP_2)
	v_lshrrev_b32_e32 v132, v133, v132
; %bb.6109:                             ;   in Loop: Header=BB4_5816 Depth=2
	s_and_not1_saveexec_b32 s10, s10
; %bb.6110:                             ;   in Loop: Header=BB4_5816 Depth=2
	s_delay_alu instid0(VALU_DEP_1)
	v_bfe_u32 v11, v132, 23, 1
; %bb.6111:                             ;   in Loop: Header=BB4_5816 Depth=2
	s_or_b32 exec_lo, exec_lo, s10
	v_lshrrev_b32_e32 v132, 20, v132
	s_delay_alu instid0(VALU_DEP_2) | instskip(SKIP_2) | instid1(VALU_DEP_2)
	v_cmp_gt_i32_e32 vcc_lo, 16, v11
	v_min_i32_e32 v133, 15, v11
	v_lshrrev_b32_e32 v10, 24, v10
	v_dual_cndmask_b32 v132, 7, v132 :: v_dual_lshlrev_b32 v133, 3, v133
	s_delay_alu instid0(VALU_DEP_2) | instskip(NEXT) | instid1(VALU_DEP_2)
	v_and_b32_e32 v10, 0x80, v10
	v_or_b32_e32 v11, v11, v132
	v_and_b32_e32 v134, 7, v132
	s_delay_alu instid0(VALU_DEP_2) | instskip(SKIP_1) | instid1(VALU_DEP_1)
	v_cmp_ne_u32_e32 vcc_lo, 0, v11
	v_and_b32_e32 v133, 0xf8, v133
	v_or3_b32 v10, v10, v133, v134
	s_delay_alu instid0(VALU_DEP_1) | instskip(NEXT) | instid1(VALU_DEP_1)
	v_lshlrev_b32_e32 v10, 8, v10
	v_cndmask_b32_e32 v132, 0, v10, vcc_lo
.LBB4_6112:                             ;   in Loop: Header=BB4_5816 Depth=2
	s_or_b32 exec_lo, exec_lo, s24
.LBB4_6113:                             ;   in Loop: Header=BB4_5816 Depth=2
	s_delay_alu instid0(SALU_CYCLE_1) | instskip(SKIP_3) | instid1(VALU_DEP_1)
	s_or_b32 exec_lo, exec_lo, s23
	v_and_b32_e32 v11, 0xff, v12
	s_mov_b32 s10, 0
	s_mov_b32 s24, exec_lo
                                        ; implicit-def: $sgpr23
	v_cmpx_lt_i16_e32 0x7f, v11
	s_xor_b32 s24, exec_lo, s24
	s_cbranch_execnz .LBB4_6687
; %bb.6114:                             ;   in Loop: Header=BB4_5816 Depth=2
	s_or_saveexec_b32 s24, s24
	v_mov_b32_e32 v10, s23
	s_xor_b32 exec_lo, exec_lo, s24
	s_cbranch_execnz .LBB4_6690
.LBB4_6115:                             ;   in Loop: Header=BB4_5816 Depth=2
	s_or_b32 exec_lo, exec_lo, s24
	s_and_saveexec_b32 s23, s10
	s_cbranch_execz .LBB4_6117
.LBB4_6116:                             ;   in Loop: Header=BB4_5816 Depth=2
	v_bfe_u32 v134, v12, 3, 4
	s_delay_alu instid0(VALU_DEP_1) | instskip(SKIP_1) | instid1(VALU_DEP_1)
	v_cmp_eq_u32_e32 vcc_lo, 0, v134
	v_and_b32_e32 v10, 7, v12
	v_clz_i32_u32_e32 v11, v10
	s_delay_alu instid0(VALU_DEP_1) | instskip(NEXT) | instid1(VALU_DEP_1)
	v_min_u32_e32 v11, 32, v11
	v_subrev_nc_u32_e32 v133, 28, v11
	v_sub_nc_u32_e32 v11, 29, v11
	s_delay_alu instid0(VALU_DEP_2) | instskip(NEXT) | instid1(VALU_DEP_2)
	v_lshlrev_b32_e32 v133, v133, v12
	v_cndmask_b32_e32 v11, v134, v11, vcc_lo
	s_delay_alu instid0(VALU_DEP_2) | instskip(SKIP_1) | instid1(VALU_DEP_3)
	v_and_b32_e32 v133, 7, v133
	v_lshlrev_b32_e32 v135, 24, v12
	v_lshl_add_u32 v11, v11, 23, 0x3b800000
	s_delay_alu instid0(VALU_DEP_2) | instskip(NEXT) | instid1(VALU_DEP_1)
	v_dual_cndmask_b32 v10, v10, v133 :: v_dual_and_b32 v133, 0x80000000, v135
	v_lshlrev_b32_e32 v10, 20, v10
	s_delay_alu instid0(VALU_DEP_1)
	v_or3_b32 v10, v133, v11, v10
.LBB4_6117:                             ;   in Loop: Header=BB4_5816 Depth=2
	s_or_b32 exec_lo, exec_lo, s23
	s_delay_alu instid0(VALU_DEP_1) | instskip(SKIP_1) | instid1(VALU_DEP_1)
	v_dual_mul_f32 v10, s22, v10 :: v_dual_mov_b32 v133, 0x80
	s_mov_b32 s23, exec_lo
	v_and_b32_e32 v11, 0x7f800000, v10
	s_delay_alu instid0(VALU_DEP_1)
	v_cmpx_ne_u32_e32 0x7f800000, v11
	s_cbranch_execz .LBB4_6125
; %bb.6118:                             ;   in Loop: Header=BB4_5816 Depth=2
	v_mov_b32_e32 v133, 0
	s_mov_b32 s24, exec_lo
	v_cmpx_ne_u32_e32 0, v10
	s_cbranch_execz .LBB4_6124
; %bb.6119:                             ;   in Loop: Header=BB4_5816 Depth=2
	v_bfe_u32 v11, v10, 23, 8
	v_and_b32_e32 v133, 0x7fffff, v10
	s_delay_alu instid0(VALU_DEP_2) | instskip(SKIP_1) | instid1(VALU_DEP_3)
	v_sub_nc_u32_e32 v134, 0x78, v11
	v_cmp_gt_u32_e32 vcc_lo, 0x79, v11
	v_or_b32_e32 v135, 0x800000, v133
	s_delay_alu instid0(VALU_DEP_3) | instskip(SKIP_2) | instid1(VALU_DEP_4)
	v_cndmask_b32_e32 v134, 0, v134, vcc_lo
	v_cmp_eq_u32_e32 vcc_lo, 0, v11
	v_add_nc_u32_e32 v11, 0xffffff89, v11
	v_cndmask_b32_e32 v133, v135, v133, vcc_lo
	s_delay_alu instid0(VALU_DEP_4) | instskip(NEXT) | instid1(VALU_DEP_3)
	v_cndmask_b32_e64 v134, v134, 0x77, vcc_lo
	v_cndmask_b32_e64 v11, v11, 0xffffff8a, vcc_lo
	s_delay_alu instid0(VALU_DEP_2) | instskip(SKIP_2) | instid1(VALU_DEP_4)
	v_lshrrev_b32_e32 v144, v134, v133
	v_lshl_add_u32 v135, 0x100000, v134, -1
	v_lshlrev_b32_e64 v146, v134, 0x80000
	v_add_nc_u32_e32 v134, v134, v11
	s_delay_alu instid0(VALU_DEP_4) | instskip(NEXT) | instid1(VALU_DEP_4)
	v_bfe_u32 v145, v144, 20, 1
	v_and_b32_e32 v133, v135, v133
	s_delay_alu instid0(VALU_DEP_2) | instskip(NEXT) | instid1(VALU_DEP_2)
	v_add_nc_u32_e32 v135, -1, v145
	v_cmp_eq_u32_e64 s10, v133, v146
	s_delay_alu instid0(VALU_DEP_1) | instskip(SKIP_2) | instid1(VALU_DEP_2)
	v_cndmask_b32_e64 v133, 0, v135, s10
	v_lshrrev_b32_e32 v135, 23, v144
	s_mov_b32 s10, exec_lo
	v_add_nc_u32_e32 v133, v133, v144
	s_delay_alu instid0(VALU_DEP_2) | instskip(NEXT) | instid1(VALU_DEP_2)
	v_xor_b32_e32 v135, 1, v135
	v_and_b32_e32 v11, 0xfffff, v133
	s_delay_alu instid0(VALU_DEP_1) | instskip(NEXT) | instid1(VALU_DEP_3)
	v_add_nc_u32_e32 v133, v11, v144
                                        ; implicit-def: $vgpr11
	v_cmpx_ne_u32_e64 v134, v135
	s_xor_b32 s10, exec_lo, s10
; %bb.6120:                             ;   in Loop: Header=BB4_5816 Depth=2
	s_delay_alu instid0(VALU_DEP_2) | instskip(SKIP_2) | instid1(VALU_DEP_2)
	v_cmp_lt_u32_e32 vcc_lo, 0xffffff, v133
	v_sub_nc_u32_e32 v11, v134, v135
	v_cndmask_b32_e64 v134, 0, 1, vcc_lo
	v_add_co_ci_u32_e32 v11, vcc_lo, 0, v11, vcc_lo
	s_delay_alu instid0(VALU_DEP_2)
	v_lshrrev_b32_e32 v133, v134, v133
; %bb.6121:                             ;   in Loop: Header=BB4_5816 Depth=2
	s_and_not1_saveexec_b32 s10, s10
; %bb.6122:                             ;   in Loop: Header=BB4_5816 Depth=2
	s_delay_alu instid0(VALU_DEP_1)
	v_bfe_u32 v11, v133, 23, 1
; %bb.6123:                             ;   in Loop: Header=BB4_5816 Depth=2
	s_or_b32 exec_lo, exec_lo, s10
	v_lshrrev_b32_e32 v133, 20, v133
	s_delay_alu instid0(VALU_DEP_2) | instskip(SKIP_2) | instid1(VALU_DEP_2)
	v_cmp_gt_i32_e32 vcc_lo, 16, v11
	v_lshrrev_b32_e32 v10, 24, v10
	v_min_i32_e32 v134, 15, v11
	v_dual_cndmask_b32 v133, 7, v133 :: v_dual_and_b32 v10, 0x80, v10
	s_delay_alu instid0(VALU_DEP_2) | instskip(NEXT) | instid1(VALU_DEP_2)
	v_lshlrev_b32_e32 v134, 3, v134
	v_and_b32_e32 v135, 7, v133
	v_or_b32_e32 v11, v11, v133
	s_delay_alu instid0(VALU_DEP_2) | instskip(NEXT) | instid1(VALU_DEP_2)
	v_or3_b32 v10, v134, v10, v135
	v_cmp_ne_u32_e32 vcc_lo, 0, v11
	s_delay_alu instid0(VALU_DEP_2)
	v_cndmask_b32_e32 v133, 0, v10, vcc_lo
.LBB4_6124:                             ;   in Loop: Header=BB4_5816 Depth=2
	s_or_b32 exec_lo, exec_lo, s24
.LBB4_6125:                             ;   in Loop: Header=BB4_5816 Depth=2
	s_delay_alu instid0(SALU_CYCLE_1) | instskip(SKIP_3) | instid1(VALU_DEP_1)
	s_or_b32 exec_lo, exec_lo, s23
	v_lshrrev_b16 v10, 8, v12
	s_mov_b32 s10, 0
	s_mov_b32 s24, exec_lo
                                        ; implicit-def: $sgpr23
	v_cmpx_lt_i16_e32 0x7f, v10
	s_xor_b32 s24, exec_lo, s24
	s_cbranch_execnz .LBB4_6691
; %bb.6126:                             ;   in Loop: Header=BB4_5816 Depth=2
	s_or_saveexec_b32 s24, s24
	v_mov_b32_e32 v11, s23
	s_xor_b32 exec_lo, exec_lo, s24
	s_cbranch_execnz .LBB4_6694
.LBB4_6127:                             ;   in Loop: Header=BB4_5816 Depth=2
	s_or_b32 exec_lo, exec_lo, s24
	s_and_saveexec_b32 s23, s10
	s_cbranch_execz .LBB4_6129
.LBB4_6128:                             ;   in Loop: Header=BB4_5816 Depth=2
	v_and_b32_e32 v11, 0xffff, v10
	v_lshlrev_b32_e32 v10, 24, v10
	s_delay_alu instid0(VALU_DEP_2) | instskip(NEXT) | instid1(VALU_DEP_2)
	v_and_b32_e32 v134, 7, v11
	v_and_b32_e32 v10, 0x80000000, v10
	s_delay_alu instid0(VALU_DEP_2) | instskip(NEXT) | instid1(VALU_DEP_1)
	v_clz_i32_u32_e32 v135, v134
	v_min_u32_e32 v135, 32, v135
	s_delay_alu instid0(VALU_DEP_1) | instskip(SKIP_1) | instid1(VALU_DEP_2)
	v_subrev_nc_u32_e32 v144, 28, v135
	v_sub_nc_u32_e32 v135, 29, v135
	v_lshlrev_b32_e32 v144, v144, v11
	v_bfe_u32 v11, v11, 3, 4
	s_delay_alu instid0(VALU_DEP_1) | instskip(NEXT) | instid1(VALU_DEP_3)
	v_cmp_eq_u32_e32 vcc_lo, 0, v11
	v_dual_cndmask_b32 v11, v11, v135 :: v_dual_and_b32 v144, 7, v144
	s_delay_alu instid0(VALU_DEP_1) | instskip(NEXT) | instid1(VALU_DEP_2)
	v_cndmask_b32_e32 v134, v134, v144, vcc_lo
	v_lshl_add_u32 v11, v11, 23, 0x3b800000
	s_delay_alu instid0(VALU_DEP_2) | instskip(NEXT) | instid1(VALU_DEP_1)
	v_lshlrev_b32_e32 v134, 20, v134
	v_or3_b32 v11, v10, v11, v134
.LBB4_6129:                             ;   in Loop: Header=BB4_5816 Depth=2
	s_or_b32 exec_lo, exec_lo, s23
	s_delay_alu instid0(VALU_DEP_1) | instskip(SKIP_2) | instid1(VALU_DEP_2)
	v_mul_f32_e32 v10, s22, v11
	v_mov_b32_e32 v134, 0x80
	s_mov_b32 s23, exec_lo
	v_and_b32_e32 v11, 0x7f800000, v10
	s_delay_alu instid0(VALU_DEP_1)
	v_cmpx_ne_u32_e32 0x7f800000, v11
	s_cbranch_execz .LBB4_6137
; %bb.6130:                             ;   in Loop: Header=BB4_5816 Depth=2
	v_mov_b32_e32 v134, 0
	s_mov_b32 s24, exec_lo
	v_cmpx_ne_u32_e32 0, v10
	s_cbranch_execz .LBB4_6136
; %bb.6131:                             ;   in Loop: Header=BB4_5816 Depth=2
	v_bfe_u32 v11, v10, 23, 8
	s_delay_alu instid0(VALU_DEP_1) | instskip(SKIP_1) | instid1(VALU_DEP_2)
	v_sub_nc_u32_e32 v135, 0x78, v11
	v_cmp_gt_u32_e32 vcc_lo, 0x79, v11
	v_dual_cndmask_b32 v135, 0, v135 :: v_dual_and_b32 v134, 0x7fffff, v10
	s_delay_alu instid0(VALU_DEP_1) | instskip(SKIP_2) | instid1(VALU_DEP_4)
	v_or_b32_e32 v144, 0x800000, v134
	v_cmp_eq_u32_e32 vcc_lo, 0, v11
	v_add_nc_u32_e32 v11, 0xffffff89, v11
	v_cndmask_b32_e64 v135, v135, 0x77, vcc_lo
	s_delay_alu instid0(VALU_DEP_4) | instskip(NEXT) | instid1(VALU_DEP_3)
	v_cndmask_b32_e32 v134, v144, v134, vcc_lo
	v_cndmask_b32_e64 v11, v11, 0xffffff8a, vcc_lo
	s_delay_alu instid0(VALU_DEP_3) | instskip(NEXT) | instid1(VALU_DEP_3)
	v_lshl_add_u32 v144, 0x100000, v135, -1
	v_lshrrev_b32_e32 v145, v135, v134
	v_lshlrev_b32_e64 v147, v135, 0x80000
	s_delay_alu instid0(VALU_DEP_4) | instskip(NEXT) | instid1(VALU_DEP_4)
	v_add_nc_u32_e32 v135, v135, v11
	v_and_b32_e32 v134, v144, v134
	s_delay_alu instid0(VALU_DEP_4) | instskip(NEXT) | instid1(VALU_DEP_2)
	v_bfe_u32 v146, v145, 20, 1
	v_cmp_eq_u32_e64 s10, v134, v147
	s_delay_alu instid0(VALU_DEP_2) | instskip(NEXT) | instid1(VALU_DEP_1)
	v_add_nc_u32_e32 v144, -1, v146
	v_cndmask_b32_e64 v134, 0, v144, s10
	v_lshrrev_b32_e32 v144, 23, v145
	s_mov_b32 s10, exec_lo
	s_delay_alu instid0(VALU_DEP_2) | instskip(NEXT) | instid1(VALU_DEP_2)
	v_add_nc_u32_e32 v134, v134, v145
	v_xor_b32_e32 v144, 1, v144
	s_delay_alu instid0(VALU_DEP_2) | instskip(NEXT) | instid1(VALU_DEP_1)
	v_and_b32_e32 v11, 0xfffff, v134
	v_add_nc_u32_e32 v134, v11, v145
                                        ; implicit-def: $vgpr11
	s_delay_alu instid0(VALU_DEP_3)
	v_cmpx_ne_u32_e64 v135, v144
	s_xor_b32 s10, exec_lo, s10
; %bb.6132:                             ;   in Loop: Header=BB4_5816 Depth=2
	s_delay_alu instid0(VALU_DEP_2) | instskip(SKIP_2) | instid1(VALU_DEP_2)
	v_cmp_lt_u32_e32 vcc_lo, 0xffffff, v134
	v_sub_nc_u32_e32 v11, v135, v144
	v_cndmask_b32_e64 v135, 0, 1, vcc_lo
	v_add_co_ci_u32_e32 v11, vcc_lo, 0, v11, vcc_lo
	s_delay_alu instid0(VALU_DEP_2)
	v_lshrrev_b32_e32 v134, v135, v134
; %bb.6133:                             ;   in Loop: Header=BB4_5816 Depth=2
	s_and_not1_saveexec_b32 s10, s10
; %bb.6134:                             ;   in Loop: Header=BB4_5816 Depth=2
	s_delay_alu instid0(VALU_DEP_1)
	v_bfe_u32 v11, v134, 23, 1
; %bb.6135:                             ;   in Loop: Header=BB4_5816 Depth=2
	s_or_b32 exec_lo, exec_lo, s10
	v_lshrrev_b32_e32 v134, 20, v134
	s_delay_alu instid0(VALU_DEP_2) | instskip(SKIP_2) | instid1(VALU_DEP_4)
	v_cmp_gt_i32_e32 vcc_lo, 16, v11
	v_lshrrev_b32_e32 v10, 24, v10
	v_min_i32_e32 v135, 15, v11
	v_cndmask_b32_e32 v134, 7, v134, vcc_lo
	s_delay_alu instid0(VALU_DEP_3) | instskip(NEXT) | instid1(VALU_DEP_3)
	v_and_b32_e32 v10, 0x80, v10
	v_lshlrev_b32_e32 v135, 3, v135
	s_delay_alu instid0(VALU_DEP_3) | instskip(SKIP_1) | instid1(VALU_DEP_2)
	v_and_b32_e32 v144, 7, v134
	v_or_b32_e32 v11, v11, v134
	v_or3_b32 v10, v135, v10, v144
	s_delay_alu instid0(VALU_DEP_2) | instskip(NEXT) | instid1(VALU_DEP_2)
	v_cmp_ne_u32_e32 vcc_lo, 0, v11
	v_cndmask_b32_e32 v134, 0, v10, vcc_lo
.LBB4_6136:                             ;   in Loop: Header=BB4_5816 Depth=2
	s_or_b32 exec_lo, exec_lo, s24
.LBB4_6137:                             ;   in Loop: Header=BB4_5816 Depth=2
	s_delay_alu instid0(SALU_CYCLE_1) | instskip(SKIP_3) | instid1(VALU_DEP_1)
	s_or_b32 exec_lo, exec_lo, s23
	v_lshrrev_b32_e32 v10, 16, v12
	s_mov_b32 s10, 0
	s_mov_b32 s24, exec_lo
                                        ; implicit-def: $sgpr23
	v_and_b32_e32 v135, 0xff, v10
	s_delay_alu instid0(VALU_DEP_1)
	v_cmpx_lt_i16_e64 0x7f, v135
	s_xor_b32 s24, exec_lo, s24
	s_cbranch_execnz .LBB4_6695
; %bb.6138:                             ;   in Loop: Header=BB4_5816 Depth=2
	s_or_saveexec_b32 s24, s24
	v_mov_b32_e32 v11, s23
	s_xor_b32 exec_lo, exec_lo, s24
	s_cbranch_execnz .LBB4_6698
.LBB4_6139:                             ;   in Loop: Header=BB4_5816 Depth=2
	s_or_b32 exec_lo, exec_lo, s24
	s_and_saveexec_b32 s23, s10
	s_cbranch_execz .LBB4_6141
.LBB4_6140:                             ;   in Loop: Header=BB4_5816 Depth=2
	v_bfe_u32 v11, v12, 16, 3
	s_delay_alu instid0(VALU_DEP_1) | instskip(NEXT) | instid1(VALU_DEP_1)
	v_clz_i32_u32_e32 v135, v11
	v_min_u32_e32 v135, 32, v135
	s_delay_alu instid0(VALU_DEP_1) | instskip(SKIP_1) | instid1(VALU_DEP_2)
	v_subrev_nc_u32_e32 v144, 28, v135
	v_sub_nc_u32_e32 v135, 29, v135
	v_lshlrev_b32_e32 v10, v144, v10
	v_bfe_u32 v144, v12, 19, 4
	s_delay_alu instid0(VALU_DEP_1) | instskip(NEXT) | instid1(VALU_DEP_3)
	v_cmp_eq_u32_e32 vcc_lo, 0, v144
	v_dual_cndmask_b32 v135, v144, v135 :: v_dual_and_b32 v10, 7, v10
	s_delay_alu instid0(VALU_DEP_1) | instskip(NEXT) | instid1(VALU_DEP_2)
	v_dual_cndmask_b32 v10, v11, v10 :: v_dual_lshlrev_b32 v145, 8, v12
	v_lshl_add_u32 v135, v135, 23, 0x3b800000
	s_delay_alu instid0(VALU_DEP_2) | instskip(NEXT) | instid1(VALU_DEP_3)
	v_and_b32_e32 v11, 0x80000000, v145
	v_lshlrev_b32_e32 v10, 20, v10
	s_delay_alu instid0(VALU_DEP_1)
	v_or3_b32 v11, v11, v135, v10
.LBB4_6141:                             ;   in Loop: Header=BB4_5816 Depth=2
	s_or_b32 exec_lo, exec_lo, s23
	s_delay_alu instid0(VALU_DEP_1) | instskip(SKIP_1) | instid1(VALU_DEP_1)
	v_dual_mul_f32 v10, s22, v11 :: v_dual_mov_b32 v135, 0x80
	s_mov_b32 s23, exec_lo
	v_and_b32_e32 v11, 0x7f800000, v10
	s_delay_alu instid0(VALU_DEP_1)
	v_cmpx_ne_u32_e32 0x7f800000, v11
	s_cbranch_execz .LBB4_6149
; %bb.6142:                             ;   in Loop: Header=BB4_5816 Depth=2
	v_mov_b32_e32 v135, 0
	s_mov_b32 s24, exec_lo
	v_cmpx_ne_u32_e32 0, v10
	s_cbranch_execz .LBB4_6148
; %bb.6143:                             ;   in Loop: Header=BB4_5816 Depth=2
	v_bfe_u32 v11, v10, 23, 8
	s_delay_alu instid0(VALU_DEP_1) | instskip(SKIP_1) | instid1(VALU_DEP_2)
	v_sub_nc_u32_e32 v144, 0x78, v11
	v_cmp_gt_u32_e32 vcc_lo, 0x79, v11
	v_dual_cndmask_b32 v144, 0, v144 :: v_dual_and_b32 v135, 0x7fffff, v10
	s_delay_alu instid0(VALU_DEP_1) | instskip(SKIP_2) | instid1(VALU_DEP_4)
	v_or_b32_e32 v145, 0x800000, v135
	v_cmp_eq_u32_e32 vcc_lo, 0, v11
	v_add_nc_u32_e32 v11, 0xffffff89, v11
	v_cndmask_b32_e64 v144, v144, 0x77, vcc_lo
	s_delay_alu instid0(VALU_DEP_4) | instskip(NEXT) | instid1(VALU_DEP_3)
	v_cndmask_b32_e32 v135, v145, v135, vcc_lo
	v_cndmask_b32_e64 v11, v11, 0xffffff8a, vcc_lo
	s_delay_alu instid0(VALU_DEP_3) | instskip(NEXT) | instid1(VALU_DEP_3)
	v_lshl_add_u32 v145, 0x100000, v144, -1
	v_lshrrev_b32_e32 v146, v144, v135
	v_lshlrev_b32_e64 v148, v144, 0x80000
	s_delay_alu instid0(VALU_DEP_4) | instskip(NEXT) | instid1(VALU_DEP_4)
	v_add_nc_u32_e32 v144, v144, v11
	v_and_b32_e32 v135, v145, v135
	s_delay_alu instid0(VALU_DEP_4) | instskip(NEXT) | instid1(VALU_DEP_2)
	v_bfe_u32 v147, v146, 20, 1
	v_cmp_eq_u32_e64 s10, v135, v148
	s_delay_alu instid0(VALU_DEP_2) | instskip(NEXT) | instid1(VALU_DEP_1)
	v_add_nc_u32_e32 v145, -1, v147
	v_cndmask_b32_e64 v135, 0, v145, s10
	v_lshrrev_b32_e32 v145, 23, v146
	s_mov_b32 s10, exec_lo
	s_delay_alu instid0(VALU_DEP_2) | instskip(NEXT) | instid1(VALU_DEP_2)
	v_add_nc_u32_e32 v135, v135, v146
	v_xor_b32_e32 v145, 1, v145
	s_delay_alu instid0(VALU_DEP_2) | instskip(NEXT) | instid1(VALU_DEP_1)
	v_and_b32_e32 v11, 0xfffff, v135
	v_add_nc_u32_e32 v135, v11, v146
                                        ; implicit-def: $vgpr11
	s_delay_alu instid0(VALU_DEP_3)
	v_cmpx_ne_u32_e64 v144, v145
	s_xor_b32 s10, exec_lo, s10
; %bb.6144:                             ;   in Loop: Header=BB4_5816 Depth=2
	s_delay_alu instid0(VALU_DEP_2) | instskip(SKIP_2) | instid1(VALU_DEP_2)
	v_cmp_lt_u32_e32 vcc_lo, 0xffffff, v135
	v_sub_nc_u32_e32 v11, v144, v145
	v_cndmask_b32_e64 v144, 0, 1, vcc_lo
	v_add_co_ci_u32_e32 v11, vcc_lo, 0, v11, vcc_lo
	s_delay_alu instid0(VALU_DEP_2)
	v_lshrrev_b32_e32 v135, v144, v135
; %bb.6145:                             ;   in Loop: Header=BB4_5816 Depth=2
	s_and_not1_saveexec_b32 s10, s10
; %bb.6146:                             ;   in Loop: Header=BB4_5816 Depth=2
	s_delay_alu instid0(VALU_DEP_1)
	v_bfe_u32 v11, v135, 23, 1
; %bb.6147:                             ;   in Loop: Header=BB4_5816 Depth=2
	s_or_b32 exec_lo, exec_lo, s10
	v_lshrrev_b32_e32 v135, 20, v135
	s_delay_alu instid0(VALU_DEP_2) | instskip(SKIP_2) | instid1(VALU_DEP_2)
	v_cmp_gt_i32_e32 vcc_lo, 16, v11
	v_lshrrev_b32_e32 v10, 24, v10
	v_min_i32_e32 v144, 15, v11
	v_dual_cndmask_b32 v135, 7, v135 :: v_dual_and_b32 v10, 0x80, v10
	s_delay_alu instid0(VALU_DEP_1) | instskip(SKIP_1) | instid1(VALU_DEP_2)
	v_or_b32_e32 v11, v11, v135
	v_and_b32_e32 v145, 7, v135
	v_cmp_ne_u32_e32 vcc_lo, 0, v11
	v_lshlrev_b32_e32 v144, 3, v144
	s_delay_alu instid0(VALU_DEP_1) | instskip(NEXT) | instid1(VALU_DEP_1)
	v_or3_b32 v10, v144, v10, v145
	v_cndmask_b32_e32 v135, 0, v10, vcc_lo
.LBB4_6148:                             ;   in Loop: Header=BB4_5816 Depth=2
	s_or_b32 exec_lo, exec_lo, s24
.LBB4_6149:                             ;   in Loop: Header=BB4_5816 Depth=2
	s_delay_alu instid0(SALU_CYCLE_1) | instskip(SKIP_3) | instid1(VALU_DEP_1)
	s_or_b32 exec_lo, exec_lo, s23
	v_lshrrev_b32_e32 v10, 24, v12
	s_mov_b32 s10, 0
	s_mov_b32 s24, exec_lo
                                        ; implicit-def: $sgpr23
	v_cmpx_lt_i16_e32 0x7f, v10
	s_xor_b32 s24, exec_lo, s24
	s_cbranch_execnz .LBB4_6699
; %bb.6150:                             ;   in Loop: Header=BB4_5816 Depth=2
	s_or_saveexec_b32 s24, s24
	v_mov_b32_e32 v11, s23
	s_xor_b32 exec_lo, exec_lo, s24
	s_cbranch_execnz .LBB4_6702
.LBB4_6151:                             ;   in Loop: Header=BB4_5816 Depth=2
	s_or_b32 exec_lo, exec_lo, s24
	s_and_saveexec_b32 s23, s10
	s_cbranch_execz .LBB4_6153
.LBB4_6152:                             ;   in Loop: Header=BB4_5816 Depth=2
	v_bfe_u32 v11, v12, 24, 3
	s_delay_alu instid0(VALU_DEP_1) | instskip(NEXT) | instid1(VALU_DEP_1)
	v_clz_i32_u32_e32 v144, v11
	v_min_u32_e32 v144, 32, v144
	s_delay_alu instid0(VALU_DEP_1) | instskip(SKIP_1) | instid1(VALU_DEP_2)
	v_subrev_nc_u32_e32 v145, 28, v144
	v_sub_nc_u32_e32 v144, 29, v144
	v_lshlrev_b32_e32 v10, v145, v10
	v_bfe_u32 v145, v12, 27, 4
	s_delay_alu instid0(VALU_DEP_2) | instskip(NEXT) | instid1(VALU_DEP_2)
	v_and_b32_e32 v10, 7, v10
	v_cmp_eq_u32_e32 vcc_lo, 0, v145
	v_cndmask_b32_e32 v144, v145, v144, vcc_lo
	s_delay_alu instid0(VALU_DEP_3) | instskip(NEXT) | instid1(VALU_DEP_2)
	v_dual_cndmask_b32 v10, v11, v10 :: v_dual_and_b32 v11, 0x80000000, v12
	v_lshl_add_u32 v12, v144, 23, 0x3b800000
	s_delay_alu instid0(VALU_DEP_2) | instskip(NEXT) | instid1(VALU_DEP_1)
	v_lshlrev_b32_e32 v10, 20, v10
	v_or3_b32 v11, v11, v12, v10
.LBB4_6153:                             ;   in Loop: Header=BB4_5816 Depth=2
	s_or_b32 exec_lo, exec_lo, s23
	s_delay_alu instid0(VALU_DEP_1) | instskip(SKIP_2) | instid1(VALU_DEP_2)
	v_mul_f32_e32 v10, s22, v11
	v_mov_b32_e32 v144, 0x80
	s_mov_b32 s23, exec_lo
	v_and_b32_e32 v11, 0x7f800000, v10
	s_delay_alu instid0(VALU_DEP_1)
	v_cmpx_ne_u32_e32 0x7f800000, v11
	s_cbranch_execz .LBB4_6161
; %bb.6154:                             ;   in Loop: Header=BB4_5816 Depth=2
	v_mov_b32_e32 v144, 0
	s_mov_b32 s24, exec_lo
	v_cmpx_ne_u32_e32 0, v10
	s_cbranch_execz .LBB4_6160
; %bb.6155:                             ;   in Loop: Header=BB4_5816 Depth=2
	v_bfe_u32 v11, v10, 23, 8
	v_and_b32_e32 v12, 0x7fffff, v10
	s_delay_alu instid0(VALU_DEP_2) | instskip(SKIP_1) | instid1(VALU_DEP_3)
	v_sub_nc_u32_e32 v144, 0x78, v11
	v_cmp_gt_u32_e32 vcc_lo, 0x79, v11
	v_or_b32_e32 v145, 0x800000, v12
	s_delay_alu instid0(VALU_DEP_3) | instskip(SKIP_2) | instid1(VALU_DEP_3)
	v_cndmask_b32_e32 v144, 0, v144, vcc_lo
	v_cmp_eq_u32_e32 vcc_lo, 0, v11
	v_add_nc_u32_e32 v11, 0xffffff89, v11
	v_cndmask_b32_e64 v144, v144, 0x77, vcc_lo
	v_cndmask_b32_e32 v12, v145, v12, vcc_lo
	s_delay_alu instid0(VALU_DEP_3) | instskip(NEXT) | instid1(VALU_DEP_3)
	v_cndmask_b32_e64 v11, v11, 0xffffff8a, vcc_lo
	v_lshl_add_u32 v145, 0x100000, v144, -1
	s_delay_alu instid0(VALU_DEP_3) | instskip(SKIP_1) | instid1(VALU_DEP_4)
	v_lshrrev_b32_e32 v146, v144, v12
	v_lshlrev_b32_e64 v148, v144, 0x80000
	v_add_nc_u32_e32 v144, v144, v11
	s_delay_alu instid0(VALU_DEP_4) | instskip(NEXT) | instid1(VALU_DEP_4)
	v_and_b32_e32 v12, v145, v12
	v_bfe_u32 v147, v146, 20, 1
	s_delay_alu instid0(VALU_DEP_2) | instskip(NEXT) | instid1(VALU_DEP_2)
	v_cmp_eq_u32_e64 s10, v12, v148
	v_add_nc_u32_e32 v145, -1, v147
	s_delay_alu instid0(VALU_DEP_1) | instskip(SKIP_2) | instid1(VALU_DEP_2)
	v_cndmask_b32_e64 v12, 0, v145, s10
	v_lshrrev_b32_e32 v145, 23, v146
	s_mov_b32 s10, exec_lo
	v_add_nc_u32_e32 v12, v12, v146
	s_delay_alu instid0(VALU_DEP_2) | instskip(NEXT) | instid1(VALU_DEP_2)
	v_xor_b32_e32 v145, 1, v145
	v_and_b32_e32 v11, 0xfffff, v12
	s_delay_alu instid0(VALU_DEP_1) | instskip(NEXT) | instid1(VALU_DEP_3)
	v_add_nc_u32_e32 v12, v11, v146
                                        ; implicit-def: $vgpr11
	v_cmpx_ne_u32_e64 v144, v145
	s_xor_b32 s10, exec_lo, s10
; %bb.6156:                             ;   in Loop: Header=BB4_5816 Depth=2
	s_delay_alu instid0(VALU_DEP_2) | instskip(SKIP_2) | instid1(VALU_DEP_2)
	v_cmp_lt_u32_e32 vcc_lo, 0xffffff, v12
	v_sub_nc_u32_e32 v11, v144, v145
	v_cndmask_b32_e64 v144, 0, 1, vcc_lo
	v_add_co_ci_u32_e32 v11, vcc_lo, 0, v11, vcc_lo
	s_delay_alu instid0(VALU_DEP_2)
	v_lshrrev_b32_e32 v12, v144, v12
; %bb.6157:                             ;   in Loop: Header=BB4_5816 Depth=2
	s_and_not1_saveexec_b32 s10, s10
; %bb.6158:                             ;   in Loop: Header=BB4_5816 Depth=2
	s_delay_alu instid0(VALU_DEP_1)
	v_bfe_u32 v11, v12, 23, 1
; %bb.6159:                             ;   in Loop: Header=BB4_5816 Depth=2
	s_or_b32 exec_lo, exec_lo, s10
	v_lshrrev_b32_e32 v12, 20, v12
	s_delay_alu instid0(VALU_DEP_2) | instskip(SKIP_2) | instid1(VALU_DEP_4)
	v_cmp_gt_i32_e32 vcc_lo, 16, v11
	v_lshrrev_b32_e32 v10, 24, v10
	v_min_i32_e32 v144, 15, v11
	v_cndmask_b32_e32 v12, 7, v12, vcc_lo
	s_delay_alu instid0(VALU_DEP_3) | instskip(NEXT) | instid1(VALU_DEP_3)
	v_and_b32_e32 v10, 0x80, v10
	v_lshlrev_b32_e32 v144, 3, v144
	s_delay_alu instid0(VALU_DEP_3) | instskip(NEXT) | instid1(VALU_DEP_1)
	v_or_b32_e32 v11, v11, v12
	v_cmp_ne_u32_e32 vcc_lo, 0, v11
	v_and_b32_e32 v145, 7, v12
	s_delay_alu instid0(VALU_DEP_1) | instskip(NEXT) | instid1(VALU_DEP_1)
	v_or3_b32 v10, v144, v10, v145
	v_cndmask_b32_e32 v144, 0, v10, vcc_lo
.LBB4_6160:                             ;   in Loop: Header=BB4_5816 Depth=2
	s_or_b32 exec_lo, exec_lo, s24
.LBB4_6161:                             ;   in Loop: Header=BB4_5816 Depth=2
	s_delay_alu instid0(SALU_CYCLE_1) | instskip(SKIP_3) | instid1(VALU_DEP_1)
	s_or_b32 exec_lo, exec_lo, s23
	v_and_b32_e32 v11, 0xff, v13
	s_mov_b32 s10, 0
	s_mov_b32 s24, exec_lo
                                        ; implicit-def: $sgpr23
	v_cmpx_lt_i16_e32 0x7f, v11
	s_xor_b32 s24, exec_lo, s24
	s_cbranch_execnz .LBB4_6703
; %bb.6162:                             ;   in Loop: Header=BB4_5816 Depth=2
	s_or_saveexec_b32 s24, s24
	v_mov_b32_e32 v10, s23
	s_xor_b32 exec_lo, exec_lo, s24
	s_cbranch_execnz .LBB4_6706
.LBB4_6163:                             ;   in Loop: Header=BB4_5816 Depth=2
	s_or_b32 exec_lo, exec_lo, s24
	s_and_saveexec_b32 s23, s10
	s_cbranch_execz .LBB4_6165
.LBB4_6164:                             ;   in Loop: Header=BB4_5816 Depth=2
	v_bfe_u32 v145, v13, 3, 4
	v_lshlrev_b32_e32 v146, 24, v13
	s_delay_alu instid0(VALU_DEP_2) | instskip(SKIP_1) | instid1(VALU_DEP_1)
	v_cmp_eq_u32_e32 vcc_lo, 0, v145
	v_and_b32_e32 v10, 7, v13
	v_clz_i32_u32_e32 v11, v10
	s_delay_alu instid0(VALU_DEP_1) | instskip(NEXT) | instid1(VALU_DEP_1)
	v_min_u32_e32 v11, 32, v11
	v_subrev_nc_u32_e32 v12, 28, v11
	v_sub_nc_u32_e32 v11, 29, v11
	s_delay_alu instid0(VALU_DEP_1) | instskip(NEXT) | instid1(VALU_DEP_1)
	v_dual_cndmask_b32 v11, v145, v11 :: v_dual_lshlrev_b32 v12, v12, v13
	v_and_b32_e32 v12, 7, v12
	s_delay_alu instid0(VALU_DEP_2) | instskip(NEXT) | instid1(VALU_DEP_2)
	v_lshl_add_u32 v11, v11, 23, 0x3b800000
	v_cndmask_b32_e32 v10, v10, v12, vcc_lo
	v_and_b32_e32 v12, 0x80000000, v146
	s_delay_alu instid0(VALU_DEP_2) | instskip(NEXT) | instid1(VALU_DEP_1)
	v_lshlrev_b32_e32 v10, 20, v10
	v_or3_b32 v10, v12, v11, v10
.LBB4_6165:                             ;   in Loop: Header=BB4_5816 Depth=2
	s_or_b32 exec_lo, exec_lo, s23
	s_delay_alu instid0(VALU_DEP_1) | instskip(SKIP_1) | instid1(VALU_DEP_1)
	v_dual_mul_f32 v10, s22, v10 :: v_dual_mov_b32 v145, 0x80
	s_mov_b32 s23, exec_lo
	v_and_b32_e32 v11, 0x7f800000, v10
	s_delay_alu instid0(VALU_DEP_1)
	v_cmpx_ne_u32_e32 0x7f800000, v11
	s_cbranch_execz .LBB4_6173
; %bb.6166:                             ;   in Loop: Header=BB4_5816 Depth=2
	v_mov_b32_e32 v145, 0
	s_mov_b32 s24, exec_lo
	v_cmpx_ne_u32_e32 0, v10
	s_cbranch_execz .LBB4_6172
; %bb.6167:                             ;   in Loop: Header=BB4_5816 Depth=2
	v_bfe_u32 v11, v10, 23, 8
	s_delay_alu instid0(VALU_DEP_1) | instskip(SKIP_1) | instid1(VALU_DEP_2)
	v_sub_nc_u32_e32 v145, 0x78, v11
	v_cmp_gt_u32_e32 vcc_lo, 0x79, v11
	v_dual_cndmask_b32 v145, 0, v145 :: v_dual_and_b32 v12, 0x7fffff, v10
	s_delay_alu instid0(VALU_DEP_1) | instskip(SKIP_2) | instid1(VALU_DEP_4)
	v_or_b32_e32 v146, 0x800000, v12
	v_cmp_eq_u32_e32 vcc_lo, 0, v11
	v_add_nc_u32_e32 v11, 0xffffff89, v11
	v_cndmask_b32_e64 v145, v145, 0x77, vcc_lo
	s_delay_alu instid0(VALU_DEP_4) | instskip(NEXT) | instid1(VALU_DEP_3)
	v_cndmask_b32_e32 v12, v146, v12, vcc_lo
	v_cndmask_b32_e64 v11, v11, 0xffffff8a, vcc_lo
	s_delay_alu instid0(VALU_DEP_3) | instskip(NEXT) | instid1(VALU_DEP_3)
	v_lshl_add_u32 v146, 0x100000, v145, -1
	v_lshrrev_b32_e32 v147, v145, v12
	v_lshlrev_b32_e64 v149, v145, 0x80000
	s_delay_alu instid0(VALU_DEP_4) | instskip(NEXT) | instid1(VALU_DEP_4)
	v_add_nc_u32_e32 v145, v145, v11
	v_and_b32_e32 v12, v146, v12
	s_delay_alu instid0(VALU_DEP_4) | instskip(NEXT) | instid1(VALU_DEP_2)
	v_bfe_u32 v148, v147, 20, 1
	v_cmp_eq_u32_e64 s10, v12, v149
	s_delay_alu instid0(VALU_DEP_2) | instskip(NEXT) | instid1(VALU_DEP_1)
	v_add_nc_u32_e32 v146, -1, v148
	v_cndmask_b32_e64 v12, 0, v146, s10
	v_lshrrev_b32_e32 v146, 23, v147
	s_mov_b32 s10, exec_lo
	s_delay_alu instid0(VALU_DEP_2) | instskip(NEXT) | instid1(VALU_DEP_2)
	v_add_nc_u32_e32 v12, v12, v147
	v_xor_b32_e32 v146, 1, v146
	s_delay_alu instid0(VALU_DEP_2) | instskip(NEXT) | instid1(VALU_DEP_1)
	v_and_b32_e32 v11, 0xfffff, v12
	v_add_nc_u32_e32 v12, v11, v147
                                        ; implicit-def: $vgpr11
	s_delay_alu instid0(VALU_DEP_3)
	v_cmpx_ne_u32_e64 v145, v146
	s_xor_b32 s10, exec_lo, s10
; %bb.6168:                             ;   in Loop: Header=BB4_5816 Depth=2
	s_delay_alu instid0(VALU_DEP_2) | instskip(SKIP_2) | instid1(VALU_DEP_2)
	v_cmp_lt_u32_e32 vcc_lo, 0xffffff, v12
	v_sub_nc_u32_e32 v11, v145, v146
	v_cndmask_b32_e64 v145, 0, 1, vcc_lo
	v_add_co_ci_u32_e32 v11, vcc_lo, 0, v11, vcc_lo
	s_delay_alu instid0(VALU_DEP_2)
	v_lshrrev_b32_e32 v12, v145, v12
; %bb.6169:                             ;   in Loop: Header=BB4_5816 Depth=2
	s_and_not1_saveexec_b32 s10, s10
; %bb.6170:                             ;   in Loop: Header=BB4_5816 Depth=2
	s_delay_alu instid0(VALU_DEP_1)
	v_bfe_u32 v11, v12, 23, 1
; %bb.6171:                             ;   in Loop: Header=BB4_5816 Depth=2
	s_or_b32 exec_lo, exec_lo, s10
	v_lshrrev_b32_e32 v12, 20, v12
	s_delay_alu instid0(VALU_DEP_2) | instskip(SKIP_2) | instid1(VALU_DEP_2)
	v_cmp_gt_i32_e32 vcc_lo, 16, v11
	v_min_i32_e32 v145, 15, v11
	v_lshrrev_b32_e32 v10, 24, v10
	v_dual_cndmask_b32 v12, 7, v12 :: v_dual_lshlrev_b32 v145, 3, v145
	s_delay_alu instid0(VALU_DEP_2) | instskip(NEXT) | instid1(VALU_DEP_2)
	v_and_b32_e32 v10, 0x80, v10
	v_or_b32_e32 v11, v11, v12
	s_delay_alu instid0(VALU_DEP_3) | instskip(NEXT) | instid1(VALU_DEP_2)
	v_and_b32_e32 v145, 0xf8, v145
	v_cmp_ne_u32_e32 vcc_lo, 0, v11
	v_and_b32_e32 v146, 7, v12
	s_delay_alu instid0(VALU_DEP_1) | instskip(NEXT) | instid1(VALU_DEP_1)
	v_or3_b32 v10, v145, v10, v146
	v_cndmask_b32_e32 v145, 0, v10, vcc_lo
.LBB4_6172:                             ;   in Loop: Header=BB4_5816 Depth=2
	s_or_b32 exec_lo, exec_lo, s24
.LBB4_6173:                             ;   in Loop: Header=BB4_5816 Depth=2
	s_delay_alu instid0(SALU_CYCLE_1) | instskip(SKIP_3) | instid1(VALU_DEP_1)
	s_or_b32 exec_lo, exec_lo, s23
	v_lshrrev_b16 v10, 8, v13
	s_mov_b32 s10, 0
	s_mov_b32 s24, exec_lo
                                        ; implicit-def: $sgpr23
	v_cmpx_lt_i16_e32 0x7f, v10
	s_xor_b32 s24, exec_lo, s24
	s_cbranch_execnz .LBB4_6707
; %bb.6174:                             ;   in Loop: Header=BB4_5816 Depth=2
	s_or_saveexec_b32 s24, s24
	v_mov_b32_e32 v11, s23
	s_xor_b32 exec_lo, exec_lo, s24
	s_cbranch_execnz .LBB4_6710
.LBB4_6175:                             ;   in Loop: Header=BB4_5816 Depth=2
	s_or_b32 exec_lo, exec_lo, s24
	s_and_saveexec_b32 s23, s10
	s_cbranch_execz .LBB4_6177
.LBB4_6176:                             ;   in Loop: Header=BB4_5816 Depth=2
	v_and_b32_e32 v11, 0xffff, v10
	v_lshlrev_b32_e32 v10, 24, v10
	s_delay_alu instid0(VALU_DEP_2) | instskip(NEXT) | instid1(VALU_DEP_2)
	v_and_b32_e32 v12, 7, v11
	v_and_b32_e32 v10, 0x80000000, v10
	s_delay_alu instid0(VALU_DEP_2) | instskip(NEXT) | instid1(VALU_DEP_1)
	v_clz_i32_u32_e32 v146, v12
	v_min_u32_e32 v146, 32, v146
	s_delay_alu instid0(VALU_DEP_1) | instskip(SKIP_1) | instid1(VALU_DEP_2)
	v_subrev_nc_u32_e32 v147, 28, v146
	v_sub_nc_u32_e32 v146, 29, v146
	v_lshlrev_b32_e32 v147, v147, v11
	v_bfe_u32 v11, v11, 3, 4
	s_delay_alu instid0(VALU_DEP_2) | instskip(NEXT) | instid1(VALU_DEP_2)
	v_and_b32_e32 v147, 7, v147
	v_cmp_eq_u32_e32 vcc_lo, 0, v11
	s_delay_alu instid0(VALU_DEP_2) | instskip(NEXT) | instid1(VALU_DEP_1)
	v_dual_cndmask_b32 v11, v11, v146 :: v_dual_cndmask_b32 v12, v12, v147
	v_lshl_add_u32 v11, v11, 23, 0x3b800000
	s_delay_alu instid0(VALU_DEP_2) | instskip(NEXT) | instid1(VALU_DEP_1)
	v_lshlrev_b32_e32 v12, 20, v12
	v_or3_b32 v11, v10, v11, v12
.LBB4_6177:                             ;   in Loop: Header=BB4_5816 Depth=2
	s_or_b32 exec_lo, exec_lo, s23
	s_delay_alu instid0(VALU_DEP_1) | instskip(SKIP_2) | instid1(VALU_DEP_2)
	v_mul_f32_e32 v10, s22, v11
	v_mov_b32_e32 v146, 0x8000
	s_mov_b32 s23, exec_lo
	v_and_b32_e32 v11, 0x7f800000, v10
	s_delay_alu instid0(VALU_DEP_1)
	v_cmpx_ne_u32_e32 0x7f800000, v11
	s_cbranch_execz .LBB4_6185
; %bb.6178:                             ;   in Loop: Header=BB4_5816 Depth=2
	v_mov_b32_e32 v146, 0
	s_mov_b32 s24, exec_lo
	v_cmpx_ne_u32_e32 0, v10
	s_cbranch_execz .LBB4_6184
; %bb.6179:                             ;   in Loop: Header=BB4_5816 Depth=2
	v_bfe_u32 v11, v10, 23, 8
	v_and_b32_e32 v12, 0x7fffff, v10
	s_delay_alu instid0(VALU_DEP_2) | instskip(SKIP_1) | instid1(VALU_DEP_3)
	v_sub_nc_u32_e32 v146, 0x78, v11
	v_cmp_gt_u32_e32 vcc_lo, 0x79, v11
	v_or_b32_e32 v147, 0x800000, v12
	s_delay_alu instid0(VALU_DEP_3) | instskip(SKIP_2) | instid1(VALU_DEP_3)
	v_cndmask_b32_e32 v146, 0, v146, vcc_lo
	v_cmp_eq_u32_e32 vcc_lo, 0, v11
	v_add_nc_u32_e32 v11, 0xffffff89, v11
	v_cndmask_b32_e64 v146, v146, 0x77, vcc_lo
	v_cndmask_b32_e32 v12, v147, v12, vcc_lo
	s_delay_alu instid0(VALU_DEP_3) | instskip(NEXT) | instid1(VALU_DEP_3)
	v_cndmask_b32_e64 v11, v11, 0xffffff8a, vcc_lo
	v_lshl_add_u32 v147, 0x100000, v146, -1
	s_delay_alu instid0(VALU_DEP_3) | instskip(SKIP_1) | instid1(VALU_DEP_4)
	v_lshrrev_b32_e32 v148, v146, v12
	v_lshlrev_b32_e64 v150, v146, 0x80000
	v_add_nc_u32_e32 v146, v146, v11
	s_delay_alu instid0(VALU_DEP_4) | instskip(NEXT) | instid1(VALU_DEP_4)
	v_and_b32_e32 v12, v147, v12
	v_bfe_u32 v149, v148, 20, 1
	s_delay_alu instid0(VALU_DEP_2) | instskip(NEXT) | instid1(VALU_DEP_2)
	v_cmp_eq_u32_e64 s10, v12, v150
	v_add_nc_u32_e32 v147, -1, v149
	s_delay_alu instid0(VALU_DEP_1) | instskip(SKIP_2) | instid1(VALU_DEP_2)
	v_cndmask_b32_e64 v12, 0, v147, s10
	v_lshrrev_b32_e32 v147, 23, v148
	s_mov_b32 s10, exec_lo
	v_add_nc_u32_e32 v12, v12, v148
	s_delay_alu instid0(VALU_DEP_2) | instskip(NEXT) | instid1(VALU_DEP_2)
	v_xor_b32_e32 v147, 1, v147
	v_and_b32_e32 v11, 0xfffff, v12
	s_delay_alu instid0(VALU_DEP_1) | instskip(NEXT) | instid1(VALU_DEP_3)
	v_add_nc_u32_e32 v12, v11, v148
                                        ; implicit-def: $vgpr11
	v_cmpx_ne_u32_e64 v146, v147
	s_xor_b32 s10, exec_lo, s10
; %bb.6180:                             ;   in Loop: Header=BB4_5816 Depth=2
	s_delay_alu instid0(VALU_DEP_2) | instskip(SKIP_2) | instid1(VALU_DEP_2)
	v_cmp_lt_u32_e32 vcc_lo, 0xffffff, v12
	v_sub_nc_u32_e32 v11, v146, v147
	v_cndmask_b32_e64 v146, 0, 1, vcc_lo
	v_add_co_ci_u32_e32 v11, vcc_lo, 0, v11, vcc_lo
	s_delay_alu instid0(VALU_DEP_2)
	v_lshrrev_b32_e32 v12, v146, v12
; %bb.6181:                             ;   in Loop: Header=BB4_5816 Depth=2
	s_and_not1_saveexec_b32 s10, s10
; %bb.6182:                             ;   in Loop: Header=BB4_5816 Depth=2
	s_delay_alu instid0(VALU_DEP_1)
	v_bfe_u32 v11, v12, 23, 1
; %bb.6183:                             ;   in Loop: Header=BB4_5816 Depth=2
	s_or_b32 exec_lo, exec_lo, s10
	v_lshrrev_b32_e32 v12, 20, v12
	s_delay_alu instid0(VALU_DEP_2) | instskip(SKIP_2) | instid1(VALU_DEP_4)
	v_cmp_gt_i32_e32 vcc_lo, 16, v11
	v_min_i32_e32 v146, 15, v11
	v_lshrrev_b32_e32 v10, 24, v10
	v_cndmask_b32_e32 v12, 7, v12, vcc_lo
	s_delay_alu instid0(VALU_DEP_3) | instskip(NEXT) | instid1(VALU_DEP_3)
	v_lshlrev_b32_e32 v146, 3, v146
	v_and_b32_e32 v10, 0x80, v10
	s_delay_alu instid0(VALU_DEP_3) | instskip(NEXT) | instid1(VALU_DEP_3)
	v_or_b32_e32 v11, v11, v12
	v_and_b32_e32 v146, 0xf8, v146
	s_delay_alu instid0(VALU_DEP_2) | instskip(SKIP_1) | instid1(VALU_DEP_1)
	v_cmp_ne_u32_e32 vcc_lo, 0, v11
	v_and_b32_e32 v147, 7, v12
	v_or3_b32 v10, v10, v146, v147
	s_delay_alu instid0(VALU_DEP_1) | instskip(NEXT) | instid1(VALU_DEP_1)
	v_lshlrev_b32_e32 v10, 8, v10
	v_cndmask_b32_e32 v146, 0, v10, vcc_lo
.LBB4_6184:                             ;   in Loop: Header=BB4_5816 Depth=2
	s_or_b32 exec_lo, exec_lo, s24
.LBB4_6185:                             ;   in Loop: Header=BB4_5816 Depth=2
	s_delay_alu instid0(SALU_CYCLE_1) | instskip(SKIP_3) | instid1(VALU_DEP_1)
	s_or_b32 exec_lo, exec_lo, s23
	v_lshrrev_b32_e32 v10, 16, v13
	s_mov_b32 s10, 0
	s_mov_b32 s24, exec_lo
                                        ; implicit-def: $sgpr23
	v_and_b32_e32 v12, 0xff, v10
	s_delay_alu instid0(VALU_DEP_1)
	v_cmpx_lt_i16_e32 0x7f, v12
	s_xor_b32 s24, exec_lo, s24
	s_cbranch_execnz .LBB4_6711
; %bb.6186:                             ;   in Loop: Header=BB4_5816 Depth=2
	s_or_saveexec_b32 s24, s24
	v_mov_b32_e32 v11, s23
	s_xor_b32 exec_lo, exec_lo, s24
	s_cbranch_execnz .LBB4_6714
.LBB4_6187:                             ;   in Loop: Header=BB4_5816 Depth=2
	s_or_b32 exec_lo, exec_lo, s24
	s_and_saveexec_b32 s23, s10
	s_cbranch_execz .LBB4_6189
.LBB4_6188:                             ;   in Loop: Header=BB4_5816 Depth=2
	v_bfe_u32 v11, v13, 16, 3
	v_lshlrev_b32_e32 v148, 8, v13
	s_delay_alu instid0(VALU_DEP_2) | instskip(NEXT) | instid1(VALU_DEP_1)
	v_clz_i32_u32_e32 v12, v11
	v_min_u32_e32 v12, 32, v12
	s_delay_alu instid0(VALU_DEP_1) | instskip(SKIP_1) | instid1(VALU_DEP_2)
	v_subrev_nc_u32_e32 v147, 28, v12
	v_sub_nc_u32_e32 v12, 29, v12
	v_lshlrev_b32_e32 v10, v147, v10
	v_bfe_u32 v147, v13, 19, 4
	s_delay_alu instid0(VALU_DEP_2) | instskip(NEXT) | instid1(VALU_DEP_2)
	v_and_b32_e32 v10, 7, v10
	v_cmp_eq_u32_e32 vcc_lo, 0, v147
	v_cndmask_b32_e32 v12, v147, v12, vcc_lo
	s_delay_alu instid0(VALU_DEP_3) | instskip(NEXT) | instid1(VALU_DEP_2)
	v_dual_cndmask_b32 v10, v11, v10 :: v_dual_and_b32 v11, 0x80000000, v148
	v_lshl_add_u32 v12, v12, 23, 0x3b800000
	s_delay_alu instid0(VALU_DEP_2) | instskip(NEXT) | instid1(VALU_DEP_1)
	v_lshlrev_b32_e32 v10, 20, v10
	v_or3_b32 v11, v11, v12, v10
.LBB4_6189:                             ;   in Loop: Header=BB4_5816 Depth=2
	s_or_b32 exec_lo, exec_lo, s23
	s_delay_alu instid0(VALU_DEP_1) | instskip(SKIP_1) | instid1(VALU_DEP_1)
	v_dual_mul_f32 v10, s22, v11 :: v_dual_mov_b32 v147, 0x80
	s_mov_b32 s23, exec_lo
	v_and_b32_e32 v11, 0x7f800000, v10
	s_delay_alu instid0(VALU_DEP_1)
	v_cmpx_ne_u32_e32 0x7f800000, v11
	s_cbranch_execz .LBB4_6197
; %bb.6190:                             ;   in Loop: Header=BB4_5816 Depth=2
	v_mov_b32_e32 v147, 0
	s_mov_b32 s24, exec_lo
	v_cmpx_ne_u32_e32 0, v10
	s_cbranch_execz .LBB4_6196
; %bb.6191:                             ;   in Loop: Header=BB4_5816 Depth=2
	v_bfe_u32 v11, v10, 23, 8
	s_delay_alu instid0(VALU_DEP_1) | instskip(SKIP_1) | instid1(VALU_DEP_2)
	v_sub_nc_u32_e32 v147, 0x78, v11
	v_cmp_gt_u32_e32 vcc_lo, 0x79, v11
	v_dual_cndmask_b32 v147, 0, v147 :: v_dual_and_b32 v12, 0x7fffff, v10
	s_delay_alu instid0(VALU_DEP_1) | instskip(SKIP_2) | instid1(VALU_DEP_4)
	v_or_b32_e32 v148, 0x800000, v12
	v_cmp_eq_u32_e32 vcc_lo, 0, v11
	v_add_nc_u32_e32 v11, 0xffffff89, v11
	v_cndmask_b32_e64 v147, v147, 0x77, vcc_lo
	s_delay_alu instid0(VALU_DEP_4) | instskip(NEXT) | instid1(VALU_DEP_3)
	v_cndmask_b32_e32 v12, v148, v12, vcc_lo
	v_cndmask_b32_e64 v11, v11, 0xffffff8a, vcc_lo
	s_delay_alu instid0(VALU_DEP_3) | instskip(NEXT) | instid1(VALU_DEP_3)
	v_lshl_add_u32 v148, 0x100000, v147, -1
	v_lshrrev_b32_e32 v149, v147, v12
	v_lshlrev_b32_e64 v151, v147, 0x80000
	s_delay_alu instid0(VALU_DEP_4) | instskip(NEXT) | instid1(VALU_DEP_4)
	v_add_nc_u32_e32 v147, v147, v11
	v_and_b32_e32 v12, v148, v12
	s_delay_alu instid0(VALU_DEP_4) | instskip(NEXT) | instid1(VALU_DEP_2)
	v_bfe_u32 v150, v149, 20, 1
	v_cmp_eq_u32_e64 s10, v12, v151
	s_delay_alu instid0(VALU_DEP_2) | instskip(NEXT) | instid1(VALU_DEP_1)
	v_add_nc_u32_e32 v148, -1, v150
	v_cndmask_b32_e64 v12, 0, v148, s10
	v_lshrrev_b32_e32 v148, 23, v149
	s_mov_b32 s10, exec_lo
	s_delay_alu instid0(VALU_DEP_2) | instskip(NEXT) | instid1(VALU_DEP_2)
	v_add_nc_u32_e32 v12, v12, v149
	v_xor_b32_e32 v148, 1, v148
	s_delay_alu instid0(VALU_DEP_2) | instskip(NEXT) | instid1(VALU_DEP_1)
	v_and_b32_e32 v11, 0xfffff, v12
	v_add_nc_u32_e32 v12, v11, v149
                                        ; implicit-def: $vgpr11
	s_delay_alu instid0(VALU_DEP_3)
	v_cmpx_ne_u32_e64 v147, v148
	s_xor_b32 s10, exec_lo, s10
; %bb.6192:                             ;   in Loop: Header=BB4_5816 Depth=2
	s_delay_alu instid0(VALU_DEP_2) | instskip(SKIP_2) | instid1(VALU_DEP_2)
	v_cmp_lt_u32_e32 vcc_lo, 0xffffff, v12
	v_sub_nc_u32_e32 v11, v147, v148
	v_cndmask_b32_e64 v147, 0, 1, vcc_lo
	v_add_co_ci_u32_e32 v11, vcc_lo, 0, v11, vcc_lo
	s_delay_alu instid0(VALU_DEP_2)
	v_lshrrev_b32_e32 v12, v147, v12
; %bb.6193:                             ;   in Loop: Header=BB4_5816 Depth=2
	s_and_not1_saveexec_b32 s10, s10
; %bb.6194:                             ;   in Loop: Header=BB4_5816 Depth=2
	s_delay_alu instid0(VALU_DEP_1)
	v_bfe_u32 v11, v12, 23, 1
; %bb.6195:                             ;   in Loop: Header=BB4_5816 Depth=2
	s_or_b32 exec_lo, exec_lo, s10
	v_lshrrev_b32_e32 v12, 20, v12
	s_delay_alu instid0(VALU_DEP_2) | instskip(SKIP_2) | instid1(VALU_DEP_2)
	v_cmp_gt_i32_e32 vcc_lo, 16, v11
	v_min_i32_e32 v147, 15, v11
	v_lshrrev_b32_e32 v10, 24, v10
	v_dual_cndmask_b32 v12, 7, v12 :: v_dual_lshlrev_b32 v147, 3, v147
	s_delay_alu instid0(VALU_DEP_2) | instskip(NEXT) | instid1(VALU_DEP_2)
	v_and_b32_e32 v10, 0x80, v10
	v_or_b32_e32 v11, v11, v12
	s_delay_alu instid0(VALU_DEP_3) | instskip(NEXT) | instid1(VALU_DEP_2)
	v_and_b32_e32 v147, 0xf8, v147
	v_cmp_ne_u32_e32 vcc_lo, 0, v11
	v_and_b32_e32 v148, 7, v12
	s_delay_alu instid0(VALU_DEP_1) | instskip(NEXT) | instid1(VALU_DEP_1)
	v_or3_b32 v10, v147, v10, v148
	v_cndmask_b32_e32 v147, 0, v10, vcc_lo
.LBB4_6196:                             ;   in Loop: Header=BB4_5816 Depth=2
	s_or_b32 exec_lo, exec_lo, s24
.LBB4_6197:                             ;   in Loop: Header=BB4_5816 Depth=2
	s_delay_alu instid0(SALU_CYCLE_1) | instskip(SKIP_3) | instid1(VALU_DEP_1)
	s_or_b32 exec_lo, exec_lo, s23
	v_lshrrev_b32_e32 v10, 24, v13
	s_mov_b32 s10, 0
	s_mov_b32 s24, exec_lo
                                        ; implicit-def: $sgpr23
	v_cmpx_lt_i16_e32 0x7f, v10
	s_xor_b32 s24, exec_lo, s24
	s_cbranch_execnz .LBB4_6715
; %bb.6198:                             ;   in Loop: Header=BB4_5816 Depth=2
	s_or_saveexec_b32 s24, s24
	v_mov_b32_e32 v11, s23
	s_xor_b32 exec_lo, exec_lo, s24
	s_cbranch_execnz .LBB4_6718
.LBB4_6199:                             ;   in Loop: Header=BB4_5816 Depth=2
	s_or_b32 exec_lo, exec_lo, s24
	s_and_saveexec_b32 s23, s10
	s_cbranch_execz .LBB4_6201
.LBB4_6200:                             ;   in Loop: Header=BB4_5816 Depth=2
	v_bfe_u32 v11, v13, 24, 3
	s_delay_alu instid0(VALU_DEP_1) | instskip(NEXT) | instid1(VALU_DEP_1)
	v_clz_i32_u32_e32 v12, v11
	v_min_u32_e32 v12, 32, v12
	s_delay_alu instid0(VALU_DEP_1) | instskip(SKIP_1) | instid1(VALU_DEP_2)
	v_subrev_nc_u32_e32 v148, 28, v12
	v_sub_nc_u32_e32 v12, 29, v12
	v_lshlrev_b32_e32 v10, v148, v10
	v_bfe_u32 v148, v13, 27, 4
	s_delay_alu instid0(VALU_DEP_2) | instskip(NEXT) | instid1(VALU_DEP_2)
	v_and_b32_e32 v10, 7, v10
	v_cmp_eq_u32_e32 vcc_lo, 0, v148
	v_cndmask_b32_e32 v12, v148, v12, vcc_lo
	s_delay_alu instid0(VALU_DEP_3) | instskip(NEXT) | instid1(VALU_DEP_2)
	v_dual_cndmask_b32 v10, v11, v10 :: v_dual_and_b32 v11, 0x80000000, v13
	v_lshl_add_u32 v12, v12, 23, 0x3b800000
	s_delay_alu instid0(VALU_DEP_2) | instskip(NEXT) | instid1(VALU_DEP_1)
	v_lshlrev_b32_e32 v10, 20, v10
	v_or3_b32 v11, v11, v12, v10
.LBB4_6201:                             ;   in Loop: Header=BB4_5816 Depth=2
	s_or_b32 exec_lo, exec_lo, s23
	s_delay_alu instid0(VALU_DEP_1) | instskip(SKIP_2) | instid1(VALU_DEP_2)
	v_mul_f32_e32 v10, s22, v11
	v_mov_b32_e32 v148, 0x8000
	s_mov_b32 s23, exec_lo
	v_and_b32_e32 v11, 0x7f800000, v10
	s_delay_alu instid0(VALU_DEP_1)
	v_cmpx_ne_u32_e32 0x7f800000, v11
	s_cbranch_execz .LBB4_6209
; %bb.6202:                             ;   in Loop: Header=BB4_5816 Depth=2
	v_mov_b32_e32 v148, 0
	s_mov_b32 s24, exec_lo
	v_cmpx_ne_u32_e32 0, v10
	s_cbranch_execz .LBB4_6208
; %bb.6203:                             ;   in Loop: Header=BB4_5816 Depth=2
	v_bfe_u32 v11, v10, 23, 8
	s_delay_alu instid0(VALU_DEP_1) | instskip(SKIP_1) | instid1(VALU_DEP_2)
	v_sub_nc_u32_e32 v13, 0x78, v11
	v_cmp_gt_u32_e32 vcc_lo, 0x79, v11
	v_dual_cndmask_b32 v13, 0, v13 :: v_dual_and_b32 v12, 0x7fffff, v10
	s_delay_alu instid0(VALU_DEP_1) | instskip(SKIP_2) | instid1(VALU_DEP_4)
	v_or_b32_e32 v148, 0x800000, v12
	v_cmp_eq_u32_e32 vcc_lo, 0, v11
	v_add_nc_u32_e32 v11, 0xffffff89, v11
	v_cndmask_b32_e64 v13, v13, 0x77, vcc_lo
	s_delay_alu instid0(VALU_DEP_4) | instskip(NEXT) | instid1(VALU_DEP_3)
	v_cndmask_b32_e32 v12, v148, v12, vcc_lo
	v_cndmask_b32_e64 v11, v11, 0xffffff8a, vcc_lo
	s_delay_alu instid0(VALU_DEP_3) | instskip(NEXT) | instid1(VALU_DEP_3)
	v_lshl_add_u32 v148, 0x100000, v13, -1
	v_lshrrev_b32_e32 v149, v13, v12
	v_lshlrev_b32_e64 v151, v13, 0x80000
	s_delay_alu instid0(VALU_DEP_4) | instskip(NEXT) | instid1(VALU_DEP_4)
	v_add_nc_u32_e32 v13, v13, v11
	v_and_b32_e32 v12, v148, v12
	s_delay_alu instid0(VALU_DEP_4) | instskip(NEXT) | instid1(VALU_DEP_2)
	v_bfe_u32 v150, v149, 20, 1
	v_cmp_eq_u32_e64 s10, v12, v151
	s_delay_alu instid0(VALU_DEP_2) | instskip(NEXT) | instid1(VALU_DEP_1)
	v_add_nc_u32_e32 v148, -1, v150
	v_cndmask_b32_e64 v12, 0, v148, s10
	v_lshrrev_b32_e32 v148, 23, v149
	s_mov_b32 s10, exec_lo
	s_delay_alu instid0(VALU_DEP_2) | instskip(NEXT) | instid1(VALU_DEP_2)
	v_add_nc_u32_e32 v12, v12, v149
	v_xor_b32_e32 v148, 1, v148
	s_delay_alu instid0(VALU_DEP_2) | instskip(NEXT) | instid1(VALU_DEP_1)
	v_and_b32_e32 v11, 0xfffff, v12
	v_add_nc_u32_e32 v12, v11, v149
                                        ; implicit-def: $vgpr11
	s_delay_alu instid0(VALU_DEP_3)
	v_cmpx_ne_u32_e64 v13, v148
	s_xor_b32 s10, exec_lo, s10
; %bb.6204:                             ;   in Loop: Header=BB4_5816 Depth=2
	s_delay_alu instid0(VALU_DEP_2) | instskip(SKIP_2) | instid1(VALU_DEP_2)
	v_cmp_lt_u32_e32 vcc_lo, 0xffffff, v12
	v_sub_nc_u32_e32 v11, v13, v148
	v_cndmask_b32_e64 v13, 0, 1, vcc_lo
	v_add_co_ci_u32_e32 v11, vcc_lo, 0, v11, vcc_lo
	s_delay_alu instid0(VALU_DEP_2)
	v_lshrrev_b32_e32 v12, v13, v12
; %bb.6205:                             ;   in Loop: Header=BB4_5816 Depth=2
	s_and_not1_saveexec_b32 s10, s10
; %bb.6206:                             ;   in Loop: Header=BB4_5816 Depth=2
	s_delay_alu instid0(VALU_DEP_1)
	v_bfe_u32 v11, v12, 23, 1
; %bb.6207:                             ;   in Loop: Header=BB4_5816 Depth=2
	s_or_b32 exec_lo, exec_lo, s10
	v_lshrrev_b32_e32 v12, 20, v12
	s_delay_alu instid0(VALU_DEP_2) | instskip(SKIP_2) | instid1(VALU_DEP_2)
	v_cmp_gt_i32_e32 vcc_lo, 16, v11
	v_min_i32_e32 v13, 15, v11
	v_lshrrev_b32_e32 v10, 24, v10
	v_dual_cndmask_b32 v12, 7, v12 :: v_dual_lshlrev_b32 v13, 3, v13
	s_delay_alu instid0(VALU_DEP_2) | instskip(NEXT) | instid1(VALU_DEP_2)
	v_and_b32_e32 v10, 0x80, v10
	v_or_b32_e32 v11, v11, v12
	v_and_b32_e32 v148, 7, v12
	s_delay_alu instid0(VALU_DEP_2) | instskip(SKIP_1) | instid1(VALU_DEP_1)
	v_cmp_ne_u32_e32 vcc_lo, 0, v11
	v_and_b32_e32 v13, 0xf8, v13
	v_or3_b32 v10, v10, v13, v148
	s_delay_alu instid0(VALU_DEP_1) | instskip(NEXT) | instid1(VALU_DEP_1)
	v_lshlrev_b32_e32 v10, 8, v10
	v_cndmask_b32_e32 v148, 0, v10, vcc_lo
.LBB4_6208:                             ;   in Loop: Header=BB4_5816 Depth=2
	s_or_b32 exec_lo, exec_lo, s24
.LBB4_6209:                             ;   in Loop: Header=BB4_5816 Depth=2
	s_delay_alu instid0(SALU_CYCLE_1)
	s_or_b32 exec_lo, exec_lo, s23
	global_load_b128 v[10:13], v[50:51], off offset:1024 slc dlc
	s_mov_b32 s10, 0
	s_mov_b32 s24, exec_lo
                                        ; implicit-def: $sgpr23
	s_waitcnt vmcnt(0)
	v_and_b32_e32 v150, 0xff, v10
	s_delay_alu instid0(VALU_DEP_1)
	v_cmpx_lt_i16_e64 0x7f, v150
	s_xor_b32 s24, exec_lo, s24
	s_cbranch_execnz .LBB4_6719
; %bb.6210:                             ;   in Loop: Header=BB4_5816 Depth=2
	s_or_saveexec_b32 s24, s24
	v_mov_b32_e32 v149, s23
	s_xor_b32 exec_lo, exec_lo, s24
	s_cbranch_execnz .LBB4_6722
.LBB4_6211:                             ;   in Loop: Header=BB4_5816 Depth=2
	s_or_b32 exec_lo, exec_lo, s24
	s_and_saveexec_b32 s23, s10
	s_cbranch_execz .LBB4_6213
.LBB4_6212:                             ;   in Loop: Header=BB4_5816 Depth=2
	v_and_b32_e32 v149, 7, v10
	v_bfe_u32 v160, v10, 3, 4
	v_lshlrev_b32_e32 v161, 24, v10
	s_delay_alu instid0(VALU_DEP_3) | instskip(NEXT) | instid1(VALU_DEP_3)
	v_clz_i32_u32_e32 v150, v149
	v_cmp_eq_u32_e32 vcc_lo, 0, v160
	s_delay_alu instid0(VALU_DEP_2) | instskip(NEXT) | instid1(VALU_DEP_1)
	v_min_u32_e32 v150, 32, v150
	v_subrev_nc_u32_e32 v151, 28, v150
	v_sub_nc_u32_e32 v150, 29, v150
	s_delay_alu instid0(VALU_DEP_2) | instskip(NEXT) | instid1(VALU_DEP_1)
	v_lshlrev_b32_e32 v151, v151, v10
	v_dual_cndmask_b32 v150, v160, v150 :: v_dual_and_b32 v151, 7, v151
	s_delay_alu instid0(VALU_DEP_1) | instskip(NEXT) | instid1(VALU_DEP_2)
	v_lshl_add_u32 v150, v150, 23, 0x3b800000
	v_cndmask_b32_e32 v149, v149, v151, vcc_lo
	v_and_b32_e32 v151, 0x80000000, v161
	s_delay_alu instid0(VALU_DEP_2) | instskip(NEXT) | instid1(VALU_DEP_1)
	v_lshlrev_b32_e32 v149, 20, v149
	v_or3_b32 v149, v151, v150, v149
.LBB4_6213:                             ;   in Loop: Header=BB4_5816 Depth=2
	s_or_b32 exec_lo, exec_lo, s23
	s_delay_alu instid0(VALU_DEP_1) | instskip(NEXT) | instid1(VALU_DEP_1)
	v_mul_f32_e32 v150, s22, v149
	v_and_b32_e32 v149, 0x7f800000, v150
	s_delay_alu instid0(VALU_DEP_1)
	v_cmp_ne_u32_e32 vcc_lo, 0x7f800000, v149
	v_mov_b32_e32 v149, 0x80
	s_and_saveexec_b32 s23, vcc_lo
	s_cbranch_execz .LBB4_6221
; %bb.6214:                             ;   in Loop: Header=BB4_5816 Depth=2
	v_mov_b32_e32 v149, 0
	s_mov_b32 s24, exec_lo
	v_cmpx_ne_u32_e32 0, v150
	s_cbranch_execz .LBB4_6220
; %bb.6215:                             ;   in Loop: Header=BB4_5816 Depth=2
	v_bfe_u32 v149, v150, 23, 8
	s_delay_alu instid0(VALU_DEP_1) | instskip(SKIP_1) | instid1(VALU_DEP_2)
	v_sub_nc_u32_e32 v160, 0x78, v149
	v_cmp_gt_u32_e32 vcc_lo, 0x79, v149
	v_dual_cndmask_b32 v160, 0, v160 :: v_dual_and_b32 v151, 0x7fffff, v150
	s_delay_alu instid0(VALU_DEP_1) | instskip(SKIP_2) | instid1(VALU_DEP_4)
	v_or_b32_e32 v161, 0x800000, v151
	v_cmp_eq_u32_e32 vcc_lo, 0, v149
	v_add_nc_u32_e32 v149, 0xffffff89, v149
	v_cndmask_b32_e64 v160, v160, 0x77, vcc_lo
	s_delay_alu instid0(VALU_DEP_2) | instskip(SKIP_1) | instid1(VALU_DEP_3)
	v_cndmask_b32_e64 v149, v149, 0xffffff8a, vcc_lo
	v_cndmask_b32_e32 v151, v161, v151, vcc_lo
	v_lshl_add_u32 v161, 0x100000, v160, -1
	v_lshlrev_b32_e64 v164, v160, 0x80000
	s_delay_alu instid0(VALU_DEP_3) | instskip(SKIP_1) | instid1(VALU_DEP_4)
	v_lshrrev_b32_e32 v162, v160, v151
	v_add_nc_u32_e32 v160, v160, v149
	v_and_b32_e32 v151, v161, v151
	s_delay_alu instid0(VALU_DEP_3) | instskip(NEXT) | instid1(VALU_DEP_2)
	v_bfe_u32 v163, v162, 20, 1
	v_cmp_eq_u32_e64 s10, v151, v164
	s_delay_alu instid0(VALU_DEP_2) | instskip(NEXT) | instid1(VALU_DEP_1)
	v_add_nc_u32_e32 v161, -1, v163
	v_cndmask_b32_e64 v151, 0, v161, s10
	v_lshrrev_b32_e32 v161, 23, v162
	s_mov_b32 s10, exec_lo
	s_delay_alu instid0(VALU_DEP_2) | instskip(NEXT) | instid1(VALU_DEP_2)
	v_add_nc_u32_e32 v151, v151, v162
	v_xor_b32_e32 v161, 1, v161
	s_delay_alu instid0(VALU_DEP_2) | instskip(NEXT) | instid1(VALU_DEP_1)
	v_and_b32_e32 v149, 0xfffff, v151
	v_add_nc_u32_e32 v151, v149, v162
                                        ; implicit-def: $vgpr149
	s_delay_alu instid0(VALU_DEP_3)
	v_cmpx_ne_u32_e64 v160, v161
	s_xor_b32 s10, exec_lo, s10
; %bb.6216:                             ;   in Loop: Header=BB4_5816 Depth=2
	s_delay_alu instid0(VALU_DEP_2) | instskip(SKIP_2) | instid1(VALU_DEP_2)
	v_cmp_lt_u32_e32 vcc_lo, 0xffffff, v151
	v_sub_nc_u32_e32 v149, v160, v161
	v_cndmask_b32_e64 v160, 0, 1, vcc_lo
	v_add_co_ci_u32_e32 v149, vcc_lo, 0, v149, vcc_lo
	s_delay_alu instid0(VALU_DEP_2)
	v_lshrrev_b32_e32 v151, v160, v151
; %bb.6217:                             ;   in Loop: Header=BB4_5816 Depth=2
	s_and_not1_saveexec_b32 s10, s10
; %bb.6218:                             ;   in Loop: Header=BB4_5816 Depth=2
	s_delay_alu instid0(VALU_DEP_1)
	v_bfe_u32 v149, v151, 23, 1
; %bb.6219:                             ;   in Loop: Header=BB4_5816 Depth=2
	s_or_b32 exec_lo, exec_lo, s10
	v_lshrrev_b32_e32 v151, 20, v151
	s_delay_alu instid0(VALU_DEP_2) | instskip(SKIP_2) | instid1(VALU_DEP_2)
	v_cmp_gt_i32_e32 vcc_lo, 16, v149
	v_lshrrev_b32_e32 v150, 24, v150
	v_min_i32_e32 v160, 15, v149
	v_dual_cndmask_b32 v151, 7, v151 :: v_dual_and_b32 v150, 0x80, v150
	s_delay_alu instid0(VALU_DEP_1) | instskip(SKIP_1) | instid1(VALU_DEP_2)
	v_or_b32_e32 v149, v149, v151
	v_and_b32_e32 v161, 7, v151
	v_cmp_ne_u32_e32 vcc_lo, 0, v149
	v_lshlrev_b32_e32 v160, 3, v160
	s_delay_alu instid0(VALU_DEP_1) | instskip(NEXT) | instid1(VALU_DEP_1)
	v_or3_b32 v150, v160, v150, v161
	v_cndmask_b32_e32 v149, 0, v150, vcc_lo
.LBB4_6220:                             ;   in Loop: Header=BB4_5816 Depth=2
	s_or_b32 exec_lo, exec_lo, s24
.LBB4_6221:                             ;   in Loop: Header=BB4_5816 Depth=2
	s_delay_alu instid0(SALU_CYCLE_1) | instskip(SKIP_3) | instid1(VALU_DEP_1)
	s_or_b32 exec_lo, exec_lo, s23
	v_lshrrev_b16 v150, 8, v10
	s_mov_b32 s10, 0
	s_mov_b32 s24, exec_lo
                                        ; implicit-def: $sgpr23
	v_cmpx_lt_i16_e64 0x7f, v150
	s_xor_b32 s24, exec_lo, s24
	s_cbranch_execnz .LBB4_6723
; %bb.6222:                             ;   in Loop: Header=BB4_5816 Depth=2
	s_or_saveexec_b32 s24, s24
	v_mov_b32_e32 v151, s23
	s_xor_b32 exec_lo, exec_lo, s24
	s_cbranch_execnz .LBB4_6726
.LBB4_6223:                             ;   in Loop: Header=BB4_5816 Depth=2
	s_or_b32 exec_lo, exec_lo, s24
	s_and_saveexec_b32 s23, s10
	s_cbranch_execz .LBB4_6225
.LBB4_6224:                             ;   in Loop: Header=BB4_5816 Depth=2
	v_and_b32_e32 v151, 0xffff, v150
	v_lshlrev_b32_e32 v150, 24, v150
	s_delay_alu instid0(VALU_DEP_2) | instskip(NEXT) | instid1(VALU_DEP_2)
	v_and_b32_e32 v160, 7, v151
	v_and_b32_e32 v150, 0x80000000, v150
	s_delay_alu instid0(VALU_DEP_2) | instskip(NEXT) | instid1(VALU_DEP_1)
	v_clz_i32_u32_e32 v161, v160
	v_min_u32_e32 v161, 32, v161
	s_delay_alu instid0(VALU_DEP_1) | instskip(SKIP_1) | instid1(VALU_DEP_2)
	v_subrev_nc_u32_e32 v162, 28, v161
	v_sub_nc_u32_e32 v161, 29, v161
	v_lshlrev_b32_e32 v162, v162, v151
	v_bfe_u32 v151, v151, 3, 4
	s_delay_alu instid0(VALU_DEP_2) | instskip(NEXT) | instid1(VALU_DEP_2)
	v_and_b32_e32 v162, 7, v162
	v_cmp_eq_u32_e32 vcc_lo, 0, v151
	s_delay_alu instid0(VALU_DEP_2) | instskip(NEXT) | instid1(VALU_DEP_1)
	v_dual_cndmask_b32 v151, v151, v161 :: v_dual_cndmask_b32 v160, v160, v162
	v_lshl_add_u32 v151, v151, 23, 0x3b800000
	s_delay_alu instid0(VALU_DEP_2) | instskip(NEXT) | instid1(VALU_DEP_1)
	v_lshlrev_b32_e32 v160, 20, v160
	v_or3_b32 v151, v150, v151, v160
.LBB4_6225:                             ;   in Loop: Header=BB4_5816 Depth=2
	s_or_b32 exec_lo, exec_lo, s23
	s_delay_alu instid0(VALU_DEP_1) | instskip(NEXT) | instid1(VALU_DEP_1)
	v_mul_f32_e32 v151, s22, v151
	v_and_b32_e32 v150, 0x7f800000, v151
	s_delay_alu instid0(VALU_DEP_1)
	v_cmp_ne_u32_e32 vcc_lo, 0x7f800000, v150
	v_mov_b32_e32 v150, 0x80
	s_and_saveexec_b32 s23, vcc_lo
	s_cbranch_execz .LBB4_6233
; %bb.6226:                             ;   in Loop: Header=BB4_5816 Depth=2
	v_mov_b32_e32 v150, 0
	s_mov_b32 s24, exec_lo
	v_cmpx_ne_u32_e32 0, v151
	s_cbranch_execz .LBB4_6232
; %bb.6227:                             ;   in Loop: Header=BB4_5816 Depth=2
	v_bfe_u32 v150, v151, 23, 8
	s_delay_alu instid0(VALU_DEP_1) | instskip(SKIP_1) | instid1(VALU_DEP_2)
	v_sub_nc_u32_e32 v161, 0x78, v150
	v_cmp_gt_u32_e32 vcc_lo, 0x79, v150
	v_dual_cndmask_b32 v161, 0, v161 :: v_dual_and_b32 v160, 0x7fffff, v151
	s_delay_alu instid0(VALU_DEP_1) | instskip(SKIP_2) | instid1(VALU_DEP_4)
	v_or_b32_e32 v162, 0x800000, v160
	v_cmp_eq_u32_e32 vcc_lo, 0, v150
	v_add_nc_u32_e32 v150, 0xffffff89, v150
	v_cndmask_b32_e64 v161, v161, 0x77, vcc_lo
	s_delay_alu instid0(VALU_DEP_2) | instskip(SKIP_1) | instid1(VALU_DEP_3)
	v_cndmask_b32_e64 v150, v150, 0xffffff8a, vcc_lo
	v_cndmask_b32_e32 v160, v162, v160, vcc_lo
	v_lshl_add_u32 v162, 0x100000, v161, -1
	v_lshlrev_b32_e64 v165, v161, 0x80000
	s_delay_alu instid0(VALU_DEP_3) | instskip(SKIP_1) | instid1(VALU_DEP_4)
	v_lshrrev_b32_e32 v163, v161, v160
	v_add_nc_u32_e32 v161, v161, v150
	v_and_b32_e32 v160, v162, v160
	s_delay_alu instid0(VALU_DEP_3) | instskip(NEXT) | instid1(VALU_DEP_2)
	v_bfe_u32 v164, v163, 20, 1
	v_cmp_eq_u32_e64 s10, v160, v165
	s_delay_alu instid0(VALU_DEP_2) | instskip(NEXT) | instid1(VALU_DEP_1)
	v_add_nc_u32_e32 v162, -1, v164
	v_cndmask_b32_e64 v160, 0, v162, s10
	v_lshrrev_b32_e32 v162, 23, v163
	s_mov_b32 s10, exec_lo
	s_delay_alu instid0(VALU_DEP_2) | instskip(NEXT) | instid1(VALU_DEP_2)
	v_add_nc_u32_e32 v160, v160, v163
	v_xor_b32_e32 v162, 1, v162
	s_delay_alu instid0(VALU_DEP_2) | instskip(NEXT) | instid1(VALU_DEP_1)
	v_and_b32_e32 v150, 0xfffff, v160
	v_add_nc_u32_e32 v160, v150, v163
                                        ; implicit-def: $vgpr150
	s_delay_alu instid0(VALU_DEP_3)
	v_cmpx_ne_u32_e64 v161, v162
	s_xor_b32 s10, exec_lo, s10
; %bb.6228:                             ;   in Loop: Header=BB4_5816 Depth=2
	s_delay_alu instid0(VALU_DEP_2) | instskip(SKIP_2) | instid1(VALU_DEP_2)
	v_cmp_lt_u32_e32 vcc_lo, 0xffffff, v160
	v_sub_nc_u32_e32 v150, v161, v162
	v_cndmask_b32_e64 v161, 0, 1, vcc_lo
	v_add_co_ci_u32_e32 v150, vcc_lo, 0, v150, vcc_lo
	s_delay_alu instid0(VALU_DEP_2)
	v_lshrrev_b32_e32 v160, v161, v160
; %bb.6229:                             ;   in Loop: Header=BB4_5816 Depth=2
	s_and_not1_saveexec_b32 s10, s10
; %bb.6230:                             ;   in Loop: Header=BB4_5816 Depth=2
	s_delay_alu instid0(VALU_DEP_1)
	v_bfe_u32 v150, v160, 23, 1
; %bb.6231:                             ;   in Loop: Header=BB4_5816 Depth=2
	s_or_b32 exec_lo, exec_lo, s10
	v_lshrrev_b32_e32 v160, 20, v160
	s_delay_alu instid0(VALU_DEP_2) | instskip(SKIP_2) | instid1(VALU_DEP_2)
	v_cmp_gt_i32_e32 vcc_lo, 16, v150
	v_lshrrev_b32_e32 v151, 24, v151
	v_min_i32_e32 v161, 15, v150
	v_dual_cndmask_b32 v160, 7, v160 :: v_dual_and_b32 v151, 0x80, v151
	s_delay_alu instid0(VALU_DEP_1) | instskip(SKIP_1) | instid1(VALU_DEP_2)
	v_or_b32_e32 v150, v150, v160
	v_and_b32_e32 v162, 7, v160
	v_cmp_ne_u32_e32 vcc_lo, 0, v150
	v_lshlrev_b32_e32 v161, 3, v161
	s_delay_alu instid0(VALU_DEP_1) | instskip(NEXT) | instid1(VALU_DEP_1)
	v_or3_b32 v151, v161, v151, v162
	v_cndmask_b32_e32 v150, 0, v151, vcc_lo
.LBB4_6232:                             ;   in Loop: Header=BB4_5816 Depth=2
	s_or_b32 exec_lo, exec_lo, s24
.LBB4_6233:                             ;   in Loop: Header=BB4_5816 Depth=2
	s_delay_alu instid0(SALU_CYCLE_1) | instskip(SKIP_3) | instid1(VALU_DEP_1)
	s_or_b32 exec_lo, exec_lo, s23
	v_lshrrev_b32_e32 v151, 16, v10
	s_mov_b32 s10, 0
	s_mov_b32 s24, exec_lo
                                        ; implicit-def: $sgpr23
	v_and_b32_e32 v161, 0xff, v151
	s_delay_alu instid0(VALU_DEP_1)
	v_cmpx_lt_i16_e64 0x7f, v161
	s_xor_b32 s24, exec_lo, s24
	s_cbranch_execnz .LBB4_6727
; %bb.6234:                             ;   in Loop: Header=BB4_5816 Depth=2
	s_or_saveexec_b32 s24, s24
	v_mov_b32_e32 v160, s23
	s_xor_b32 exec_lo, exec_lo, s24
	s_cbranch_execnz .LBB4_6730
.LBB4_6235:                             ;   in Loop: Header=BB4_5816 Depth=2
	s_or_b32 exec_lo, exec_lo, s24
	s_and_saveexec_b32 s23, s10
	s_cbranch_execz .LBB4_6237
.LBB4_6236:                             ;   in Loop: Header=BB4_5816 Depth=2
	v_bfe_u32 v160, v10, 16, 3
	v_lshlrev_b32_e32 v163, 8, v10
	s_delay_alu instid0(VALU_DEP_2) | instskip(NEXT) | instid1(VALU_DEP_1)
	v_clz_i32_u32_e32 v161, v160
	v_min_u32_e32 v161, 32, v161
	s_delay_alu instid0(VALU_DEP_1) | instskip(SKIP_1) | instid1(VALU_DEP_2)
	v_subrev_nc_u32_e32 v162, 28, v161
	v_sub_nc_u32_e32 v161, 29, v161
	v_lshlrev_b32_e32 v151, v162, v151
	v_bfe_u32 v162, v10, 19, 4
	s_delay_alu instid0(VALU_DEP_2) | instskip(NEXT) | instid1(VALU_DEP_2)
	v_and_b32_e32 v151, 7, v151
	v_cmp_eq_u32_e32 vcc_lo, 0, v162
	v_cndmask_b32_e32 v161, v162, v161, vcc_lo
	s_delay_alu instid0(VALU_DEP_3) | instskip(SKIP_1) | instid1(VALU_DEP_3)
	v_cndmask_b32_e32 v151, v160, v151, vcc_lo
	v_and_b32_e32 v160, 0x80000000, v163
	v_lshl_add_u32 v161, v161, 23, 0x3b800000
	s_delay_alu instid0(VALU_DEP_3) | instskip(NEXT) | instid1(VALU_DEP_1)
	v_lshlrev_b32_e32 v151, 20, v151
	v_or3_b32 v160, v160, v161, v151
.LBB4_6237:                             ;   in Loop: Header=BB4_5816 Depth=2
	s_or_b32 exec_lo, exec_lo, s23
	s_delay_alu instid0(VALU_DEP_1) | instskip(NEXT) | instid1(VALU_DEP_1)
	v_mul_f32_e32 v160, s22, v160
	v_and_b32_e32 v151, 0x7f800000, v160
	s_delay_alu instid0(VALU_DEP_1)
	v_cmp_ne_u32_e32 vcc_lo, 0x7f800000, v151
	v_mov_b32_e32 v151, 0x80
	s_and_saveexec_b32 s23, vcc_lo
	s_cbranch_execz .LBB4_6245
; %bb.6238:                             ;   in Loop: Header=BB4_5816 Depth=2
	v_mov_b32_e32 v151, 0
	s_mov_b32 s24, exec_lo
	v_cmpx_ne_u32_e32 0, v160
	s_cbranch_execz .LBB4_6244
; %bb.6239:                             ;   in Loop: Header=BB4_5816 Depth=2
	v_bfe_u32 v151, v160, 23, 8
	s_delay_alu instid0(VALU_DEP_1) | instskip(SKIP_1) | instid1(VALU_DEP_2)
	v_sub_nc_u32_e32 v162, 0x78, v151
	v_cmp_gt_u32_e32 vcc_lo, 0x79, v151
	v_dual_cndmask_b32 v162, 0, v162 :: v_dual_and_b32 v161, 0x7fffff, v160
	s_delay_alu instid0(VALU_DEP_1) | instskip(SKIP_2) | instid1(VALU_DEP_4)
	v_or_b32_e32 v163, 0x800000, v161
	v_cmp_eq_u32_e32 vcc_lo, 0, v151
	v_add_nc_u32_e32 v151, 0xffffff89, v151
	v_cndmask_b32_e64 v162, v162, 0x77, vcc_lo
	s_delay_alu instid0(VALU_DEP_2) | instskip(SKIP_1) | instid1(VALU_DEP_3)
	v_cndmask_b32_e64 v151, v151, 0xffffff8a, vcc_lo
	v_cndmask_b32_e32 v161, v163, v161, vcc_lo
	v_lshl_add_u32 v163, 0x100000, v162, -1
	v_lshlrev_b32_e64 v166, v162, 0x80000
	s_delay_alu instid0(VALU_DEP_3) | instskip(SKIP_1) | instid1(VALU_DEP_4)
	v_lshrrev_b32_e32 v164, v162, v161
	v_add_nc_u32_e32 v162, v162, v151
	v_and_b32_e32 v161, v163, v161
	s_delay_alu instid0(VALU_DEP_3) | instskip(NEXT) | instid1(VALU_DEP_2)
	v_bfe_u32 v165, v164, 20, 1
	v_cmp_eq_u32_e64 s10, v161, v166
	s_delay_alu instid0(VALU_DEP_2) | instskip(NEXT) | instid1(VALU_DEP_1)
	v_add_nc_u32_e32 v163, -1, v165
	v_cndmask_b32_e64 v161, 0, v163, s10
	v_lshrrev_b32_e32 v163, 23, v164
	s_mov_b32 s10, exec_lo
	s_delay_alu instid0(VALU_DEP_2) | instskip(NEXT) | instid1(VALU_DEP_2)
	v_add_nc_u32_e32 v161, v161, v164
	v_xor_b32_e32 v163, 1, v163
	s_delay_alu instid0(VALU_DEP_2) | instskip(NEXT) | instid1(VALU_DEP_1)
	v_and_b32_e32 v151, 0xfffff, v161
	v_add_nc_u32_e32 v161, v151, v164
                                        ; implicit-def: $vgpr151
	s_delay_alu instid0(VALU_DEP_3)
	v_cmpx_ne_u32_e64 v162, v163
	s_xor_b32 s10, exec_lo, s10
; %bb.6240:                             ;   in Loop: Header=BB4_5816 Depth=2
	s_delay_alu instid0(VALU_DEP_2) | instskip(SKIP_2) | instid1(VALU_DEP_2)
	v_cmp_lt_u32_e32 vcc_lo, 0xffffff, v161
	v_sub_nc_u32_e32 v151, v162, v163
	v_cndmask_b32_e64 v162, 0, 1, vcc_lo
	v_add_co_ci_u32_e32 v151, vcc_lo, 0, v151, vcc_lo
	s_delay_alu instid0(VALU_DEP_2)
	v_lshrrev_b32_e32 v161, v162, v161
; %bb.6241:                             ;   in Loop: Header=BB4_5816 Depth=2
	s_and_not1_saveexec_b32 s10, s10
; %bb.6242:                             ;   in Loop: Header=BB4_5816 Depth=2
	s_delay_alu instid0(VALU_DEP_1)
	v_bfe_u32 v151, v161, 23, 1
; %bb.6243:                             ;   in Loop: Header=BB4_5816 Depth=2
	s_or_b32 exec_lo, exec_lo, s10
	v_lshrrev_b32_e32 v161, 20, v161
	s_delay_alu instid0(VALU_DEP_2) | instskip(SKIP_2) | instid1(VALU_DEP_2)
	v_cmp_gt_i32_e32 vcc_lo, 16, v151
	v_lshrrev_b32_e32 v160, 24, v160
	v_min_i32_e32 v162, 15, v151
	v_dual_cndmask_b32 v161, 7, v161 :: v_dual_and_b32 v160, 0x80, v160
	s_delay_alu instid0(VALU_DEP_1) | instskip(SKIP_1) | instid1(VALU_DEP_2)
	v_or_b32_e32 v151, v151, v161
	v_and_b32_e32 v163, 7, v161
	v_cmp_ne_u32_e32 vcc_lo, 0, v151
	v_lshlrev_b32_e32 v162, 3, v162
	s_delay_alu instid0(VALU_DEP_1) | instskip(NEXT) | instid1(VALU_DEP_1)
	v_or3_b32 v160, v162, v160, v163
	v_cndmask_b32_e32 v151, 0, v160, vcc_lo
.LBB4_6244:                             ;   in Loop: Header=BB4_5816 Depth=2
	s_or_b32 exec_lo, exec_lo, s24
.LBB4_6245:                             ;   in Loop: Header=BB4_5816 Depth=2
	s_delay_alu instid0(SALU_CYCLE_1) | instskip(SKIP_3) | instid1(VALU_DEP_1)
	s_or_b32 exec_lo, exec_lo, s23
	v_lshrrev_b32_e32 v160, 24, v10
	s_mov_b32 s10, 0
	s_mov_b32 s24, exec_lo
                                        ; implicit-def: $sgpr23
	v_cmpx_lt_i16_e64 0x7f, v160
	s_xor_b32 s24, exec_lo, s24
	s_cbranch_execnz .LBB4_6731
; %bb.6246:                             ;   in Loop: Header=BB4_5816 Depth=2
	s_or_saveexec_b32 s24, s24
	v_mov_b32_e32 v161, s23
	s_xor_b32 exec_lo, exec_lo, s24
	s_cbranch_execnz .LBB4_6734
.LBB4_6247:                             ;   in Loop: Header=BB4_5816 Depth=2
	s_or_b32 exec_lo, exec_lo, s24
	s_and_saveexec_b32 s23, s10
	s_cbranch_execz .LBB4_6249
.LBB4_6248:                             ;   in Loop: Header=BB4_5816 Depth=2
	v_bfe_u32 v161, v10, 24, 3
	s_delay_alu instid0(VALU_DEP_1) | instskip(NEXT) | instid1(VALU_DEP_1)
	v_clz_i32_u32_e32 v162, v161
	v_min_u32_e32 v162, 32, v162
	s_delay_alu instid0(VALU_DEP_1) | instskip(SKIP_1) | instid1(VALU_DEP_2)
	v_subrev_nc_u32_e32 v163, 28, v162
	v_sub_nc_u32_e32 v162, 29, v162
	v_lshlrev_b32_e32 v160, v163, v160
	v_bfe_u32 v163, v10, 27, 4
	v_and_b32_e32 v10, 0x80000000, v10
	s_delay_alu instid0(VALU_DEP_3) | instskip(NEXT) | instid1(VALU_DEP_3)
	v_and_b32_e32 v160, 7, v160
	v_cmp_eq_u32_e32 vcc_lo, 0, v163
	v_cndmask_b32_e32 v162, v163, v162, vcc_lo
	s_delay_alu instid0(VALU_DEP_3) | instskip(NEXT) | instid1(VALU_DEP_2)
	v_cndmask_b32_e32 v160, v161, v160, vcc_lo
	v_lshl_add_u32 v161, v162, 23, 0x3b800000
	s_delay_alu instid0(VALU_DEP_2) | instskip(NEXT) | instid1(VALU_DEP_1)
	v_lshlrev_b32_e32 v160, 20, v160
	v_or3_b32 v161, v10, v161, v160
.LBB4_6249:                             ;   in Loop: Header=BB4_5816 Depth=2
	s_or_b32 exec_lo, exec_lo, s23
	s_delay_alu instid0(VALU_DEP_1) | instskip(NEXT) | instid1(VALU_DEP_1)
	v_mul_f32_e32 v10, s22, v161
	v_and_b32_e32 v160, 0x7f800000, v10
	s_delay_alu instid0(VALU_DEP_1)
	v_cmp_ne_u32_e32 vcc_lo, 0x7f800000, v160
	v_mov_b32_e32 v160, 0x80
	s_and_saveexec_b32 s23, vcc_lo
	s_cbranch_execz .LBB4_6257
; %bb.6250:                             ;   in Loop: Header=BB4_5816 Depth=2
	v_mov_b32_e32 v160, 0
	s_mov_b32 s24, exec_lo
	v_cmpx_ne_u32_e32 0, v10
	s_cbranch_execz .LBB4_6256
; %bb.6251:                             ;   in Loop: Header=BB4_5816 Depth=2
	v_bfe_u32 v160, v10, 23, 8
	v_and_b32_e32 v161, 0x7fffff, v10
	s_delay_alu instid0(VALU_DEP_2) | instskip(SKIP_1) | instid1(VALU_DEP_3)
	v_sub_nc_u32_e32 v162, 0x78, v160
	v_cmp_gt_u32_e32 vcc_lo, 0x79, v160
	v_or_b32_e32 v163, 0x800000, v161
	s_delay_alu instid0(VALU_DEP_3) | instskip(SKIP_1) | instid1(VALU_DEP_3)
	v_cndmask_b32_e32 v162, 0, v162, vcc_lo
	v_cmp_eq_u32_e32 vcc_lo, 0, v160
	v_dual_cndmask_b32 v161, v163, v161 :: v_dual_add_nc_u32 v160, 0xffffff89, v160
	s_delay_alu instid0(VALU_DEP_3) | instskip(NEXT) | instid1(VALU_DEP_2)
	v_cndmask_b32_e64 v162, v162, 0x77, vcc_lo
	v_cndmask_b32_e64 v160, v160, 0xffffff8a, vcc_lo
	s_delay_alu instid0(VALU_DEP_2) | instskip(SKIP_2) | instid1(VALU_DEP_4)
	v_lshrrev_b32_e32 v164, v162, v161
	v_lshl_add_u32 v163, 0x100000, v162, -1
	v_lshlrev_b32_e64 v166, v162, 0x80000
	v_add_nc_u32_e32 v162, v162, v160
	s_delay_alu instid0(VALU_DEP_4) | instskip(NEXT) | instid1(VALU_DEP_4)
	v_bfe_u32 v165, v164, 20, 1
	v_and_b32_e32 v161, v163, v161
	s_delay_alu instid0(VALU_DEP_2) | instskip(NEXT) | instid1(VALU_DEP_2)
	v_add_nc_u32_e32 v163, -1, v165
	v_cmp_eq_u32_e64 s10, v161, v166
	s_delay_alu instid0(VALU_DEP_1) | instskip(SKIP_2) | instid1(VALU_DEP_2)
	v_cndmask_b32_e64 v161, 0, v163, s10
	v_lshrrev_b32_e32 v163, 23, v164
	s_mov_b32 s10, exec_lo
	v_add_nc_u32_e32 v161, v161, v164
	s_delay_alu instid0(VALU_DEP_2) | instskip(NEXT) | instid1(VALU_DEP_2)
	v_xor_b32_e32 v163, 1, v163
	v_and_b32_e32 v160, 0xfffff, v161
	s_delay_alu instid0(VALU_DEP_1) | instskip(NEXT) | instid1(VALU_DEP_3)
	v_add_nc_u32_e32 v161, v160, v164
                                        ; implicit-def: $vgpr160
	v_cmpx_ne_u32_e64 v162, v163
	s_xor_b32 s10, exec_lo, s10
; %bb.6252:                             ;   in Loop: Header=BB4_5816 Depth=2
	s_delay_alu instid0(VALU_DEP_2) | instskip(SKIP_2) | instid1(VALU_DEP_2)
	v_cmp_lt_u32_e32 vcc_lo, 0xffffff, v161
	v_sub_nc_u32_e32 v160, v162, v163
	v_cndmask_b32_e64 v162, 0, 1, vcc_lo
	v_add_co_ci_u32_e32 v160, vcc_lo, 0, v160, vcc_lo
	s_delay_alu instid0(VALU_DEP_2)
	v_lshrrev_b32_e32 v161, v162, v161
; %bb.6253:                             ;   in Loop: Header=BB4_5816 Depth=2
	s_and_not1_saveexec_b32 s10, s10
; %bb.6254:                             ;   in Loop: Header=BB4_5816 Depth=2
	s_delay_alu instid0(VALU_DEP_1)
	v_bfe_u32 v160, v161, 23, 1
; %bb.6255:                             ;   in Loop: Header=BB4_5816 Depth=2
	s_or_b32 exec_lo, exec_lo, s10
	v_lshrrev_b32_e32 v161, 20, v161
	s_delay_alu instid0(VALU_DEP_2) | instskip(SKIP_2) | instid1(VALU_DEP_2)
	v_cmp_gt_i32_e32 vcc_lo, 16, v160
	v_lshrrev_b32_e32 v10, 24, v10
	v_min_i32_e32 v162, 15, v160
	v_dual_cndmask_b32 v161, 7, v161 :: v_dual_and_b32 v10, 0x80, v10
	s_delay_alu instid0(VALU_DEP_2) | instskip(NEXT) | instid1(VALU_DEP_2)
	v_lshlrev_b32_e32 v162, 3, v162
	v_or_b32_e32 v160, v160, v161
	s_delay_alu instid0(VALU_DEP_1) | instskip(SKIP_1) | instid1(VALU_DEP_1)
	v_cmp_ne_u32_e32 vcc_lo, 0, v160
	v_and_b32_e32 v163, 7, v161
	v_or3_b32 v10, v162, v10, v163
	s_delay_alu instid0(VALU_DEP_1)
	v_cndmask_b32_e32 v160, 0, v10, vcc_lo
.LBB4_6256:                             ;   in Loop: Header=BB4_5816 Depth=2
	s_or_b32 exec_lo, exec_lo, s24
.LBB4_6257:                             ;   in Loop: Header=BB4_5816 Depth=2
	s_delay_alu instid0(SALU_CYCLE_1) | instskip(SKIP_3) | instid1(VALU_DEP_1)
	s_or_b32 exec_lo, exec_lo, s23
	v_and_b32_e32 v161, 0xff, v11
	s_mov_b32 s10, 0
	s_mov_b32 s24, exec_lo
                                        ; implicit-def: $sgpr23
	v_cmpx_lt_i16_e64 0x7f, v161
	s_xor_b32 s24, exec_lo, s24
	s_cbranch_execnz .LBB4_6735
; %bb.6258:                             ;   in Loop: Header=BB4_5816 Depth=2
	s_or_saveexec_b32 s24, s24
	v_mov_b32_e32 v10, s23
	s_xor_b32 exec_lo, exec_lo, s24
	s_cbranch_execnz .LBB4_6738
.LBB4_6259:                             ;   in Loop: Header=BB4_5816 Depth=2
	s_or_b32 exec_lo, exec_lo, s24
	s_and_saveexec_b32 s23, s10
	s_cbranch_execz .LBB4_6261
.LBB4_6260:                             ;   in Loop: Header=BB4_5816 Depth=2
	v_bfe_u32 v163, v11, 3, 4
	v_lshlrev_b32_e32 v164, 24, v11
	s_delay_alu instid0(VALU_DEP_2) | instskip(SKIP_1) | instid1(VALU_DEP_1)
	v_cmp_eq_u32_e32 vcc_lo, 0, v163
	v_and_b32_e32 v10, 7, v11
	v_clz_i32_u32_e32 v161, v10
	s_delay_alu instid0(VALU_DEP_1) | instskip(NEXT) | instid1(VALU_DEP_1)
	v_min_u32_e32 v161, 32, v161
	v_subrev_nc_u32_e32 v162, 28, v161
	v_sub_nc_u32_e32 v161, 29, v161
	s_delay_alu instid0(VALU_DEP_1) | instskip(NEXT) | instid1(VALU_DEP_1)
	v_dual_cndmask_b32 v161, v163, v161 :: v_dual_lshlrev_b32 v162, v162, v11
	v_and_b32_e32 v162, 7, v162
	s_delay_alu instid0(VALU_DEP_2) | instskip(NEXT) | instid1(VALU_DEP_2)
	v_lshl_add_u32 v161, v161, 23, 0x3b800000
	v_cndmask_b32_e32 v10, v10, v162, vcc_lo
	v_and_b32_e32 v162, 0x80000000, v164
	s_delay_alu instid0(VALU_DEP_2) | instskip(NEXT) | instid1(VALU_DEP_1)
	v_lshlrev_b32_e32 v10, 20, v10
	v_or3_b32 v10, v162, v161, v10
.LBB4_6261:                             ;   in Loop: Header=BB4_5816 Depth=2
	s_or_b32 exec_lo, exec_lo, s23
	s_delay_alu instid0(VALU_DEP_1) | instskip(NEXT) | instid1(VALU_DEP_1)
	v_mul_f32_e32 v10, s22, v10
	v_and_b32_e32 v161, 0x7f800000, v10
	s_delay_alu instid0(VALU_DEP_1)
	v_cmp_ne_u32_e32 vcc_lo, 0x7f800000, v161
	v_mov_b32_e32 v161, 0x80
	s_and_saveexec_b32 s23, vcc_lo
	s_cbranch_execz .LBB4_6269
; %bb.6262:                             ;   in Loop: Header=BB4_5816 Depth=2
	v_mov_b32_e32 v161, 0
	s_mov_b32 s24, exec_lo
	v_cmpx_ne_u32_e32 0, v10
	s_cbranch_execz .LBB4_6268
; %bb.6263:                             ;   in Loop: Header=BB4_5816 Depth=2
	v_bfe_u32 v161, v10, 23, 8
	s_delay_alu instid0(VALU_DEP_1) | instskip(SKIP_1) | instid1(VALU_DEP_2)
	v_sub_nc_u32_e32 v163, 0x78, v161
	v_cmp_gt_u32_e32 vcc_lo, 0x79, v161
	v_dual_cndmask_b32 v163, 0, v163 :: v_dual_and_b32 v162, 0x7fffff, v10
	s_delay_alu instid0(VALU_DEP_1) | instskip(SKIP_2) | instid1(VALU_DEP_4)
	v_or_b32_e32 v164, 0x800000, v162
	v_cmp_eq_u32_e32 vcc_lo, 0, v161
	v_add_nc_u32_e32 v161, 0xffffff89, v161
	v_cndmask_b32_e64 v163, v163, 0x77, vcc_lo
	s_delay_alu instid0(VALU_DEP_4) | instskip(NEXT) | instid1(VALU_DEP_3)
	v_cndmask_b32_e32 v162, v164, v162, vcc_lo
	v_cndmask_b32_e64 v161, v161, 0xffffff8a, vcc_lo
	s_delay_alu instid0(VALU_DEP_3) | instskip(NEXT) | instid1(VALU_DEP_3)
	v_lshl_add_u32 v164, 0x100000, v163, -1
	v_lshrrev_b32_e32 v165, v163, v162
	v_lshlrev_b32_e64 v167, v163, 0x80000
	s_delay_alu instid0(VALU_DEP_4) | instskip(NEXT) | instid1(VALU_DEP_4)
	v_add_nc_u32_e32 v163, v163, v161
	v_and_b32_e32 v162, v164, v162
	s_delay_alu instid0(VALU_DEP_4) | instskip(NEXT) | instid1(VALU_DEP_2)
	v_bfe_u32 v166, v165, 20, 1
	v_cmp_eq_u32_e64 s10, v162, v167
	s_delay_alu instid0(VALU_DEP_2) | instskip(NEXT) | instid1(VALU_DEP_1)
	v_add_nc_u32_e32 v164, -1, v166
	v_cndmask_b32_e64 v162, 0, v164, s10
	v_lshrrev_b32_e32 v164, 23, v165
	s_mov_b32 s10, exec_lo
	s_delay_alu instid0(VALU_DEP_2) | instskip(NEXT) | instid1(VALU_DEP_2)
	v_add_nc_u32_e32 v162, v162, v165
	v_xor_b32_e32 v164, 1, v164
	s_delay_alu instid0(VALU_DEP_2) | instskip(NEXT) | instid1(VALU_DEP_1)
	v_and_b32_e32 v161, 0xfffff, v162
	v_add_nc_u32_e32 v162, v161, v165
                                        ; implicit-def: $vgpr161
	s_delay_alu instid0(VALU_DEP_3)
	v_cmpx_ne_u32_e64 v163, v164
	s_xor_b32 s10, exec_lo, s10
; %bb.6264:                             ;   in Loop: Header=BB4_5816 Depth=2
	s_delay_alu instid0(VALU_DEP_2) | instskip(SKIP_2) | instid1(VALU_DEP_2)
	v_cmp_lt_u32_e32 vcc_lo, 0xffffff, v162
	v_sub_nc_u32_e32 v161, v163, v164
	v_cndmask_b32_e64 v163, 0, 1, vcc_lo
	v_add_co_ci_u32_e32 v161, vcc_lo, 0, v161, vcc_lo
	s_delay_alu instid0(VALU_DEP_2)
	v_lshrrev_b32_e32 v162, v163, v162
; %bb.6265:                             ;   in Loop: Header=BB4_5816 Depth=2
	s_and_not1_saveexec_b32 s10, s10
; %bb.6266:                             ;   in Loop: Header=BB4_5816 Depth=2
	s_delay_alu instid0(VALU_DEP_1)
	v_bfe_u32 v161, v162, 23, 1
; %bb.6267:                             ;   in Loop: Header=BB4_5816 Depth=2
	s_or_b32 exec_lo, exec_lo, s10
	v_lshrrev_b32_e32 v162, 20, v162
	s_delay_alu instid0(VALU_DEP_2) | instskip(SKIP_2) | instid1(VALU_DEP_3)
	v_min_i32_e32 v163, 15, v161
	v_cmp_gt_i32_e32 vcc_lo, 16, v161
	v_lshrrev_b32_e32 v10, 24, v10
	v_dual_cndmask_b32 v162, 7, v162 :: v_dual_lshlrev_b32 v163, 3, v163
	s_delay_alu instid0(VALU_DEP_2) | instskip(NEXT) | instid1(VALU_DEP_2)
	v_and_b32_e32 v10, 0x80, v10
	v_and_b32_e32 v163, 0xf8, v163
	s_delay_alu instid0(VALU_DEP_3) | instskip(SKIP_1) | instid1(VALU_DEP_2)
	v_and_b32_e32 v164, 7, v162
	v_or_b32_e32 v161, v161, v162
	v_or3_b32 v10, v163, v10, v164
	s_delay_alu instid0(VALU_DEP_2) | instskip(NEXT) | instid1(VALU_DEP_2)
	v_cmp_ne_u32_e32 vcc_lo, 0, v161
	v_cndmask_b32_e32 v161, 0, v10, vcc_lo
.LBB4_6268:                             ;   in Loop: Header=BB4_5816 Depth=2
	s_or_b32 exec_lo, exec_lo, s24
.LBB4_6269:                             ;   in Loop: Header=BB4_5816 Depth=2
	s_delay_alu instid0(SALU_CYCLE_1) | instskip(SKIP_3) | instid1(VALU_DEP_1)
	s_or_b32 exec_lo, exec_lo, s23
	v_lshrrev_b16 v10, 8, v11
	s_mov_b32 s10, 0
	s_mov_b32 s24, exec_lo
                                        ; implicit-def: $sgpr23
	v_cmpx_lt_i16_e32 0x7f, v10
	s_xor_b32 s24, exec_lo, s24
	s_cbranch_execnz .LBB4_6739
; %bb.6270:                             ;   in Loop: Header=BB4_5816 Depth=2
	s_or_saveexec_b32 s24, s24
	v_mov_b32_e32 v162, s23
	s_xor_b32 exec_lo, exec_lo, s24
	s_cbranch_execnz .LBB4_6742
.LBB4_6271:                             ;   in Loop: Header=BB4_5816 Depth=2
	s_or_b32 exec_lo, exec_lo, s24
	s_and_saveexec_b32 s23, s10
	s_cbranch_execz .LBB4_6273
.LBB4_6272:                             ;   in Loop: Header=BB4_5816 Depth=2
	v_and_b32_e32 v162, 0xffff, v10
	v_lshlrev_b32_e32 v10, 24, v10
	s_delay_alu instid0(VALU_DEP_2) | instskip(NEXT) | instid1(VALU_DEP_2)
	v_and_b32_e32 v163, 7, v162
	v_and_b32_e32 v10, 0x80000000, v10
	s_delay_alu instid0(VALU_DEP_2) | instskip(NEXT) | instid1(VALU_DEP_1)
	v_clz_i32_u32_e32 v164, v163
	v_min_u32_e32 v164, 32, v164
	s_delay_alu instid0(VALU_DEP_1) | instskip(SKIP_1) | instid1(VALU_DEP_2)
	v_subrev_nc_u32_e32 v165, 28, v164
	v_sub_nc_u32_e32 v164, 29, v164
	v_lshlrev_b32_e32 v165, v165, v162
	v_bfe_u32 v162, v162, 3, 4
	s_delay_alu instid0(VALU_DEP_2) | instskip(NEXT) | instid1(VALU_DEP_2)
	v_and_b32_e32 v165, 7, v165
	v_cmp_eq_u32_e32 vcc_lo, 0, v162
	s_delay_alu instid0(VALU_DEP_2) | instskip(NEXT) | instid1(VALU_DEP_1)
	v_dual_cndmask_b32 v162, v162, v164 :: v_dual_cndmask_b32 v163, v163, v165
	v_lshl_add_u32 v162, v162, 23, 0x3b800000
	s_delay_alu instid0(VALU_DEP_2) | instskip(NEXT) | instid1(VALU_DEP_1)
	v_lshlrev_b32_e32 v163, 20, v163
	v_or3_b32 v162, v10, v162, v163
.LBB4_6273:                             ;   in Loop: Header=BB4_5816 Depth=2
	s_or_b32 exec_lo, exec_lo, s23
	s_delay_alu instid0(VALU_DEP_1) | instskip(NEXT) | instid1(VALU_DEP_1)
	v_mul_f32_e32 v10, s22, v162
	v_and_b32_e32 v162, 0x7f800000, v10
	s_delay_alu instid0(VALU_DEP_1)
	v_cmp_ne_u32_e32 vcc_lo, 0x7f800000, v162
	v_mov_b32_e32 v162, 0x8000
	s_and_saveexec_b32 s23, vcc_lo
	s_cbranch_execz .LBB4_6281
; %bb.6274:                             ;   in Loop: Header=BB4_5816 Depth=2
	v_mov_b32_e32 v162, 0
	s_mov_b32 s24, exec_lo
	v_cmpx_ne_u32_e32 0, v10
	s_cbranch_execz .LBB4_6280
; %bb.6275:                             ;   in Loop: Header=BB4_5816 Depth=2
	v_bfe_u32 v162, v10, 23, 8
	s_delay_alu instid0(VALU_DEP_1) | instskip(SKIP_1) | instid1(VALU_DEP_2)
	v_sub_nc_u32_e32 v164, 0x78, v162
	v_cmp_gt_u32_e32 vcc_lo, 0x79, v162
	v_dual_cndmask_b32 v164, 0, v164 :: v_dual_and_b32 v163, 0x7fffff, v10
	s_delay_alu instid0(VALU_DEP_1) | instskip(SKIP_2) | instid1(VALU_DEP_4)
	v_or_b32_e32 v165, 0x800000, v163
	v_cmp_eq_u32_e32 vcc_lo, 0, v162
	v_add_nc_u32_e32 v162, 0xffffff89, v162
	v_cndmask_b32_e64 v164, v164, 0x77, vcc_lo
	s_delay_alu instid0(VALU_DEP_4) | instskip(NEXT) | instid1(VALU_DEP_3)
	v_cndmask_b32_e32 v163, v165, v163, vcc_lo
	v_cndmask_b32_e64 v162, v162, 0xffffff8a, vcc_lo
	s_delay_alu instid0(VALU_DEP_3) | instskip(NEXT) | instid1(VALU_DEP_3)
	v_lshl_add_u32 v165, 0x100000, v164, -1
	v_lshrrev_b32_e32 v166, v164, v163
	v_lshlrev_b32_e64 v176, v164, 0x80000
	s_delay_alu instid0(VALU_DEP_4) | instskip(NEXT) | instid1(VALU_DEP_4)
	v_add_nc_u32_e32 v164, v164, v162
	v_and_b32_e32 v163, v165, v163
	s_delay_alu instid0(VALU_DEP_4) | instskip(NEXT) | instid1(VALU_DEP_2)
	v_bfe_u32 v167, v166, 20, 1
	v_cmp_eq_u32_e64 s10, v163, v176
	s_delay_alu instid0(VALU_DEP_2) | instskip(NEXT) | instid1(VALU_DEP_1)
	v_add_nc_u32_e32 v165, -1, v167
	v_cndmask_b32_e64 v163, 0, v165, s10
	v_lshrrev_b32_e32 v165, 23, v166
	s_mov_b32 s10, exec_lo
	s_delay_alu instid0(VALU_DEP_2) | instskip(NEXT) | instid1(VALU_DEP_2)
	v_add_nc_u32_e32 v163, v163, v166
	v_xor_b32_e32 v165, 1, v165
	s_delay_alu instid0(VALU_DEP_2) | instskip(NEXT) | instid1(VALU_DEP_1)
	v_and_b32_e32 v162, 0xfffff, v163
	v_add_nc_u32_e32 v163, v162, v166
                                        ; implicit-def: $vgpr162
	s_delay_alu instid0(VALU_DEP_3)
	v_cmpx_ne_u32_e64 v164, v165
	s_xor_b32 s10, exec_lo, s10
; %bb.6276:                             ;   in Loop: Header=BB4_5816 Depth=2
	s_delay_alu instid0(VALU_DEP_2) | instskip(SKIP_2) | instid1(VALU_DEP_2)
	v_cmp_lt_u32_e32 vcc_lo, 0xffffff, v163
	v_sub_nc_u32_e32 v162, v164, v165
	v_cndmask_b32_e64 v164, 0, 1, vcc_lo
	v_add_co_ci_u32_e32 v162, vcc_lo, 0, v162, vcc_lo
	s_delay_alu instid0(VALU_DEP_2)
	v_lshrrev_b32_e32 v163, v164, v163
; %bb.6277:                             ;   in Loop: Header=BB4_5816 Depth=2
	s_and_not1_saveexec_b32 s10, s10
; %bb.6278:                             ;   in Loop: Header=BB4_5816 Depth=2
	s_delay_alu instid0(VALU_DEP_1)
	v_bfe_u32 v162, v163, 23, 1
; %bb.6279:                             ;   in Loop: Header=BB4_5816 Depth=2
	s_or_b32 exec_lo, exec_lo, s10
	v_lshrrev_b32_e32 v163, 20, v163
	s_delay_alu instid0(VALU_DEP_2) | instskip(SKIP_2) | instid1(VALU_DEP_2)
	v_cmp_gt_i32_e32 vcc_lo, 16, v162
	v_min_i32_e32 v164, 15, v162
	v_lshrrev_b32_e32 v10, 24, v10
	v_dual_cndmask_b32 v163, 7, v163 :: v_dual_lshlrev_b32 v164, 3, v164
	s_delay_alu instid0(VALU_DEP_2) | instskip(NEXT) | instid1(VALU_DEP_2)
	v_and_b32_e32 v10, 0x80, v10
	v_or_b32_e32 v162, v162, v163
	s_delay_alu instid0(VALU_DEP_3) | instskip(NEXT) | instid1(VALU_DEP_2)
	v_and_b32_e32 v164, 0xf8, v164
	v_cmp_ne_u32_e32 vcc_lo, 0, v162
	v_and_b32_e32 v165, 7, v163
	s_delay_alu instid0(VALU_DEP_1) | instskip(NEXT) | instid1(VALU_DEP_1)
	v_or3_b32 v10, v10, v164, v165
	v_lshlrev_b32_e32 v10, 8, v10
	s_delay_alu instid0(VALU_DEP_1)
	v_cndmask_b32_e32 v162, 0, v10, vcc_lo
.LBB4_6280:                             ;   in Loop: Header=BB4_5816 Depth=2
	s_or_b32 exec_lo, exec_lo, s24
.LBB4_6281:                             ;   in Loop: Header=BB4_5816 Depth=2
	s_delay_alu instid0(SALU_CYCLE_1) | instskip(SKIP_3) | instid1(VALU_DEP_1)
	s_or_b32 exec_lo, exec_lo, s23
	v_lshrrev_b32_e32 v10, 16, v11
	s_mov_b32 s10, 0
	s_mov_b32 s24, exec_lo
                                        ; implicit-def: $sgpr23
	v_and_b32_e32 v164, 0xff, v10
	s_delay_alu instid0(VALU_DEP_1)
	v_cmpx_lt_i16_e64 0x7f, v164
	s_xor_b32 s24, exec_lo, s24
	s_cbranch_execnz .LBB4_6743
; %bb.6282:                             ;   in Loop: Header=BB4_5816 Depth=2
	s_or_saveexec_b32 s24, s24
	v_mov_b32_e32 v163, s23
	s_xor_b32 exec_lo, exec_lo, s24
	s_cbranch_execnz .LBB4_6746
.LBB4_6283:                             ;   in Loop: Header=BB4_5816 Depth=2
	s_or_b32 exec_lo, exec_lo, s24
	s_and_saveexec_b32 s23, s10
	s_cbranch_execz .LBB4_6285
.LBB4_6284:                             ;   in Loop: Header=BB4_5816 Depth=2
	v_bfe_u32 v163, v11, 16, 3
	v_lshlrev_b32_e32 v166, 8, v11
	s_delay_alu instid0(VALU_DEP_2) | instskip(NEXT) | instid1(VALU_DEP_1)
	v_clz_i32_u32_e32 v164, v163
	v_min_u32_e32 v164, 32, v164
	s_delay_alu instid0(VALU_DEP_1) | instskip(SKIP_1) | instid1(VALU_DEP_2)
	v_subrev_nc_u32_e32 v165, 28, v164
	v_sub_nc_u32_e32 v164, 29, v164
	v_lshlrev_b32_e32 v10, v165, v10
	v_bfe_u32 v165, v11, 19, 4
	s_delay_alu instid0(VALU_DEP_2) | instskip(NEXT) | instid1(VALU_DEP_2)
	v_and_b32_e32 v10, 7, v10
	v_cmp_eq_u32_e32 vcc_lo, 0, v165
	v_cndmask_b32_e32 v164, v165, v164, vcc_lo
	s_delay_alu instid0(VALU_DEP_3) | instskip(SKIP_1) | instid1(VALU_DEP_3)
	v_cndmask_b32_e32 v10, v163, v10, vcc_lo
	v_and_b32_e32 v163, 0x80000000, v166
	v_lshl_add_u32 v164, v164, 23, 0x3b800000
	s_delay_alu instid0(VALU_DEP_3) | instskip(NEXT) | instid1(VALU_DEP_1)
	v_lshlrev_b32_e32 v10, 20, v10
	v_or3_b32 v163, v163, v164, v10
.LBB4_6285:                             ;   in Loop: Header=BB4_5816 Depth=2
	s_or_b32 exec_lo, exec_lo, s23
	s_delay_alu instid0(VALU_DEP_1) | instskip(NEXT) | instid1(VALU_DEP_1)
	v_mul_f32_e32 v10, s22, v163
	v_and_b32_e32 v163, 0x7f800000, v10
	s_delay_alu instid0(VALU_DEP_1)
	v_cmp_ne_u32_e32 vcc_lo, 0x7f800000, v163
	v_mov_b32_e32 v163, 0x80
	s_and_saveexec_b32 s23, vcc_lo
	s_cbranch_execz .LBB4_6293
; %bb.6286:                             ;   in Loop: Header=BB4_5816 Depth=2
	v_mov_b32_e32 v163, 0
	s_mov_b32 s24, exec_lo
	v_cmpx_ne_u32_e32 0, v10
	s_cbranch_execz .LBB4_6292
; %bb.6287:                             ;   in Loop: Header=BB4_5816 Depth=2
	v_bfe_u32 v163, v10, 23, 8
	s_delay_alu instid0(VALU_DEP_1) | instskip(SKIP_1) | instid1(VALU_DEP_2)
	v_sub_nc_u32_e32 v165, 0x78, v163
	v_cmp_gt_u32_e32 vcc_lo, 0x79, v163
	v_dual_cndmask_b32 v165, 0, v165 :: v_dual_and_b32 v164, 0x7fffff, v10
	s_delay_alu instid0(VALU_DEP_1) | instskip(SKIP_2) | instid1(VALU_DEP_4)
	v_or_b32_e32 v166, 0x800000, v164
	v_cmp_eq_u32_e32 vcc_lo, 0, v163
	v_add_nc_u32_e32 v163, 0xffffff89, v163
	v_cndmask_b32_e64 v165, v165, 0x77, vcc_lo
	s_delay_alu instid0(VALU_DEP_4) | instskip(NEXT) | instid1(VALU_DEP_3)
	v_cndmask_b32_e32 v164, v166, v164, vcc_lo
	v_cndmask_b32_e64 v163, v163, 0xffffff8a, vcc_lo
	s_delay_alu instid0(VALU_DEP_3) | instskip(NEXT) | instid1(VALU_DEP_3)
	v_lshl_add_u32 v166, 0x100000, v165, -1
	v_lshrrev_b32_e32 v167, v165, v164
	v_lshlrev_b32_e64 v177, v165, 0x80000
	s_delay_alu instid0(VALU_DEP_4) | instskip(NEXT) | instid1(VALU_DEP_4)
	v_add_nc_u32_e32 v165, v165, v163
	v_and_b32_e32 v164, v166, v164
	s_delay_alu instid0(VALU_DEP_4) | instskip(NEXT) | instid1(VALU_DEP_2)
	v_bfe_u32 v176, v167, 20, 1
	v_cmp_eq_u32_e64 s10, v164, v177
	s_delay_alu instid0(VALU_DEP_2) | instskip(NEXT) | instid1(VALU_DEP_1)
	v_add_nc_u32_e32 v166, -1, v176
	v_cndmask_b32_e64 v164, 0, v166, s10
	v_lshrrev_b32_e32 v166, 23, v167
	s_mov_b32 s10, exec_lo
	s_delay_alu instid0(VALU_DEP_2) | instskip(NEXT) | instid1(VALU_DEP_2)
	v_add_nc_u32_e32 v164, v164, v167
	v_xor_b32_e32 v166, 1, v166
	s_delay_alu instid0(VALU_DEP_2) | instskip(NEXT) | instid1(VALU_DEP_1)
	v_and_b32_e32 v163, 0xfffff, v164
	v_add_nc_u32_e32 v164, v163, v167
                                        ; implicit-def: $vgpr163
	s_delay_alu instid0(VALU_DEP_3)
	v_cmpx_ne_u32_e64 v165, v166
	s_xor_b32 s10, exec_lo, s10
; %bb.6288:                             ;   in Loop: Header=BB4_5816 Depth=2
	s_delay_alu instid0(VALU_DEP_2) | instskip(SKIP_2) | instid1(VALU_DEP_2)
	v_cmp_lt_u32_e32 vcc_lo, 0xffffff, v164
	v_sub_nc_u32_e32 v163, v165, v166
	v_cndmask_b32_e64 v165, 0, 1, vcc_lo
	v_add_co_ci_u32_e32 v163, vcc_lo, 0, v163, vcc_lo
	s_delay_alu instid0(VALU_DEP_2)
	v_lshrrev_b32_e32 v164, v165, v164
; %bb.6289:                             ;   in Loop: Header=BB4_5816 Depth=2
	s_and_not1_saveexec_b32 s10, s10
; %bb.6290:                             ;   in Loop: Header=BB4_5816 Depth=2
	s_delay_alu instid0(VALU_DEP_1)
	v_bfe_u32 v163, v164, 23, 1
; %bb.6291:                             ;   in Loop: Header=BB4_5816 Depth=2
	s_or_b32 exec_lo, exec_lo, s10
	v_lshrrev_b32_e32 v164, 20, v164
	s_delay_alu instid0(VALU_DEP_2) | instskip(SKIP_2) | instid1(VALU_DEP_2)
	v_cmp_gt_i32_e32 vcc_lo, 16, v163
	v_min_i32_e32 v165, 15, v163
	v_lshrrev_b32_e32 v10, 24, v10
	v_dual_cndmask_b32 v164, 7, v164 :: v_dual_lshlrev_b32 v165, 3, v165
	s_delay_alu instid0(VALU_DEP_2) | instskip(NEXT) | instid1(VALU_DEP_2)
	v_and_b32_e32 v10, 0x80, v10
	v_or_b32_e32 v163, v163, v164
	s_delay_alu instid0(VALU_DEP_3) | instskip(NEXT) | instid1(VALU_DEP_2)
	v_and_b32_e32 v165, 0xf8, v165
	v_cmp_ne_u32_e32 vcc_lo, 0, v163
	v_and_b32_e32 v166, 7, v164
	s_delay_alu instid0(VALU_DEP_1) | instskip(NEXT) | instid1(VALU_DEP_1)
	v_or3_b32 v10, v165, v10, v166
	v_cndmask_b32_e32 v163, 0, v10, vcc_lo
.LBB4_6292:                             ;   in Loop: Header=BB4_5816 Depth=2
	s_or_b32 exec_lo, exec_lo, s24
.LBB4_6293:                             ;   in Loop: Header=BB4_5816 Depth=2
	s_delay_alu instid0(SALU_CYCLE_1) | instskip(SKIP_3) | instid1(VALU_DEP_1)
	s_or_b32 exec_lo, exec_lo, s23
	v_lshrrev_b32_e32 v10, 24, v11
	s_mov_b32 s10, 0
	s_mov_b32 s24, exec_lo
                                        ; implicit-def: $sgpr23
	v_cmpx_lt_i16_e32 0x7f, v10
	s_xor_b32 s24, exec_lo, s24
	s_cbranch_execnz .LBB4_6747
; %bb.6294:                             ;   in Loop: Header=BB4_5816 Depth=2
	s_or_saveexec_b32 s24, s24
	v_mov_b32_e32 v164, s23
	s_xor_b32 exec_lo, exec_lo, s24
	s_cbranch_execnz .LBB4_6750
.LBB4_6295:                             ;   in Loop: Header=BB4_5816 Depth=2
	s_or_b32 exec_lo, exec_lo, s24
	s_and_saveexec_b32 s23, s10
	s_cbranch_execz .LBB4_6297
.LBB4_6296:                             ;   in Loop: Header=BB4_5816 Depth=2
	v_bfe_u32 v164, v11, 24, 3
	s_delay_alu instid0(VALU_DEP_1) | instskip(NEXT) | instid1(VALU_DEP_1)
	v_clz_i32_u32_e32 v165, v164
	v_min_u32_e32 v165, 32, v165
	s_delay_alu instid0(VALU_DEP_1) | instskip(SKIP_1) | instid1(VALU_DEP_2)
	v_subrev_nc_u32_e32 v166, 28, v165
	v_sub_nc_u32_e32 v165, 29, v165
	v_lshlrev_b32_e32 v10, v166, v10
	v_bfe_u32 v166, v11, 27, 4
	v_and_b32_e32 v11, 0x80000000, v11
	s_delay_alu instid0(VALU_DEP_2) | instskip(NEXT) | instid1(VALU_DEP_4)
	v_cmp_eq_u32_e32 vcc_lo, 0, v166
	v_dual_cndmask_b32 v165, v166, v165 :: v_dual_and_b32 v10, 7, v10
	s_delay_alu instid0(VALU_DEP_1) | instskip(NEXT) | instid1(VALU_DEP_2)
	v_cndmask_b32_e32 v10, v164, v10, vcc_lo
	v_lshl_add_u32 v164, v165, 23, 0x3b800000
	s_delay_alu instid0(VALU_DEP_2) | instskip(NEXT) | instid1(VALU_DEP_1)
	v_lshlrev_b32_e32 v10, 20, v10
	v_or3_b32 v164, v11, v164, v10
.LBB4_6297:                             ;   in Loop: Header=BB4_5816 Depth=2
	s_or_b32 exec_lo, exec_lo, s23
	s_delay_alu instid0(VALU_DEP_1) | instskip(SKIP_2) | instid1(VALU_DEP_2)
	v_mul_f32_e32 v10, s22, v164
	v_mov_b32_e32 v164, 0x8000
	s_mov_b32 s23, exec_lo
	v_and_b32_e32 v11, 0x7f800000, v10
	s_delay_alu instid0(VALU_DEP_1)
	v_cmpx_ne_u32_e32 0x7f800000, v11
	s_cbranch_execz .LBB4_6305
; %bb.6298:                             ;   in Loop: Header=BB4_5816 Depth=2
	v_mov_b32_e32 v164, 0
	s_mov_b32 s24, exec_lo
	v_cmpx_ne_u32_e32 0, v10
	s_cbranch_execz .LBB4_6304
; %bb.6299:                             ;   in Loop: Header=BB4_5816 Depth=2
	v_bfe_u32 v11, v10, 23, 8
	s_delay_alu instid0(VALU_DEP_1) | instskip(SKIP_1) | instid1(VALU_DEP_2)
	v_sub_nc_u32_e32 v165, 0x78, v11
	v_cmp_gt_u32_e32 vcc_lo, 0x79, v11
	v_dual_cndmask_b32 v165, 0, v165 :: v_dual_and_b32 v164, 0x7fffff, v10
	s_delay_alu instid0(VALU_DEP_1) | instskip(SKIP_2) | instid1(VALU_DEP_4)
	v_or_b32_e32 v166, 0x800000, v164
	v_cmp_eq_u32_e32 vcc_lo, 0, v11
	v_add_nc_u32_e32 v11, 0xffffff89, v11
	v_cndmask_b32_e64 v165, v165, 0x77, vcc_lo
	s_delay_alu instid0(VALU_DEP_4) | instskip(NEXT) | instid1(VALU_DEP_3)
	v_cndmask_b32_e32 v164, v166, v164, vcc_lo
	v_cndmask_b32_e64 v11, v11, 0xffffff8a, vcc_lo
	s_delay_alu instid0(VALU_DEP_3) | instskip(NEXT) | instid1(VALU_DEP_3)
	v_lshl_add_u32 v166, 0x100000, v165, -1
	v_lshrrev_b32_e32 v167, v165, v164
	v_lshlrev_b32_e64 v177, v165, 0x80000
	s_delay_alu instid0(VALU_DEP_4) | instskip(NEXT) | instid1(VALU_DEP_4)
	v_add_nc_u32_e32 v165, v165, v11
	v_and_b32_e32 v164, v166, v164
	s_delay_alu instid0(VALU_DEP_4) | instskip(NEXT) | instid1(VALU_DEP_2)
	v_bfe_u32 v176, v167, 20, 1
	v_cmp_eq_u32_e64 s10, v164, v177
	s_delay_alu instid0(VALU_DEP_2) | instskip(NEXT) | instid1(VALU_DEP_1)
	v_add_nc_u32_e32 v166, -1, v176
	v_cndmask_b32_e64 v164, 0, v166, s10
	v_lshrrev_b32_e32 v166, 23, v167
	s_mov_b32 s10, exec_lo
	s_delay_alu instid0(VALU_DEP_2) | instskip(NEXT) | instid1(VALU_DEP_2)
	v_add_nc_u32_e32 v164, v164, v167
	v_xor_b32_e32 v166, 1, v166
	s_delay_alu instid0(VALU_DEP_2) | instskip(NEXT) | instid1(VALU_DEP_1)
	v_and_b32_e32 v11, 0xfffff, v164
	v_add_nc_u32_e32 v164, v11, v167
                                        ; implicit-def: $vgpr11
	s_delay_alu instid0(VALU_DEP_3)
	v_cmpx_ne_u32_e64 v165, v166
	s_xor_b32 s10, exec_lo, s10
; %bb.6300:                             ;   in Loop: Header=BB4_5816 Depth=2
	s_delay_alu instid0(VALU_DEP_2) | instskip(SKIP_2) | instid1(VALU_DEP_2)
	v_cmp_lt_u32_e32 vcc_lo, 0xffffff, v164
	v_sub_nc_u32_e32 v11, v165, v166
	v_cndmask_b32_e64 v165, 0, 1, vcc_lo
	v_add_co_ci_u32_e32 v11, vcc_lo, 0, v11, vcc_lo
	s_delay_alu instid0(VALU_DEP_2)
	v_lshrrev_b32_e32 v164, v165, v164
; %bb.6301:                             ;   in Loop: Header=BB4_5816 Depth=2
	s_and_not1_saveexec_b32 s10, s10
; %bb.6302:                             ;   in Loop: Header=BB4_5816 Depth=2
	s_delay_alu instid0(VALU_DEP_1)
	v_bfe_u32 v11, v164, 23, 1
; %bb.6303:                             ;   in Loop: Header=BB4_5816 Depth=2
	s_or_b32 exec_lo, exec_lo, s10
	v_lshrrev_b32_e32 v164, 20, v164
	s_delay_alu instid0(VALU_DEP_2) | instskip(SKIP_2) | instid1(VALU_DEP_2)
	v_cmp_gt_i32_e32 vcc_lo, 16, v11
	v_min_i32_e32 v165, 15, v11
	v_lshrrev_b32_e32 v10, 24, v10
	v_dual_cndmask_b32 v164, 7, v164 :: v_dual_lshlrev_b32 v165, 3, v165
	s_delay_alu instid0(VALU_DEP_2) | instskip(NEXT) | instid1(VALU_DEP_2)
	v_and_b32_e32 v10, 0x80, v10
	v_or_b32_e32 v11, v11, v164
	v_and_b32_e32 v166, 7, v164
	s_delay_alu instid0(VALU_DEP_2) | instskip(SKIP_1) | instid1(VALU_DEP_1)
	v_cmp_ne_u32_e32 vcc_lo, 0, v11
	v_and_b32_e32 v165, 0xf8, v165
	v_or3_b32 v10, v10, v165, v166
	s_delay_alu instid0(VALU_DEP_1) | instskip(NEXT) | instid1(VALU_DEP_1)
	v_lshlrev_b32_e32 v10, 8, v10
	v_cndmask_b32_e32 v164, 0, v10, vcc_lo
.LBB4_6304:                             ;   in Loop: Header=BB4_5816 Depth=2
	s_or_b32 exec_lo, exec_lo, s24
.LBB4_6305:                             ;   in Loop: Header=BB4_5816 Depth=2
	s_delay_alu instid0(SALU_CYCLE_1) | instskip(SKIP_3) | instid1(VALU_DEP_1)
	s_or_b32 exec_lo, exec_lo, s23
	v_and_b32_e32 v11, 0xff, v12
	s_mov_b32 s10, 0
	s_mov_b32 s24, exec_lo
                                        ; implicit-def: $sgpr23
	v_cmpx_lt_i16_e32 0x7f, v11
	s_xor_b32 s24, exec_lo, s24
	s_cbranch_execnz .LBB4_6751
; %bb.6306:                             ;   in Loop: Header=BB4_5816 Depth=2
	s_or_saveexec_b32 s24, s24
	v_mov_b32_e32 v10, s23
	s_xor_b32 exec_lo, exec_lo, s24
	s_cbranch_execnz .LBB4_6754
.LBB4_6307:                             ;   in Loop: Header=BB4_5816 Depth=2
	s_or_b32 exec_lo, exec_lo, s24
	s_and_saveexec_b32 s23, s10
	s_cbranch_execz .LBB4_6309
.LBB4_6308:                             ;   in Loop: Header=BB4_5816 Depth=2
	v_bfe_u32 v166, v12, 3, 4
	s_delay_alu instid0(VALU_DEP_1) | instskip(SKIP_1) | instid1(VALU_DEP_1)
	v_cmp_eq_u32_e32 vcc_lo, 0, v166
	v_and_b32_e32 v10, 7, v12
	v_clz_i32_u32_e32 v11, v10
	s_delay_alu instid0(VALU_DEP_1) | instskip(NEXT) | instid1(VALU_DEP_1)
	v_min_u32_e32 v11, 32, v11
	v_subrev_nc_u32_e32 v165, 28, v11
	v_sub_nc_u32_e32 v11, 29, v11
	s_delay_alu instid0(VALU_DEP_2) | instskip(NEXT) | instid1(VALU_DEP_2)
	v_lshlrev_b32_e32 v165, v165, v12
	v_cndmask_b32_e32 v11, v166, v11, vcc_lo
	s_delay_alu instid0(VALU_DEP_2) | instskip(SKIP_1) | instid1(VALU_DEP_3)
	v_and_b32_e32 v165, 7, v165
	v_lshlrev_b32_e32 v167, 24, v12
	v_lshl_add_u32 v11, v11, 23, 0x3b800000
	s_delay_alu instid0(VALU_DEP_2) | instskip(NEXT) | instid1(VALU_DEP_1)
	v_dual_cndmask_b32 v10, v10, v165 :: v_dual_and_b32 v165, 0x80000000, v167
	v_lshlrev_b32_e32 v10, 20, v10
	s_delay_alu instid0(VALU_DEP_1)
	v_or3_b32 v10, v165, v11, v10
.LBB4_6309:                             ;   in Loop: Header=BB4_5816 Depth=2
	s_or_b32 exec_lo, exec_lo, s23
	s_delay_alu instid0(VALU_DEP_1) | instskip(SKIP_1) | instid1(VALU_DEP_1)
	v_dual_mul_f32 v10, s22, v10 :: v_dual_mov_b32 v165, 0x80
	s_mov_b32 s23, exec_lo
	v_and_b32_e32 v11, 0x7f800000, v10
	s_delay_alu instid0(VALU_DEP_1)
	v_cmpx_ne_u32_e32 0x7f800000, v11
	s_cbranch_execz .LBB4_6317
; %bb.6310:                             ;   in Loop: Header=BB4_5816 Depth=2
	v_mov_b32_e32 v165, 0
	s_mov_b32 s24, exec_lo
	v_cmpx_ne_u32_e32 0, v10
	s_cbranch_execz .LBB4_6316
; %bb.6311:                             ;   in Loop: Header=BB4_5816 Depth=2
	v_bfe_u32 v11, v10, 23, 8
	v_and_b32_e32 v165, 0x7fffff, v10
	s_delay_alu instid0(VALU_DEP_2) | instskip(SKIP_1) | instid1(VALU_DEP_3)
	v_sub_nc_u32_e32 v166, 0x78, v11
	v_cmp_gt_u32_e32 vcc_lo, 0x79, v11
	v_or_b32_e32 v167, 0x800000, v165
	s_delay_alu instid0(VALU_DEP_3) | instskip(SKIP_2) | instid1(VALU_DEP_4)
	v_cndmask_b32_e32 v166, 0, v166, vcc_lo
	v_cmp_eq_u32_e32 vcc_lo, 0, v11
	v_add_nc_u32_e32 v11, 0xffffff89, v11
	v_cndmask_b32_e32 v165, v167, v165, vcc_lo
	s_delay_alu instid0(VALU_DEP_4) | instskip(NEXT) | instid1(VALU_DEP_3)
	v_cndmask_b32_e64 v166, v166, 0x77, vcc_lo
	v_cndmask_b32_e64 v11, v11, 0xffffff8a, vcc_lo
	s_delay_alu instid0(VALU_DEP_2) | instskip(SKIP_2) | instid1(VALU_DEP_4)
	v_lshrrev_b32_e32 v176, v166, v165
	v_lshl_add_u32 v167, 0x100000, v166, -1
	v_lshlrev_b32_e64 v178, v166, 0x80000
	v_add_nc_u32_e32 v166, v166, v11
	s_delay_alu instid0(VALU_DEP_4) | instskip(NEXT) | instid1(VALU_DEP_4)
	v_bfe_u32 v177, v176, 20, 1
	v_and_b32_e32 v165, v167, v165
	s_delay_alu instid0(VALU_DEP_2) | instskip(NEXT) | instid1(VALU_DEP_2)
	v_add_nc_u32_e32 v167, -1, v177
	v_cmp_eq_u32_e64 s10, v165, v178
	s_delay_alu instid0(VALU_DEP_1) | instskip(SKIP_2) | instid1(VALU_DEP_2)
	v_cndmask_b32_e64 v165, 0, v167, s10
	v_lshrrev_b32_e32 v167, 23, v176
	s_mov_b32 s10, exec_lo
	v_add_nc_u32_e32 v165, v165, v176
	s_delay_alu instid0(VALU_DEP_2) | instskip(NEXT) | instid1(VALU_DEP_2)
	v_xor_b32_e32 v167, 1, v167
	v_and_b32_e32 v11, 0xfffff, v165
	s_delay_alu instid0(VALU_DEP_1) | instskip(NEXT) | instid1(VALU_DEP_3)
	v_add_nc_u32_e32 v165, v11, v176
                                        ; implicit-def: $vgpr11
	v_cmpx_ne_u32_e64 v166, v167
	s_xor_b32 s10, exec_lo, s10
; %bb.6312:                             ;   in Loop: Header=BB4_5816 Depth=2
	s_delay_alu instid0(VALU_DEP_2) | instskip(SKIP_2) | instid1(VALU_DEP_2)
	v_cmp_lt_u32_e32 vcc_lo, 0xffffff, v165
	v_sub_nc_u32_e32 v11, v166, v167
	v_cndmask_b32_e64 v166, 0, 1, vcc_lo
	v_add_co_ci_u32_e32 v11, vcc_lo, 0, v11, vcc_lo
	s_delay_alu instid0(VALU_DEP_2)
	v_lshrrev_b32_e32 v165, v166, v165
; %bb.6313:                             ;   in Loop: Header=BB4_5816 Depth=2
	s_and_not1_saveexec_b32 s10, s10
; %bb.6314:                             ;   in Loop: Header=BB4_5816 Depth=2
	s_delay_alu instid0(VALU_DEP_1)
	v_bfe_u32 v11, v165, 23, 1
; %bb.6315:                             ;   in Loop: Header=BB4_5816 Depth=2
	s_or_b32 exec_lo, exec_lo, s10
	v_lshrrev_b32_e32 v165, 20, v165
	s_delay_alu instid0(VALU_DEP_2) | instskip(SKIP_2) | instid1(VALU_DEP_2)
	v_cmp_gt_i32_e32 vcc_lo, 16, v11
	v_lshrrev_b32_e32 v10, 24, v10
	v_min_i32_e32 v166, 15, v11
	v_dual_cndmask_b32 v165, 7, v165 :: v_dual_and_b32 v10, 0x80, v10
	s_delay_alu instid0(VALU_DEP_2) | instskip(NEXT) | instid1(VALU_DEP_2)
	v_lshlrev_b32_e32 v166, 3, v166
	v_and_b32_e32 v167, 7, v165
	v_or_b32_e32 v11, v11, v165
	s_delay_alu instid0(VALU_DEP_2) | instskip(NEXT) | instid1(VALU_DEP_2)
	v_or3_b32 v10, v166, v10, v167
	v_cmp_ne_u32_e32 vcc_lo, 0, v11
	s_delay_alu instid0(VALU_DEP_2)
	v_cndmask_b32_e32 v165, 0, v10, vcc_lo
.LBB4_6316:                             ;   in Loop: Header=BB4_5816 Depth=2
	s_or_b32 exec_lo, exec_lo, s24
.LBB4_6317:                             ;   in Loop: Header=BB4_5816 Depth=2
	s_delay_alu instid0(SALU_CYCLE_1) | instskip(SKIP_3) | instid1(VALU_DEP_1)
	s_or_b32 exec_lo, exec_lo, s23
	v_lshrrev_b16 v10, 8, v12
	s_mov_b32 s10, 0
	s_mov_b32 s24, exec_lo
                                        ; implicit-def: $sgpr23
	v_cmpx_lt_i16_e32 0x7f, v10
	s_xor_b32 s24, exec_lo, s24
	s_cbranch_execnz .LBB4_6755
; %bb.6318:                             ;   in Loop: Header=BB4_5816 Depth=2
	s_or_saveexec_b32 s24, s24
	v_mov_b32_e32 v11, s23
	s_xor_b32 exec_lo, exec_lo, s24
	s_cbranch_execnz .LBB4_6758
.LBB4_6319:                             ;   in Loop: Header=BB4_5816 Depth=2
	s_or_b32 exec_lo, exec_lo, s24
	s_and_saveexec_b32 s23, s10
	s_cbranch_execz .LBB4_6321
.LBB4_6320:                             ;   in Loop: Header=BB4_5816 Depth=2
	v_and_b32_e32 v11, 0xffff, v10
	v_lshlrev_b32_e32 v10, 24, v10
	s_delay_alu instid0(VALU_DEP_2) | instskip(NEXT) | instid1(VALU_DEP_2)
	v_and_b32_e32 v166, 7, v11
	v_and_b32_e32 v10, 0x80000000, v10
	s_delay_alu instid0(VALU_DEP_2) | instskip(NEXT) | instid1(VALU_DEP_1)
	v_clz_i32_u32_e32 v167, v166
	v_min_u32_e32 v167, 32, v167
	s_delay_alu instid0(VALU_DEP_1) | instskip(SKIP_1) | instid1(VALU_DEP_2)
	v_subrev_nc_u32_e32 v176, 28, v167
	v_sub_nc_u32_e32 v167, 29, v167
	v_lshlrev_b32_e32 v176, v176, v11
	v_bfe_u32 v11, v11, 3, 4
	s_delay_alu instid0(VALU_DEP_1) | instskip(NEXT) | instid1(VALU_DEP_3)
	v_cmp_eq_u32_e32 vcc_lo, 0, v11
	v_dual_cndmask_b32 v11, v11, v167 :: v_dual_and_b32 v176, 7, v176
	s_delay_alu instid0(VALU_DEP_1) | instskip(NEXT) | instid1(VALU_DEP_2)
	v_cndmask_b32_e32 v166, v166, v176, vcc_lo
	v_lshl_add_u32 v11, v11, 23, 0x3b800000
	s_delay_alu instid0(VALU_DEP_2) | instskip(NEXT) | instid1(VALU_DEP_1)
	v_lshlrev_b32_e32 v166, 20, v166
	v_or3_b32 v11, v10, v11, v166
.LBB4_6321:                             ;   in Loop: Header=BB4_5816 Depth=2
	s_or_b32 exec_lo, exec_lo, s23
	s_delay_alu instid0(VALU_DEP_1) | instskip(SKIP_2) | instid1(VALU_DEP_2)
	v_mul_f32_e32 v10, s22, v11
	v_mov_b32_e32 v166, 0x80
	s_mov_b32 s23, exec_lo
	v_and_b32_e32 v11, 0x7f800000, v10
	s_delay_alu instid0(VALU_DEP_1)
	v_cmpx_ne_u32_e32 0x7f800000, v11
	s_cbranch_execz .LBB4_6329
; %bb.6322:                             ;   in Loop: Header=BB4_5816 Depth=2
	v_mov_b32_e32 v166, 0
	s_mov_b32 s24, exec_lo
	v_cmpx_ne_u32_e32 0, v10
	s_cbranch_execz .LBB4_6328
; %bb.6323:                             ;   in Loop: Header=BB4_5816 Depth=2
	v_bfe_u32 v11, v10, 23, 8
	s_delay_alu instid0(VALU_DEP_1) | instskip(SKIP_1) | instid1(VALU_DEP_2)
	v_sub_nc_u32_e32 v167, 0x78, v11
	v_cmp_gt_u32_e32 vcc_lo, 0x79, v11
	v_dual_cndmask_b32 v167, 0, v167 :: v_dual_and_b32 v166, 0x7fffff, v10
	s_delay_alu instid0(VALU_DEP_1) | instskip(SKIP_2) | instid1(VALU_DEP_4)
	v_or_b32_e32 v176, 0x800000, v166
	v_cmp_eq_u32_e32 vcc_lo, 0, v11
	v_add_nc_u32_e32 v11, 0xffffff89, v11
	v_cndmask_b32_e64 v167, v167, 0x77, vcc_lo
	s_delay_alu instid0(VALU_DEP_4) | instskip(NEXT) | instid1(VALU_DEP_3)
	v_cndmask_b32_e32 v166, v176, v166, vcc_lo
	v_cndmask_b32_e64 v11, v11, 0xffffff8a, vcc_lo
	s_delay_alu instid0(VALU_DEP_3) | instskip(NEXT) | instid1(VALU_DEP_3)
	v_lshl_add_u32 v176, 0x100000, v167, -1
	v_lshrrev_b32_e32 v177, v167, v166
	v_lshlrev_b32_e64 v179, v167, 0x80000
	s_delay_alu instid0(VALU_DEP_4) | instskip(NEXT) | instid1(VALU_DEP_4)
	v_add_nc_u32_e32 v167, v167, v11
	v_and_b32_e32 v166, v176, v166
	s_delay_alu instid0(VALU_DEP_4) | instskip(NEXT) | instid1(VALU_DEP_2)
	v_bfe_u32 v178, v177, 20, 1
	v_cmp_eq_u32_e64 s10, v166, v179
	s_delay_alu instid0(VALU_DEP_2) | instskip(NEXT) | instid1(VALU_DEP_1)
	v_add_nc_u32_e32 v176, -1, v178
	v_cndmask_b32_e64 v166, 0, v176, s10
	v_lshrrev_b32_e32 v176, 23, v177
	s_mov_b32 s10, exec_lo
	s_delay_alu instid0(VALU_DEP_2) | instskip(NEXT) | instid1(VALU_DEP_2)
	v_add_nc_u32_e32 v166, v166, v177
	v_xor_b32_e32 v176, 1, v176
	s_delay_alu instid0(VALU_DEP_2) | instskip(NEXT) | instid1(VALU_DEP_1)
	v_and_b32_e32 v11, 0xfffff, v166
	v_add_nc_u32_e32 v166, v11, v177
                                        ; implicit-def: $vgpr11
	s_delay_alu instid0(VALU_DEP_3)
	v_cmpx_ne_u32_e64 v167, v176
	s_xor_b32 s10, exec_lo, s10
; %bb.6324:                             ;   in Loop: Header=BB4_5816 Depth=2
	s_delay_alu instid0(VALU_DEP_2) | instskip(SKIP_2) | instid1(VALU_DEP_2)
	v_cmp_lt_u32_e32 vcc_lo, 0xffffff, v166
	v_sub_nc_u32_e32 v11, v167, v176
	v_cndmask_b32_e64 v167, 0, 1, vcc_lo
	v_add_co_ci_u32_e32 v11, vcc_lo, 0, v11, vcc_lo
	s_delay_alu instid0(VALU_DEP_2)
	v_lshrrev_b32_e32 v166, v167, v166
; %bb.6325:                             ;   in Loop: Header=BB4_5816 Depth=2
	s_and_not1_saveexec_b32 s10, s10
; %bb.6326:                             ;   in Loop: Header=BB4_5816 Depth=2
	s_delay_alu instid0(VALU_DEP_1)
	v_bfe_u32 v11, v166, 23, 1
; %bb.6327:                             ;   in Loop: Header=BB4_5816 Depth=2
	s_or_b32 exec_lo, exec_lo, s10
	v_lshrrev_b32_e32 v166, 20, v166
	s_delay_alu instid0(VALU_DEP_2) | instskip(SKIP_2) | instid1(VALU_DEP_4)
	v_cmp_gt_i32_e32 vcc_lo, 16, v11
	v_lshrrev_b32_e32 v10, 24, v10
	v_min_i32_e32 v167, 15, v11
	v_cndmask_b32_e32 v166, 7, v166, vcc_lo
	s_delay_alu instid0(VALU_DEP_3) | instskip(NEXT) | instid1(VALU_DEP_3)
	v_and_b32_e32 v10, 0x80, v10
	v_lshlrev_b32_e32 v167, 3, v167
	s_delay_alu instid0(VALU_DEP_3) | instskip(SKIP_1) | instid1(VALU_DEP_2)
	v_and_b32_e32 v176, 7, v166
	v_or_b32_e32 v11, v11, v166
	v_or3_b32 v10, v167, v10, v176
	s_delay_alu instid0(VALU_DEP_2) | instskip(NEXT) | instid1(VALU_DEP_2)
	v_cmp_ne_u32_e32 vcc_lo, 0, v11
	v_cndmask_b32_e32 v166, 0, v10, vcc_lo
.LBB4_6328:                             ;   in Loop: Header=BB4_5816 Depth=2
	s_or_b32 exec_lo, exec_lo, s24
.LBB4_6329:                             ;   in Loop: Header=BB4_5816 Depth=2
	s_delay_alu instid0(SALU_CYCLE_1) | instskip(SKIP_3) | instid1(VALU_DEP_1)
	s_or_b32 exec_lo, exec_lo, s23
	v_lshrrev_b32_e32 v10, 16, v12
	s_mov_b32 s10, 0
	s_mov_b32 s24, exec_lo
                                        ; implicit-def: $sgpr23
	v_and_b32_e32 v167, 0xff, v10
	s_delay_alu instid0(VALU_DEP_1)
	v_cmpx_lt_i16_e64 0x7f, v167
	s_xor_b32 s24, exec_lo, s24
	s_cbranch_execnz .LBB4_6759
; %bb.6330:                             ;   in Loop: Header=BB4_5816 Depth=2
	s_or_saveexec_b32 s24, s24
	v_mov_b32_e32 v11, s23
	s_xor_b32 exec_lo, exec_lo, s24
	s_cbranch_execnz .LBB4_6762
.LBB4_6331:                             ;   in Loop: Header=BB4_5816 Depth=2
	s_or_b32 exec_lo, exec_lo, s24
	s_and_saveexec_b32 s23, s10
	s_cbranch_execz .LBB4_6333
.LBB4_6332:                             ;   in Loop: Header=BB4_5816 Depth=2
	v_bfe_u32 v11, v12, 16, 3
	s_delay_alu instid0(VALU_DEP_1) | instskip(NEXT) | instid1(VALU_DEP_1)
	v_clz_i32_u32_e32 v167, v11
	v_min_u32_e32 v167, 32, v167
	s_delay_alu instid0(VALU_DEP_1) | instskip(SKIP_1) | instid1(VALU_DEP_2)
	v_subrev_nc_u32_e32 v176, 28, v167
	v_sub_nc_u32_e32 v167, 29, v167
	v_lshlrev_b32_e32 v10, v176, v10
	v_bfe_u32 v176, v12, 19, 4
	s_delay_alu instid0(VALU_DEP_1) | instskip(NEXT) | instid1(VALU_DEP_3)
	v_cmp_eq_u32_e32 vcc_lo, 0, v176
	v_dual_cndmask_b32 v167, v176, v167 :: v_dual_and_b32 v10, 7, v10
	s_delay_alu instid0(VALU_DEP_1) | instskip(NEXT) | instid1(VALU_DEP_2)
	v_dual_cndmask_b32 v10, v11, v10 :: v_dual_lshlrev_b32 v177, 8, v12
	v_lshl_add_u32 v167, v167, 23, 0x3b800000
	s_delay_alu instid0(VALU_DEP_2) | instskip(NEXT) | instid1(VALU_DEP_3)
	v_and_b32_e32 v11, 0x80000000, v177
	v_lshlrev_b32_e32 v10, 20, v10
	s_delay_alu instid0(VALU_DEP_1)
	v_or3_b32 v11, v11, v167, v10
.LBB4_6333:                             ;   in Loop: Header=BB4_5816 Depth=2
	s_or_b32 exec_lo, exec_lo, s23
	s_delay_alu instid0(VALU_DEP_1) | instskip(SKIP_1) | instid1(VALU_DEP_1)
	v_dual_mul_f32 v10, s22, v11 :: v_dual_mov_b32 v167, 0x80
	s_mov_b32 s23, exec_lo
	v_and_b32_e32 v11, 0x7f800000, v10
	s_delay_alu instid0(VALU_DEP_1)
	v_cmpx_ne_u32_e32 0x7f800000, v11
	s_cbranch_execz .LBB4_6341
; %bb.6334:                             ;   in Loop: Header=BB4_5816 Depth=2
	v_mov_b32_e32 v167, 0
	s_mov_b32 s24, exec_lo
	v_cmpx_ne_u32_e32 0, v10
	s_cbranch_execz .LBB4_6340
; %bb.6335:                             ;   in Loop: Header=BB4_5816 Depth=2
	v_bfe_u32 v11, v10, 23, 8
	s_delay_alu instid0(VALU_DEP_1) | instskip(SKIP_1) | instid1(VALU_DEP_2)
	v_sub_nc_u32_e32 v176, 0x78, v11
	v_cmp_gt_u32_e32 vcc_lo, 0x79, v11
	v_dual_cndmask_b32 v176, 0, v176 :: v_dual_and_b32 v167, 0x7fffff, v10
	s_delay_alu instid0(VALU_DEP_1) | instskip(SKIP_2) | instid1(VALU_DEP_4)
	v_or_b32_e32 v177, 0x800000, v167
	v_cmp_eq_u32_e32 vcc_lo, 0, v11
	v_add_nc_u32_e32 v11, 0xffffff89, v11
	v_cndmask_b32_e64 v176, v176, 0x77, vcc_lo
	s_delay_alu instid0(VALU_DEP_4) | instskip(NEXT) | instid1(VALU_DEP_3)
	v_cndmask_b32_e32 v167, v177, v167, vcc_lo
	v_cndmask_b32_e64 v11, v11, 0xffffff8a, vcc_lo
	s_delay_alu instid0(VALU_DEP_3) | instskip(NEXT) | instid1(VALU_DEP_3)
	v_lshl_add_u32 v177, 0x100000, v176, -1
	v_lshrrev_b32_e32 v178, v176, v167
	v_lshlrev_b32_e64 v180, v176, 0x80000
	s_delay_alu instid0(VALU_DEP_4) | instskip(NEXT) | instid1(VALU_DEP_4)
	v_add_nc_u32_e32 v176, v176, v11
	v_and_b32_e32 v167, v177, v167
	s_delay_alu instid0(VALU_DEP_4) | instskip(NEXT) | instid1(VALU_DEP_2)
	v_bfe_u32 v179, v178, 20, 1
	v_cmp_eq_u32_e64 s10, v167, v180
	s_delay_alu instid0(VALU_DEP_2) | instskip(NEXT) | instid1(VALU_DEP_1)
	v_add_nc_u32_e32 v177, -1, v179
	v_cndmask_b32_e64 v167, 0, v177, s10
	v_lshrrev_b32_e32 v177, 23, v178
	s_mov_b32 s10, exec_lo
	s_delay_alu instid0(VALU_DEP_2) | instskip(NEXT) | instid1(VALU_DEP_2)
	v_add_nc_u32_e32 v167, v167, v178
	v_xor_b32_e32 v177, 1, v177
	s_delay_alu instid0(VALU_DEP_2) | instskip(NEXT) | instid1(VALU_DEP_1)
	v_and_b32_e32 v11, 0xfffff, v167
	v_add_nc_u32_e32 v167, v11, v178
                                        ; implicit-def: $vgpr11
	s_delay_alu instid0(VALU_DEP_3)
	v_cmpx_ne_u32_e64 v176, v177
	s_xor_b32 s10, exec_lo, s10
; %bb.6336:                             ;   in Loop: Header=BB4_5816 Depth=2
	s_delay_alu instid0(VALU_DEP_2) | instskip(SKIP_2) | instid1(VALU_DEP_2)
	v_cmp_lt_u32_e32 vcc_lo, 0xffffff, v167
	v_sub_nc_u32_e32 v11, v176, v177
	v_cndmask_b32_e64 v176, 0, 1, vcc_lo
	v_add_co_ci_u32_e32 v11, vcc_lo, 0, v11, vcc_lo
	s_delay_alu instid0(VALU_DEP_2)
	v_lshrrev_b32_e32 v167, v176, v167
; %bb.6337:                             ;   in Loop: Header=BB4_5816 Depth=2
	s_and_not1_saveexec_b32 s10, s10
; %bb.6338:                             ;   in Loop: Header=BB4_5816 Depth=2
	s_delay_alu instid0(VALU_DEP_1)
	v_bfe_u32 v11, v167, 23, 1
; %bb.6339:                             ;   in Loop: Header=BB4_5816 Depth=2
	s_or_b32 exec_lo, exec_lo, s10
	v_lshrrev_b32_e32 v167, 20, v167
	s_delay_alu instid0(VALU_DEP_2) | instskip(SKIP_2) | instid1(VALU_DEP_2)
	v_cmp_gt_i32_e32 vcc_lo, 16, v11
	v_lshrrev_b32_e32 v10, 24, v10
	v_min_i32_e32 v176, 15, v11
	v_dual_cndmask_b32 v167, 7, v167 :: v_dual_and_b32 v10, 0x80, v10
	s_delay_alu instid0(VALU_DEP_1) | instskip(SKIP_1) | instid1(VALU_DEP_2)
	v_or_b32_e32 v11, v11, v167
	v_and_b32_e32 v177, 7, v167
	v_cmp_ne_u32_e32 vcc_lo, 0, v11
	v_lshlrev_b32_e32 v176, 3, v176
	s_delay_alu instid0(VALU_DEP_1) | instskip(NEXT) | instid1(VALU_DEP_1)
	v_or3_b32 v10, v176, v10, v177
	v_cndmask_b32_e32 v167, 0, v10, vcc_lo
.LBB4_6340:                             ;   in Loop: Header=BB4_5816 Depth=2
	s_or_b32 exec_lo, exec_lo, s24
.LBB4_6341:                             ;   in Loop: Header=BB4_5816 Depth=2
	s_delay_alu instid0(SALU_CYCLE_1) | instskip(SKIP_3) | instid1(VALU_DEP_1)
	s_or_b32 exec_lo, exec_lo, s23
	v_lshrrev_b32_e32 v10, 24, v12
	s_mov_b32 s10, 0
	s_mov_b32 s24, exec_lo
                                        ; implicit-def: $sgpr23
	v_cmpx_lt_i16_e32 0x7f, v10
	s_xor_b32 s24, exec_lo, s24
	s_cbranch_execnz .LBB4_6763
; %bb.6342:                             ;   in Loop: Header=BB4_5816 Depth=2
	s_or_saveexec_b32 s24, s24
	v_mov_b32_e32 v11, s23
	s_xor_b32 exec_lo, exec_lo, s24
	s_cbranch_execnz .LBB4_6766
.LBB4_6343:                             ;   in Loop: Header=BB4_5816 Depth=2
	s_or_b32 exec_lo, exec_lo, s24
	s_and_saveexec_b32 s23, s10
	s_cbranch_execz .LBB4_6345
.LBB4_6344:                             ;   in Loop: Header=BB4_5816 Depth=2
	v_bfe_u32 v11, v12, 24, 3
	s_delay_alu instid0(VALU_DEP_1) | instskip(NEXT) | instid1(VALU_DEP_1)
	v_clz_i32_u32_e32 v176, v11
	v_min_u32_e32 v176, 32, v176
	s_delay_alu instid0(VALU_DEP_1) | instskip(SKIP_1) | instid1(VALU_DEP_2)
	v_subrev_nc_u32_e32 v177, 28, v176
	v_sub_nc_u32_e32 v176, 29, v176
	v_lshlrev_b32_e32 v10, v177, v10
	v_bfe_u32 v177, v12, 27, 4
	s_delay_alu instid0(VALU_DEP_2) | instskip(NEXT) | instid1(VALU_DEP_2)
	v_and_b32_e32 v10, 7, v10
	v_cmp_eq_u32_e32 vcc_lo, 0, v177
	v_cndmask_b32_e32 v176, v177, v176, vcc_lo
	s_delay_alu instid0(VALU_DEP_3) | instskip(NEXT) | instid1(VALU_DEP_2)
	v_dual_cndmask_b32 v10, v11, v10 :: v_dual_and_b32 v11, 0x80000000, v12
	v_lshl_add_u32 v12, v176, 23, 0x3b800000
	s_delay_alu instid0(VALU_DEP_2) | instskip(NEXT) | instid1(VALU_DEP_1)
	v_lshlrev_b32_e32 v10, 20, v10
	v_or3_b32 v11, v11, v12, v10
.LBB4_6345:                             ;   in Loop: Header=BB4_5816 Depth=2
	s_or_b32 exec_lo, exec_lo, s23
	s_delay_alu instid0(VALU_DEP_1) | instskip(SKIP_2) | instid1(VALU_DEP_2)
	v_mul_f32_e32 v10, s22, v11
	v_mov_b32_e32 v176, 0x80
	s_mov_b32 s23, exec_lo
	v_and_b32_e32 v11, 0x7f800000, v10
	s_delay_alu instid0(VALU_DEP_1)
	v_cmpx_ne_u32_e32 0x7f800000, v11
	s_cbranch_execz .LBB4_6353
; %bb.6346:                             ;   in Loop: Header=BB4_5816 Depth=2
	v_mov_b32_e32 v176, 0
	s_mov_b32 s24, exec_lo
	v_cmpx_ne_u32_e32 0, v10
	s_cbranch_execz .LBB4_6352
; %bb.6347:                             ;   in Loop: Header=BB4_5816 Depth=2
	v_bfe_u32 v11, v10, 23, 8
	v_and_b32_e32 v12, 0x7fffff, v10
	s_delay_alu instid0(VALU_DEP_2) | instskip(SKIP_1) | instid1(VALU_DEP_3)
	v_sub_nc_u32_e32 v176, 0x78, v11
	v_cmp_gt_u32_e32 vcc_lo, 0x79, v11
	v_or_b32_e32 v177, 0x800000, v12
	s_delay_alu instid0(VALU_DEP_3) | instskip(SKIP_2) | instid1(VALU_DEP_3)
	v_cndmask_b32_e32 v176, 0, v176, vcc_lo
	v_cmp_eq_u32_e32 vcc_lo, 0, v11
	v_add_nc_u32_e32 v11, 0xffffff89, v11
	v_cndmask_b32_e64 v176, v176, 0x77, vcc_lo
	v_cndmask_b32_e32 v12, v177, v12, vcc_lo
	s_delay_alu instid0(VALU_DEP_3) | instskip(NEXT) | instid1(VALU_DEP_3)
	v_cndmask_b32_e64 v11, v11, 0xffffff8a, vcc_lo
	v_lshl_add_u32 v177, 0x100000, v176, -1
	s_delay_alu instid0(VALU_DEP_3) | instskip(SKIP_1) | instid1(VALU_DEP_4)
	v_lshrrev_b32_e32 v178, v176, v12
	v_lshlrev_b32_e64 v180, v176, 0x80000
	v_add_nc_u32_e32 v176, v176, v11
	s_delay_alu instid0(VALU_DEP_4) | instskip(NEXT) | instid1(VALU_DEP_4)
	v_and_b32_e32 v12, v177, v12
	v_bfe_u32 v179, v178, 20, 1
	s_delay_alu instid0(VALU_DEP_2) | instskip(NEXT) | instid1(VALU_DEP_2)
	v_cmp_eq_u32_e64 s10, v12, v180
	v_add_nc_u32_e32 v177, -1, v179
	s_delay_alu instid0(VALU_DEP_1) | instskip(SKIP_2) | instid1(VALU_DEP_2)
	v_cndmask_b32_e64 v12, 0, v177, s10
	v_lshrrev_b32_e32 v177, 23, v178
	s_mov_b32 s10, exec_lo
	v_add_nc_u32_e32 v12, v12, v178
	s_delay_alu instid0(VALU_DEP_2) | instskip(NEXT) | instid1(VALU_DEP_2)
	v_xor_b32_e32 v177, 1, v177
	v_and_b32_e32 v11, 0xfffff, v12
	s_delay_alu instid0(VALU_DEP_1) | instskip(NEXT) | instid1(VALU_DEP_3)
	v_add_nc_u32_e32 v12, v11, v178
                                        ; implicit-def: $vgpr11
	v_cmpx_ne_u32_e64 v176, v177
	s_xor_b32 s10, exec_lo, s10
; %bb.6348:                             ;   in Loop: Header=BB4_5816 Depth=2
	s_delay_alu instid0(VALU_DEP_2) | instskip(SKIP_2) | instid1(VALU_DEP_2)
	v_cmp_lt_u32_e32 vcc_lo, 0xffffff, v12
	v_sub_nc_u32_e32 v11, v176, v177
	v_cndmask_b32_e64 v176, 0, 1, vcc_lo
	v_add_co_ci_u32_e32 v11, vcc_lo, 0, v11, vcc_lo
	s_delay_alu instid0(VALU_DEP_2)
	v_lshrrev_b32_e32 v12, v176, v12
; %bb.6349:                             ;   in Loop: Header=BB4_5816 Depth=2
	s_and_not1_saveexec_b32 s10, s10
; %bb.6350:                             ;   in Loop: Header=BB4_5816 Depth=2
	s_delay_alu instid0(VALU_DEP_1)
	v_bfe_u32 v11, v12, 23, 1
; %bb.6351:                             ;   in Loop: Header=BB4_5816 Depth=2
	s_or_b32 exec_lo, exec_lo, s10
	v_lshrrev_b32_e32 v12, 20, v12
	s_delay_alu instid0(VALU_DEP_2) | instskip(SKIP_2) | instid1(VALU_DEP_4)
	v_cmp_gt_i32_e32 vcc_lo, 16, v11
	v_lshrrev_b32_e32 v10, 24, v10
	v_min_i32_e32 v176, 15, v11
	v_cndmask_b32_e32 v12, 7, v12, vcc_lo
	s_delay_alu instid0(VALU_DEP_3) | instskip(NEXT) | instid1(VALU_DEP_3)
	v_and_b32_e32 v10, 0x80, v10
	v_lshlrev_b32_e32 v176, 3, v176
	s_delay_alu instid0(VALU_DEP_3) | instskip(NEXT) | instid1(VALU_DEP_1)
	v_or_b32_e32 v11, v11, v12
	v_cmp_ne_u32_e32 vcc_lo, 0, v11
	v_and_b32_e32 v177, 7, v12
	s_delay_alu instid0(VALU_DEP_1) | instskip(NEXT) | instid1(VALU_DEP_1)
	v_or3_b32 v10, v176, v10, v177
	v_cndmask_b32_e32 v176, 0, v10, vcc_lo
.LBB4_6352:                             ;   in Loop: Header=BB4_5816 Depth=2
	s_or_b32 exec_lo, exec_lo, s24
.LBB4_6353:                             ;   in Loop: Header=BB4_5816 Depth=2
	s_delay_alu instid0(SALU_CYCLE_1) | instskip(SKIP_3) | instid1(VALU_DEP_1)
	s_or_b32 exec_lo, exec_lo, s23
	v_and_b32_e32 v11, 0xff, v13
	s_mov_b32 s10, 0
	s_mov_b32 s24, exec_lo
                                        ; implicit-def: $sgpr23
	v_cmpx_lt_i16_e32 0x7f, v11
	s_xor_b32 s24, exec_lo, s24
	s_cbranch_execnz .LBB4_6767
; %bb.6354:                             ;   in Loop: Header=BB4_5816 Depth=2
	s_or_saveexec_b32 s24, s24
	v_mov_b32_e32 v10, s23
	s_xor_b32 exec_lo, exec_lo, s24
	s_cbranch_execnz .LBB4_6770
.LBB4_6355:                             ;   in Loop: Header=BB4_5816 Depth=2
	s_or_b32 exec_lo, exec_lo, s24
	s_and_saveexec_b32 s23, s10
	s_cbranch_execz .LBB4_6357
.LBB4_6356:                             ;   in Loop: Header=BB4_5816 Depth=2
	v_bfe_u32 v177, v13, 3, 4
	v_lshlrev_b32_e32 v178, 24, v13
	s_delay_alu instid0(VALU_DEP_2) | instskip(SKIP_1) | instid1(VALU_DEP_1)
	v_cmp_eq_u32_e32 vcc_lo, 0, v177
	v_and_b32_e32 v10, 7, v13
	v_clz_i32_u32_e32 v11, v10
	s_delay_alu instid0(VALU_DEP_1) | instskip(NEXT) | instid1(VALU_DEP_1)
	v_min_u32_e32 v11, 32, v11
	v_subrev_nc_u32_e32 v12, 28, v11
	v_sub_nc_u32_e32 v11, 29, v11
	s_delay_alu instid0(VALU_DEP_1) | instskip(NEXT) | instid1(VALU_DEP_1)
	v_dual_cndmask_b32 v11, v177, v11 :: v_dual_lshlrev_b32 v12, v12, v13
	v_and_b32_e32 v12, 7, v12
	s_delay_alu instid0(VALU_DEP_2) | instskip(NEXT) | instid1(VALU_DEP_2)
	v_lshl_add_u32 v11, v11, 23, 0x3b800000
	v_cndmask_b32_e32 v10, v10, v12, vcc_lo
	v_and_b32_e32 v12, 0x80000000, v178
	s_delay_alu instid0(VALU_DEP_2) | instskip(NEXT) | instid1(VALU_DEP_1)
	v_lshlrev_b32_e32 v10, 20, v10
	v_or3_b32 v10, v12, v11, v10
.LBB4_6357:                             ;   in Loop: Header=BB4_5816 Depth=2
	s_or_b32 exec_lo, exec_lo, s23
	s_delay_alu instid0(VALU_DEP_1) | instskip(SKIP_1) | instid1(VALU_DEP_1)
	v_dual_mul_f32 v10, s22, v10 :: v_dual_mov_b32 v177, 0x80
	s_mov_b32 s23, exec_lo
	v_and_b32_e32 v11, 0x7f800000, v10
	s_delay_alu instid0(VALU_DEP_1)
	v_cmpx_ne_u32_e32 0x7f800000, v11
	s_cbranch_execz .LBB4_6365
; %bb.6358:                             ;   in Loop: Header=BB4_5816 Depth=2
	v_mov_b32_e32 v177, 0
	s_mov_b32 s24, exec_lo
	v_cmpx_ne_u32_e32 0, v10
	s_cbranch_execz .LBB4_6364
; %bb.6359:                             ;   in Loop: Header=BB4_5816 Depth=2
	v_bfe_u32 v11, v10, 23, 8
	s_delay_alu instid0(VALU_DEP_1) | instskip(SKIP_1) | instid1(VALU_DEP_2)
	v_sub_nc_u32_e32 v177, 0x78, v11
	v_cmp_gt_u32_e32 vcc_lo, 0x79, v11
	v_dual_cndmask_b32 v177, 0, v177 :: v_dual_and_b32 v12, 0x7fffff, v10
	s_delay_alu instid0(VALU_DEP_1) | instskip(SKIP_2) | instid1(VALU_DEP_4)
	v_or_b32_e32 v178, 0x800000, v12
	v_cmp_eq_u32_e32 vcc_lo, 0, v11
	v_add_nc_u32_e32 v11, 0xffffff89, v11
	v_cndmask_b32_e64 v177, v177, 0x77, vcc_lo
	s_delay_alu instid0(VALU_DEP_4) | instskip(NEXT) | instid1(VALU_DEP_3)
	v_cndmask_b32_e32 v12, v178, v12, vcc_lo
	v_cndmask_b32_e64 v11, v11, 0xffffff8a, vcc_lo
	s_delay_alu instid0(VALU_DEP_3) | instskip(NEXT) | instid1(VALU_DEP_3)
	v_lshl_add_u32 v178, 0x100000, v177, -1
	v_lshrrev_b32_e32 v179, v177, v12
	v_lshlrev_b32_e64 v181, v177, 0x80000
	s_delay_alu instid0(VALU_DEP_4) | instskip(NEXT) | instid1(VALU_DEP_4)
	v_add_nc_u32_e32 v177, v177, v11
	v_and_b32_e32 v12, v178, v12
	s_delay_alu instid0(VALU_DEP_4) | instskip(NEXT) | instid1(VALU_DEP_2)
	v_bfe_u32 v180, v179, 20, 1
	v_cmp_eq_u32_e64 s10, v12, v181
	s_delay_alu instid0(VALU_DEP_2) | instskip(NEXT) | instid1(VALU_DEP_1)
	v_add_nc_u32_e32 v178, -1, v180
	v_cndmask_b32_e64 v12, 0, v178, s10
	v_lshrrev_b32_e32 v178, 23, v179
	s_mov_b32 s10, exec_lo
	s_delay_alu instid0(VALU_DEP_2) | instskip(NEXT) | instid1(VALU_DEP_2)
	v_add_nc_u32_e32 v12, v12, v179
	v_xor_b32_e32 v178, 1, v178
	s_delay_alu instid0(VALU_DEP_2) | instskip(NEXT) | instid1(VALU_DEP_1)
	v_and_b32_e32 v11, 0xfffff, v12
	v_add_nc_u32_e32 v12, v11, v179
                                        ; implicit-def: $vgpr11
	s_delay_alu instid0(VALU_DEP_3)
	v_cmpx_ne_u32_e64 v177, v178
	s_xor_b32 s10, exec_lo, s10
; %bb.6360:                             ;   in Loop: Header=BB4_5816 Depth=2
	s_delay_alu instid0(VALU_DEP_2) | instskip(SKIP_2) | instid1(VALU_DEP_2)
	v_cmp_lt_u32_e32 vcc_lo, 0xffffff, v12
	v_sub_nc_u32_e32 v11, v177, v178
	v_cndmask_b32_e64 v177, 0, 1, vcc_lo
	v_add_co_ci_u32_e32 v11, vcc_lo, 0, v11, vcc_lo
	s_delay_alu instid0(VALU_DEP_2)
	v_lshrrev_b32_e32 v12, v177, v12
; %bb.6361:                             ;   in Loop: Header=BB4_5816 Depth=2
	s_and_not1_saveexec_b32 s10, s10
; %bb.6362:                             ;   in Loop: Header=BB4_5816 Depth=2
	s_delay_alu instid0(VALU_DEP_1)
	v_bfe_u32 v11, v12, 23, 1
; %bb.6363:                             ;   in Loop: Header=BB4_5816 Depth=2
	s_or_b32 exec_lo, exec_lo, s10
	v_lshrrev_b32_e32 v12, 20, v12
	s_delay_alu instid0(VALU_DEP_2) | instskip(SKIP_2) | instid1(VALU_DEP_2)
	v_cmp_gt_i32_e32 vcc_lo, 16, v11
	v_min_i32_e32 v177, 15, v11
	v_lshrrev_b32_e32 v10, 24, v10
	v_dual_cndmask_b32 v12, 7, v12 :: v_dual_lshlrev_b32 v177, 3, v177
	s_delay_alu instid0(VALU_DEP_2) | instskip(NEXT) | instid1(VALU_DEP_2)
	v_and_b32_e32 v10, 0x80, v10
	v_or_b32_e32 v11, v11, v12
	s_delay_alu instid0(VALU_DEP_3) | instskip(NEXT) | instid1(VALU_DEP_2)
	v_and_b32_e32 v177, 0xf8, v177
	v_cmp_ne_u32_e32 vcc_lo, 0, v11
	v_and_b32_e32 v178, 7, v12
	s_delay_alu instid0(VALU_DEP_1) | instskip(NEXT) | instid1(VALU_DEP_1)
	v_or3_b32 v10, v177, v10, v178
	v_cndmask_b32_e32 v177, 0, v10, vcc_lo
.LBB4_6364:                             ;   in Loop: Header=BB4_5816 Depth=2
	s_or_b32 exec_lo, exec_lo, s24
.LBB4_6365:                             ;   in Loop: Header=BB4_5816 Depth=2
	s_delay_alu instid0(SALU_CYCLE_1) | instskip(SKIP_3) | instid1(VALU_DEP_1)
	s_or_b32 exec_lo, exec_lo, s23
	v_lshrrev_b16 v10, 8, v13
	s_mov_b32 s10, 0
	s_mov_b32 s24, exec_lo
                                        ; implicit-def: $sgpr23
	v_cmpx_lt_i16_e32 0x7f, v10
	s_xor_b32 s24, exec_lo, s24
	s_cbranch_execnz .LBB4_6771
; %bb.6366:                             ;   in Loop: Header=BB4_5816 Depth=2
	s_or_saveexec_b32 s24, s24
	v_mov_b32_e32 v11, s23
	s_xor_b32 exec_lo, exec_lo, s24
	s_cbranch_execnz .LBB4_6774
.LBB4_6367:                             ;   in Loop: Header=BB4_5816 Depth=2
	s_or_b32 exec_lo, exec_lo, s24
	s_and_saveexec_b32 s23, s10
	s_cbranch_execz .LBB4_6369
.LBB4_6368:                             ;   in Loop: Header=BB4_5816 Depth=2
	v_and_b32_e32 v11, 0xffff, v10
	v_lshlrev_b32_e32 v10, 24, v10
	s_delay_alu instid0(VALU_DEP_2) | instskip(NEXT) | instid1(VALU_DEP_2)
	v_and_b32_e32 v12, 7, v11
	v_and_b32_e32 v10, 0x80000000, v10
	s_delay_alu instid0(VALU_DEP_2) | instskip(NEXT) | instid1(VALU_DEP_1)
	v_clz_i32_u32_e32 v178, v12
	v_min_u32_e32 v178, 32, v178
	s_delay_alu instid0(VALU_DEP_1) | instskip(SKIP_1) | instid1(VALU_DEP_2)
	v_subrev_nc_u32_e32 v179, 28, v178
	v_sub_nc_u32_e32 v178, 29, v178
	v_lshlrev_b32_e32 v179, v179, v11
	v_bfe_u32 v11, v11, 3, 4
	s_delay_alu instid0(VALU_DEP_2) | instskip(NEXT) | instid1(VALU_DEP_2)
	v_and_b32_e32 v179, 7, v179
	v_cmp_eq_u32_e32 vcc_lo, 0, v11
	s_delay_alu instid0(VALU_DEP_2) | instskip(NEXT) | instid1(VALU_DEP_1)
	v_dual_cndmask_b32 v11, v11, v178 :: v_dual_cndmask_b32 v12, v12, v179
	v_lshl_add_u32 v11, v11, 23, 0x3b800000
	s_delay_alu instid0(VALU_DEP_2) | instskip(NEXT) | instid1(VALU_DEP_1)
	v_lshlrev_b32_e32 v12, 20, v12
	v_or3_b32 v11, v10, v11, v12
.LBB4_6369:                             ;   in Loop: Header=BB4_5816 Depth=2
	s_or_b32 exec_lo, exec_lo, s23
	s_delay_alu instid0(VALU_DEP_1) | instskip(SKIP_2) | instid1(VALU_DEP_2)
	v_mul_f32_e32 v10, s22, v11
	v_mov_b32_e32 v178, 0x8000
	s_mov_b32 s23, exec_lo
	v_and_b32_e32 v11, 0x7f800000, v10
	s_delay_alu instid0(VALU_DEP_1)
	v_cmpx_ne_u32_e32 0x7f800000, v11
	s_cbranch_execz .LBB4_6377
; %bb.6370:                             ;   in Loop: Header=BB4_5816 Depth=2
	v_mov_b32_e32 v178, 0
	s_mov_b32 s24, exec_lo
	v_cmpx_ne_u32_e32 0, v10
	s_cbranch_execz .LBB4_6376
; %bb.6371:                             ;   in Loop: Header=BB4_5816 Depth=2
	v_bfe_u32 v11, v10, 23, 8
	v_and_b32_e32 v12, 0x7fffff, v10
	s_delay_alu instid0(VALU_DEP_2) | instskip(SKIP_1) | instid1(VALU_DEP_3)
	v_sub_nc_u32_e32 v178, 0x78, v11
	v_cmp_gt_u32_e32 vcc_lo, 0x79, v11
	v_or_b32_e32 v179, 0x800000, v12
	s_delay_alu instid0(VALU_DEP_3) | instskip(SKIP_2) | instid1(VALU_DEP_3)
	v_cndmask_b32_e32 v178, 0, v178, vcc_lo
	v_cmp_eq_u32_e32 vcc_lo, 0, v11
	v_add_nc_u32_e32 v11, 0xffffff89, v11
	v_cndmask_b32_e64 v178, v178, 0x77, vcc_lo
	v_cndmask_b32_e32 v12, v179, v12, vcc_lo
	s_delay_alu instid0(VALU_DEP_3) | instskip(NEXT) | instid1(VALU_DEP_3)
	v_cndmask_b32_e64 v11, v11, 0xffffff8a, vcc_lo
	v_lshl_add_u32 v179, 0x100000, v178, -1
	s_delay_alu instid0(VALU_DEP_3) | instskip(SKIP_1) | instid1(VALU_DEP_4)
	v_lshrrev_b32_e32 v180, v178, v12
	v_lshlrev_b32_e64 v182, v178, 0x80000
	v_add_nc_u32_e32 v178, v178, v11
	s_delay_alu instid0(VALU_DEP_4) | instskip(NEXT) | instid1(VALU_DEP_4)
	v_and_b32_e32 v12, v179, v12
	v_bfe_u32 v181, v180, 20, 1
	s_delay_alu instid0(VALU_DEP_2) | instskip(NEXT) | instid1(VALU_DEP_2)
	v_cmp_eq_u32_e64 s10, v12, v182
	v_add_nc_u32_e32 v179, -1, v181
	s_delay_alu instid0(VALU_DEP_1) | instskip(SKIP_2) | instid1(VALU_DEP_2)
	v_cndmask_b32_e64 v12, 0, v179, s10
	v_lshrrev_b32_e32 v179, 23, v180
	s_mov_b32 s10, exec_lo
	v_add_nc_u32_e32 v12, v12, v180
	s_delay_alu instid0(VALU_DEP_2) | instskip(NEXT) | instid1(VALU_DEP_2)
	v_xor_b32_e32 v179, 1, v179
	v_and_b32_e32 v11, 0xfffff, v12
	s_delay_alu instid0(VALU_DEP_1) | instskip(NEXT) | instid1(VALU_DEP_3)
	v_add_nc_u32_e32 v12, v11, v180
                                        ; implicit-def: $vgpr11
	v_cmpx_ne_u32_e64 v178, v179
	s_xor_b32 s10, exec_lo, s10
; %bb.6372:                             ;   in Loop: Header=BB4_5816 Depth=2
	s_delay_alu instid0(VALU_DEP_2) | instskip(SKIP_2) | instid1(VALU_DEP_2)
	v_cmp_lt_u32_e32 vcc_lo, 0xffffff, v12
	v_sub_nc_u32_e32 v11, v178, v179
	v_cndmask_b32_e64 v178, 0, 1, vcc_lo
	v_add_co_ci_u32_e32 v11, vcc_lo, 0, v11, vcc_lo
	s_delay_alu instid0(VALU_DEP_2)
	v_lshrrev_b32_e32 v12, v178, v12
; %bb.6373:                             ;   in Loop: Header=BB4_5816 Depth=2
	s_and_not1_saveexec_b32 s10, s10
; %bb.6374:                             ;   in Loop: Header=BB4_5816 Depth=2
	s_delay_alu instid0(VALU_DEP_1)
	v_bfe_u32 v11, v12, 23, 1
; %bb.6375:                             ;   in Loop: Header=BB4_5816 Depth=2
	s_or_b32 exec_lo, exec_lo, s10
	v_lshrrev_b32_e32 v12, 20, v12
	s_delay_alu instid0(VALU_DEP_2) | instskip(SKIP_2) | instid1(VALU_DEP_4)
	v_cmp_gt_i32_e32 vcc_lo, 16, v11
	v_min_i32_e32 v178, 15, v11
	v_lshrrev_b32_e32 v10, 24, v10
	v_cndmask_b32_e32 v12, 7, v12, vcc_lo
	s_delay_alu instid0(VALU_DEP_3) | instskip(NEXT) | instid1(VALU_DEP_3)
	v_lshlrev_b32_e32 v178, 3, v178
	v_and_b32_e32 v10, 0x80, v10
	s_delay_alu instid0(VALU_DEP_3) | instskip(NEXT) | instid1(VALU_DEP_3)
	v_or_b32_e32 v11, v11, v12
	v_and_b32_e32 v178, 0xf8, v178
	s_delay_alu instid0(VALU_DEP_2) | instskip(SKIP_1) | instid1(VALU_DEP_1)
	v_cmp_ne_u32_e32 vcc_lo, 0, v11
	v_and_b32_e32 v179, 7, v12
	v_or3_b32 v10, v10, v178, v179
	s_delay_alu instid0(VALU_DEP_1) | instskip(NEXT) | instid1(VALU_DEP_1)
	v_lshlrev_b32_e32 v10, 8, v10
	v_cndmask_b32_e32 v178, 0, v10, vcc_lo
.LBB4_6376:                             ;   in Loop: Header=BB4_5816 Depth=2
	s_or_b32 exec_lo, exec_lo, s24
.LBB4_6377:                             ;   in Loop: Header=BB4_5816 Depth=2
	s_delay_alu instid0(SALU_CYCLE_1) | instskip(SKIP_3) | instid1(VALU_DEP_1)
	s_or_b32 exec_lo, exec_lo, s23
	v_lshrrev_b32_e32 v10, 16, v13
	s_mov_b32 s10, 0
	s_mov_b32 s24, exec_lo
                                        ; implicit-def: $sgpr23
	v_and_b32_e32 v12, 0xff, v10
	s_delay_alu instid0(VALU_DEP_1)
	v_cmpx_lt_i16_e32 0x7f, v12
	s_xor_b32 s24, exec_lo, s24
	s_cbranch_execnz .LBB4_6775
; %bb.6378:                             ;   in Loop: Header=BB4_5816 Depth=2
	s_or_saveexec_b32 s24, s24
	v_mov_b32_e32 v11, s23
	s_xor_b32 exec_lo, exec_lo, s24
	s_cbranch_execnz .LBB4_6778
.LBB4_6379:                             ;   in Loop: Header=BB4_5816 Depth=2
	s_or_b32 exec_lo, exec_lo, s24
	s_and_saveexec_b32 s23, s10
	s_cbranch_execz .LBB4_6381
.LBB4_6380:                             ;   in Loop: Header=BB4_5816 Depth=2
	v_bfe_u32 v11, v13, 16, 3
	v_lshlrev_b32_e32 v180, 8, v13
	s_delay_alu instid0(VALU_DEP_2) | instskip(NEXT) | instid1(VALU_DEP_1)
	v_clz_i32_u32_e32 v12, v11
	v_min_u32_e32 v12, 32, v12
	s_delay_alu instid0(VALU_DEP_1) | instskip(SKIP_1) | instid1(VALU_DEP_2)
	v_subrev_nc_u32_e32 v179, 28, v12
	v_sub_nc_u32_e32 v12, 29, v12
	v_lshlrev_b32_e32 v10, v179, v10
	v_bfe_u32 v179, v13, 19, 4
	s_delay_alu instid0(VALU_DEP_2) | instskip(NEXT) | instid1(VALU_DEP_2)
	v_and_b32_e32 v10, 7, v10
	v_cmp_eq_u32_e32 vcc_lo, 0, v179
	v_cndmask_b32_e32 v12, v179, v12, vcc_lo
	s_delay_alu instid0(VALU_DEP_3) | instskip(NEXT) | instid1(VALU_DEP_2)
	v_dual_cndmask_b32 v10, v11, v10 :: v_dual_and_b32 v11, 0x80000000, v180
	v_lshl_add_u32 v12, v12, 23, 0x3b800000
	s_delay_alu instid0(VALU_DEP_2) | instskip(NEXT) | instid1(VALU_DEP_1)
	v_lshlrev_b32_e32 v10, 20, v10
	v_or3_b32 v11, v11, v12, v10
.LBB4_6381:                             ;   in Loop: Header=BB4_5816 Depth=2
	s_or_b32 exec_lo, exec_lo, s23
	s_delay_alu instid0(VALU_DEP_1) | instskip(SKIP_1) | instid1(VALU_DEP_1)
	v_dual_mul_f32 v10, s22, v11 :: v_dual_mov_b32 v179, 0x80
	s_mov_b32 s23, exec_lo
	v_and_b32_e32 v11, 0x7f800000, v10
	s_delay_alu instid0(VALU_DEP_1)
	v_cmpx_ne_u32_e32 0x7f800000, v11
	s_cbranch_execz .LBB4_6389
; %bb.6382:                             ;   in Loop: Header=BB4_5816 Depth=2
	v_mov_b32_e32 v179, 0
	s_mov_b32 s24, exec_lo
	v_cmpx_ne_u32_e32 0, v10
	s_cbranch_execz .LBB4_6388
; %bb.6383:                             ;   in Loop: Header=BB4_5816 Depth=2
	v_bfe_u32 v11, v10, 23, 8
	s_delay_alu instid0(VALU_DEP_1) | instskip(SKIP_1) | instid1(VALU_DEP_2)
	v_sub_nc_u32_e32 v179, 0x78, v11
	v_cmp_gt_u32_e32 vcc_lo, 0x79, v11
	v_dual_cndmask_b32 v179, 0, v179 :: v_dual_and_b32 v12, 0x7fffff, v10
	s_delay_alu instid0(VALU_DEP_1) | instskip(SKIP_2) | instid1(VALU_DEP_4)
	v_or_b32_e32 v180, 0x800000, v12
	v_cmp_eq_u32_e32 vcc_lo, 0, v11
	v_add_nc_u32_e32 v11, 0xffffff89, v11
	v_cndmask_b32_e64 v179, v179, 0x77, vcc_lo
	s_delay_alu instid0(VALU_DEP_4) | instskip(NEXT) | instid1(VALU_DEP_3)
	v_cndmask_b32_e32 v12, v180, v12, vcc_lo
	v_cndmask_b32_e64 v11, v11, 0xffffff8a, vcc_lo
	s_delay_alu instid0(VALU_DEP_3) | instskip(NEXT) | instid1(VALU_DEP_3)
	v_lshl_add_u32 v180, 0x100000, v179, -1
	v_lshrrev_b32_e32 v181, v179, v12
	v_lshlrev_b32_e64 v183, v179, 0x80000
	s_delay_alu instid0(VALU_DEP_4) | instskip(NEXT) | instid1(VALU_DEP_4)
	v_add_nc_u32_e32 v179, v179, v11
	v_and_b32_e32 v12, v180, v12
	s_delay_alu instid0(VALU_DEP_4) | instskip(NEXT) | instid1(VALU_DEP_2)
	v_bfe_u32 v182, v181, 20, 1
	v_cmp_eq_u32_e64 s10, v12, v183
	s_delay_alu instid0(VALU_DEP_2) | instskip(NEXT) | instid1(VALU_DEP_1)
	v_add_nc_u32_e32 v180, -1, v182
	v_cndmask_b32_e64 v12, 0, v180, s10
	v_lshrrev_b32_e32 v180, 23, v181
	s_mov_b32 s10, exec_lo
	s_delay_alu instid0(VALU_DEP_2) | instskip(NEXT) | instid1(VALU_DEP_2)
	v_add_nc_u32_e32 v12, v12, v181
	v_xor_b32_e32 v180, 1, v180
	s_delay_alu instid0(VALU_DEP_2) | instskip(NEXT) | instid1(VALU_DEP_1)
	v_and_b32_e32 v11, 0xfffff, v12
	v_add_nc_u32_e32 v12, v11, v181
                                        ; implicit-def: $vgpr11
	s_delay_alu instid0(VALU_DEP_3)
	v_cmpx_ne_u32_e64 v179, v180
	s_xor_b32 s10, exec_lo, s10
; %bb.6384:                             ;   in Loop: Header=BB4_5816 Depth=2
	s_delay_alu instid0(VALU_DEP_2) | instskip(SKIP_2) | instid1(VALU_DEP_2)
	v_cmp_lt_u32_e32 vcc_lo, 0xffffff, v12
	v_sub_nc_u32_e32 v11, v179, v180
	v_cndmask_b32_e64 v179, 0, 1, vcc_lo
	v_add_co_ci_u32_e32 v11, vcc_lo, 0, v11, vcc_lo
	s_delay_alu instid0(VALU_DEP_2)
	v_lshrrev_b32_e32 v12, v179, v12
; %bb.6385:                             ;   in Loop: Header=BB4_5816 Depth=2
	s_and_not1_saveexec_b32 s10, s10
; %bb.6386:                             ;   in Loop: Header=BB4_5816 Depth=2
	s_delay_alu instid0(VALU_DEP_1)
	v_bfe_u32 v11, v12, 23, 1
; %bb.6387:                             ;   in Loop: Header=BB4_5816 Depth=2
	s_or_b32 exec_lo, exec_lo, s10
	v_lshrrev_b32_e32 v12, 20, v12
	s_delay_alu instid0(VALU_DEP_2) | instskip(SKIP_2) | instid1(VALU_DEP_2)
	v_cmp_gt_i32_e32 vcc_lo, 16, v11
	v_min_i32_e32 v179, 15, v11
	v_lshrrev_b32_e32 v10, 24, v10
	v_dual_cndmask_b32 v12, 7, v12 :: v_dual_lshlrev_b32 v179, 3, v179
	s_delay_alu instid0(VALU_DEP_2) | instskip(NEXT) | instid1(VALU_DEP_2)
	v_and_b32_e32 v10, 0x80, v10
	v_or_b32_e32 v11, v11, v12
	s_delay_alu instid0(VALU_DEP_3) | instskip(NEXT) | instid1(VALU_DEP_2)
	v_and_b32_e32 v179, 0xf8, v179
	v_cmp_ne_u32_e32 vcc_lo, 0, v11
	v_and_b32_e32 v180, 7, v12
	s_delay_alu instid0(VALU_DEP_1) | instskip(NEXT) | instid1(VALU_DEP_1)
	v_or3_b32 v10, v179, v10, v180
	v_cndmask_b32_e32 v179, 0, v10, vcc_lo
.LBB4_6388:                             ;   in Loop: Header=BB4_5816 Depth=2
	s_or_b32 exec_lo, exec_lo, s24
.LBB4_6389:                             ;   in Loop: Header=BB4_5816 Depth=2
	s_delay_alu instid0(SALU_CYCLE_1) | instskip(SKIP_3) | instid1(VALU_DEP_1)
	s_or_b32 exec_lo, exec_lo, s23
	v_lshrrev_b32_e32 v10, 24, v13
	s_mov_b32 s10, 0
	s_mov_b32 s24, exec_lo
                                        ; implicit-def: $sgpr23
	v_cmpx_lt_i16_e32 0x7f, v10
	s_xor_b32 s24, exec_lo, s24
	s_cbranch_execnz .LBB4_6779
; %bb.6390:                             ;   in Loop: Header=BB4_5816 Depth=2
	s_or_saveexec_b32 s24, s24
	v_mov_b32_e32 v11, s23
	s_xor_b32 exec_lo, exec_lo, s24
	s_cbranch_execnz .LBB4_6782
.LBB4_6391:                             ;   in Loop: Header=BB4_5816 Depth=2
	s_or_b32 exec_lo, exec_lo, s24
	s_and_saveexec_b32 s23, s10
	s_cbranch_execz .LBB4_6393
.LBB4_6392:                             ;   in Loop: Header=BB4_5816 Depth=2
	v_bfe_u32 v11, v13, 24, 3
	s_delay_alu instid0(VALU_DEP_1) | instskip(NEXT) | instid1(VALU_DEP_1)
	v_clz_i32_u32_e32 v12, v11
	v_min_u32_e32 v12, 32, v12
	s_delay_alu instid0(VALU_DEP_1) | instskip(SKIP_1) | instid1(VALU_DEP_2)
	v_subrev_nc_u32_e32 v180, 28, v12
	v_sub_nc_u32_e32 v12, 29, v12
	v_lshlrev_b32_e32 v10, v180, v10
	v_bfe_u32 v180, v13, 27, 4
	s_delay_alu instid0(VALU_DEP_2) | instskip(NEXT) | instid1(VALU_DEP_2)
	v_and_b32_e32 v10, 7, v10
	v_cmp_eq_u32_e32 vcc_lo, 0, v180
	v_cndmask_b32_e32 v12, v180, v12, vcc_lo
	s_delay_alu instid0(VALU_DEP_3) | instskip(NEXT) | instid1(VALU_DEP_2)
	v_dual_cndmask_b32 v10, v11, v10 :: v_dual_and_b32 v11, 0x80000000, v13
	v_lshl_add_u32 v12, v12, 23, 0x3b800000
	s_delay_alu instid0(VALU_DEP_2) | instskip(NEXT) | instid1(VALU_DEP_1)
	v_lshlrev_b32_e32 v10, 20, v10
	v_or3_b32 v11, v11, v12, v10
.LBB4_6393:                             ;   in Loop: Header=BB4_5816 Depth=2
	s_or_b32 exec_lo, exec_lo, s23
	s_delay_alu instid0(VALU_DEP_1) | instskip(SKIP_2) | instid1(VALU_DEP_2)
	v_mul_f32_e32 v10, s22, v11
	v_mov_b32_e32 v180, 0x8000
	s_mov_b32 s23, exec_lo
	v_and_b32_e32 v11, 0x7f800000, v10
	s_delay_alu instid0(VALU_DEP_1)
	v_cmpx_ne_u32_e32 0x7f800000, v11
	s_cbranch_execz .LBB4_6401
; %bb.6394:                             ;   in Loop: Header=BB4_5816 Depth=2
	v_mov_b32_e32 v180, 0
	s_mov_b32 s24, exec_lo
	v_cmpx_ne_u32_e32 0, v10
	s_cbranch_execz .LBB4_6400
; %bb.6395:                             ;   in Loop: Header=BB4_5816 Depth=2
	v_bfe_u32 v11, v10, 23, 8
	s_delay_alu instid0(VALU_DEP_1) | instskip(SKIP_1) | instid1(VALU_DEP_2)
	v_sub_nc_u32_e32 v13, 0x78, v11
	v_cmp_gt_u32_e32 vcc_lo, 0x79, v11
	v_dual_cndmask_b32 v13, 0, v13 :: v_dual_and_b32 v12, 0x7fffff, v10
	s_delay_alu instid0(VALU_DEP_1) | instskip(SKIP_2) | instid1(VALU_DEP_4)
	v_or_b32_e32 v180, 0x800000, v12
	v_cmp_eq_u32_e32 vcc_lo, 0, v11
	v_add_nc_u32_e32 v11, 0xffffff89, v11
	v_cndmask_b32_e64 v13, v13, 0x77, vcc_lo
	s_delay_alu instid0(VALU_DEP_4) | instskip(NEXT) | instid1(VALU_DEP_3)
	v_cndmask_b32_e32 v12, v180, v12, vcc_lo
	v_cndmask_b32_e64 v11, v11, 0xffffff8a, vcc_lo
	s_delay_alu instid0(VALU_DEP_3) | instskip(NEXT) | instid1(VALU_DEP_3)
	v_lshl_add_u32 v180, 0x100000, v13, -1
	v_lshrrev_b32_e32 v181, v13, v12
	v_lshlrev_b32_e64 v183, v13, 0x80000
	s_delay_alu instid0(VALU_DEP_4) | instskip(NEXT) | instid1(VALU_DEP_4)
	v_add_nc_u32_e32 v13, v13, v11
	v_and_b32_e32 v12, v180, v12
	s_delay_alu instid0(VALU_DEP_4) | instskip(NEXT) | instid1(VALU_DEP_2)
	v_bfe_u32 v182, v181, 20, 1
	v_cmp_eq_u32_e64 s10, v12, v183
	s_delay_alu instid0(VALU_DEP_2) | instskip(NEXT) | instid1(VALU_DEP_1)
	v_add_nc_u32_e32 v180, -1, v182
	v_cndmask_b32_e64 v12, 0, v180, s10
	v_lshrrev_b32_e32 v180, 23, v181
	s_mov_b32 s10, exec_lo
	s_delay_alu instid0(VALU_DEP_2) | instskip(NEXT) | instid1(VALU_DEP_2)
	v_add_nc_u32_e32 v12, v12, v181
	v_xor_b32_e32 v180, 1, v180
	s_delay_alu instid0(VALU_DEP_2) | instskip(NEXT) | instid1(VALU_DEP_1)
	v_and_b32_e32 v11, 0xfffff, v12
	v_add_nc_u32_e32 v12, v11, v181
                                        ; implicit-def: $vgpr11
	s_delay_alu instid0(VALU_DEP_3)
	v_cmpx_ne_u32_e64 v13, v180
	s_xor_b32 s10, exec_lo, s10
; %bb.6396:                             ;   in Loop: Header=BB4_5816 Depth=2
	s_delay_alu instid0(VALU_DEP_2) | instskip(SKIP_2) | instid1(VALU_DEP_2)
	v_cmp_lt_u32_e32 vcc_lo, 0xffffff, v12
	v_sub_nc_u32_e32 v11, v13, v180
	v_cndmask_b32_e64 v13, 0, 1, vcc_lo
	v_add_co_ci_u32_e32 v11, vcc_lo, 0, v11, vcc_lo
	s_delay_alu instid0(VALU_DEP_2)
	v_lshrrev_b32_e32 v12, v13, v12
; %bb.6397:                             ;   in Loop: Header=BB4_5816 Depth=2
	s_and_not1_saveexec_b32 s10, s10
; %bb.6398:                             ;   in Loop: Header=BB4_5816 Depth=2
	s_delay_alu instid0(VALU_DEP_1)
	v_bfe_u32 v11, v12, 23, 1
; %bb.6399:                             ;   in Loop: Header=BB4_5816 Depth=2
	s_or_b32 exec_lo, exec_lo, s10
	v_lshrrev_b32_e32 v12, 20, v12
	s_delay_alu instid0(VALU_DEP_2) | instskip(SKIP_2) | instid1(VALU_DEP_2)
	v_cmp_gt_i32_e32 vcc_lo, 16, v11
	v_min_i32_e32 v13, 15, v11
	v_lshrrev_b32_e32 v10, 24, v10
	v_dual_cndmask_b32 v12, 7, v12 :: v_dual_lshlrev_b32 v13, 3, v13
	s_delay_alu instid0(VALU_DEP_2) | instskip(NEXT) | instid1(VALU_DEP_2)
	v_and_b32_e32 v10, 0x80, v10
	v_or_b32_e32 v11, v11, v12
	v_and_b32_e32 v180, 7, v12
	s_delay_alu instid0(VALU_DEP_2) | instskip(SKIP_1) | instid1(VALU_DEP_1)
	v_cmp_ne_u32_e32 vcc_lo, 0, v11
	v_and_b32_e32 v13, 0xf8, v13
	v_or3_b32 v10, v10, v13, v180
	s_delay_alu instid0(VALU_DEP_1) | instskip(NEXT) | instid1(VALU_DEP_1)
	v_lshlrev_b32_e32 v10, 8, v10
	v_cndmask_b32_e32 v180, 0, v10, vcc_lo
.LBB4_6400:                             ;   in Loop: Header=BB4_5816 Depth=2
	s_or_b32 exec_lo, exec_lo, s24
.LBB4_6401:                             ;   in Loop: Header=BB4_5816 Depth=2
	s_delay_alu instid0(SALU_CYCLE_1)
	s_or_b32 exec_lo, exec_lo, s23
	global_load_b128 v[10:13], v[50:51], off offset:1536 slc dlc
	s_mov_b32 s10, 0
	s_mov_b32 s24, exec_lo
                                        ; implicit-def: $sgpr23
	s_waitcnt vmcnt(0)
	v_and_b32_e32 v51, 0xff, v10
	s_delay_alu instid0(VALU_DEP_1)
	v_cmpx_lt_i16_e32 0x7f, v51
	s_xor_b32 s24, exec_lo, s24
	s_cbranch_execnz .LBB4_6783
; %bb.6402:                             ;   in Loop: Header=BB4_5816 Depth=2
	s_or_saveexec_b32 s24, s24
	v_mov_b32_e32 v50, s23
	s_xor_b32 exec_lo, exec_lo, s24
	s_cbranch_execnz .LBB4_6786
.LBB4_6403:                             ;   in Loop: Header=BB4_5816 Depth=2
	s_or_b32 exec_lo, exec_lo, s24
	s_and_saveexec_b32 s23, s10
	s_cbranch_execz .LBB4_6405
.LBB4_6404:                             ;   in Loop: Header=BB4_5816 Depth=2
	v_bfe_u32 v182, v10, 3, 4
	s_delay_alu instid0(VALU_DEP_1) | instskip(SKIP_1) | instid1(VALU_DEP_1)
	v_cmp_eq_u32_e32 vcc_lo, 0, v182
	v_and_b32_e32 v50, 7, v10
	v_clz_i32_u32_e32 v51, v50
	s_delay_alu instid0(VALU_DEP_1) | instskip(NEXT) | instid1(VALU_DEP_1)
	v_min_u32_e32 v51, 32, v51
	v_subrev_nc_u32_e32 v181, 28, v51
	v_sub_nc_u32_e32 v51, 29, v51
	s_delay_alu instid0(VALU_DEP_2) | instskip(NEXT) | instid1(VALU_DEP_2)
	v_lshlrev_b32_e32 v181, v181, v10
	v_cndmask_b32_e32 v51, v182, v51, vcc_lo
	s_delay_alu instid0(VALU_DEP_2) | instskip(SKIP_1) | instid1(VALU_DEP_3)
	v_and_b32_e32 v181, 7, v181
	v_lshlrev_b32_e32 v183, 24, v10
	v_lshl_add_u32 v51, v51, 23, 0x3b800000
	s_delay_alu instid0(VALU_DEP_2) | instskip(NEXT) | instid1(VALU_DEP_1)
	v_dual_cndmask_b32 v50, v50, v181 :: v_dual_and_b32 v181, 0x80000000, v183
	v_lshlrev_b32_e32 v50, 20, v50
	s_delay_alu instid0(VALU_DEP_1)
	v_or3_b32 v50, v181, v51, v50
.LBB4_6405:                             ;   in Loop: Header=BB4_5816 Depth=2
	s_or_b32 exec_lo, exec_lo, s23
	s_delay_alu instid0(VALU_DEP_1) | instskip(NEXT) | instid1(VALU_DEP_1)
	v_mul_f32_e32 v51, s22, v50
	v_and_b32_e32 v50, 0x7f800000, v51
	s_delay_alu instid0(VALU_DEP_1)
	v_cmp_ne_u32_e32 vcc_lo, 0x7f800000, v50
	v_mov_b32_e32 v50, 0x80
	s_and_saveexec_b32 s23, vcc_lo
	s_cbranch_execz .LBB4_6413
; %bb.6406:                             ;   in Loop: Header=BB4_5816 Depth=2
	v_mov_b32_e32 v50, 0
	s_mov_b32 s24, exec_lo
	v_cmpx_ne_u32_e32 0, v51
	s_cbranch_execz .LBB4_6412
; %bb.6407:                             ;   in Loop: Header=BB4_5816 Depth=2
	v_bfe_u32 v50, v51, 23, 8
	s_delay_alu instid0(VALU_DEP_1) | instskip(SKIP_1) | instid1(VALU_DEP_2)
	v_sub_nc_u32_e32 v182, 0x78, v50
	v_cmp_gt_u32_e32 vcc_lo, 0x79, v50
	v_dual_cndmask_b32 v182, 0, v182 :: v_dual_and_b32 v181, 0x7fffff, v51
	s_delay_alu instid0(VALU_DEP_1) | instskip(SKIP_2) | instid1(VALU_DEP_4)
	v_or_b32_e32 v183, 0x800000, v181
	v_cmp_eq_u32_e32 vcc_lo, 0, v50
	v_add_nc_u32_e32 v50, 0xffffff89, v50
	v_cndmask_b32_e64 v182, v182, 0x77, vcc_lo
	s_delay_alu instid0(VALU_DEP_4) | instskip(NEXT) | instid1(VALU_DEP_3)
	v_cndmask_b32_e32 v181, v183, v181, vcc_lo
	v_cndmask_b32_e64 v50, v50, 0xffffff8a, vcc_lo
	s_delay_alu instid0(VALU_DEP_3) | instskip(NEXT) | instid1(VALU_DEP_3)
	v_lshl_add_u32 v183, 0x100000, v182, -1
	v_lshrrev_b32_e32 v40, v182, v181
	v_lshlrev_b32_e64 v42, v182, 0x80000
	s_delay_alu instid0(VALU_DEP_4) | instskip(NEXT) | instid1(VALU_DEP_4)
	v_add_nc_u32_e32 v182, v182, v50
	v_and_b32_e32 v181, v183, v181
	s_delay_alu instid0(VALU_DEP_4) | instskip(NEXT) | instid1(VALU_DEP_2)
	v_bfe_u32 v41, v40, 20, 1
	v_cmp_eq_u32_e64 s10, v181, v42
	s_delay_alu instid0(VALU_DEP_2) | instskip(NEXT) | instid1(VALU_DEP_1)
	v_add_nc_u32_e32 v183, -1, v41
	v_cndmask_b32_e64 v181, 0, v183, s10
	v_lshrrev_b32_e32 v183, 23, v40
	s_mov_b32 s10, exec_lo
	s_delay_alu instid0(VALU_DEP_2) | instskip(NEXT) | instid1(VALU_DEP_2)
	v_add_nc_u32_e32 v181, v181, v40
	v_xor_b32_e32 v183, 1, v183
	s_delay_alu instid0(VALU_DEP_2) | instskip(NEXT) | instid1(VALU_DEP_1)
	v_and_b32_e32 v50, 0xfffff, v181
	v_add_nc_u32_e32 v181, v50, v40
                                        ; implicit-def: $vgpr50
	s_delay_alu instid0(VALU_DEP_3)
	v_cmpx_ne_u32_e64 v182, v183
	s_xor_b32 s10, exec_lo, s10
; %bb.6408:                             ;   in Loop: Header=BB4_5816 Depth=2
	s_delay_alu instid0(VALU_DEP_2) | instskip(SKIP_2) | instid1(VALU_DEP_2)
	v_cmp_lt_u32_e32 vcc_lo, 0xffffff, v181
	v_sub_nc_u32_e32 v50, v182, v183
	v_cndmask_b32_e64 v182, 0, 1, vcc_lo
	v_add_co_ci_u32_e32 v50, vcc_lo, 0, v50, vcc_lo
	s_delay_alu instid0(VALU_DEP_2)
	v_lshrrev_b32_e32 v181, v182, v181
; %bb.6409:                             ;   in Loop: Header=BB4_5816 Depth=2
	s_and_not1_saveexec_b32 s10, s10
; %bb.6410:                             ;   in Loop: Header=BB4_5816 Depth=2
	s_delay_alu instid0(VALU_DEP_1)
	v_bfe_u32 v50, v181, 23, 1
; %bb.6411:                             ;   in Loop: Header=BB4_5816 Depth=2
	s_or_b32 exec_lo, exec_lo, s10
	v_lshrrev_b32_e32 v181, 20, v181
	s_delay_alu instid0(VALU_DEP_2) | instskip(SKIP_2) | instid1(VALU_DEP_2)
	v_cmp_gt_i32_e32 vcc_lo, 16, v50
	v_min_i32_e32 v182, 15, v50
	v_lshrrev_b32_e32 v51, 24, v51
	v_dual_cndmask_b32 v181, 7, v181 :: v_dual_lshlrev_b32 v182, 3, v182
	s_delay_alu instid0(VALU_DEP_2) | instskip(NEXT) | instid1(VALU_DEP_2)
	v_and_b32_e32 v51, 0x80, v51
	v_or_b32_e32 v50, v50, v181
	s_delay_alu instid0(VALU_DEP_1) | instskip(SKIP_1) | instid1(VALU_DEP_1)
	v_cmp_ne_u32_e32 vcc_lo, 0, v50
	v_and_b32_e32 v183, 7, v181
	v_or3_b32 v51, v182, v51, v183
	s_delay_alu instid0(VALU_DEP_1)
	v_cndmask_b32_e32 v50, 0, v51, vcc_lo
.LBB4_6412:                             ;   in Loop: Header=BB4_5816 Depth=2
	s_or_b32 exec_lo, exec_lo, s24
.LBB4_6413:                             ;   in Loop: Header=BB4_5816 Depth=2
	s_delay_alu instid0(SALU_CYCLE_1) | instskip(SKIP_3) | instid1(VALU_DEP_1)
	s_or_b32 exec_lo, exec_lo, s23
	v_lshrrev_b16 v51, 8, v10
	s_mov_b32 s10, 0
	s_mov_b32 s24, exec_lo
                                        ; implicit-def: $sgpr23
	v_cmpx_lt_i16_e32 0x7f, v51
	s_xor_b32 s24, exec_lo, s24
	s_cbranch_execnz .LBB4_6787
; %bb.6414:                             ;   in Loop: Header=BB4_5816 Depth=2
	s_or_saveexec_b32 s24, s24
	v_mov_b32_e32 v181, s23
	s_xor_b32 exec_lo, exec_lo, s24
	s_cbranch_execnz .LBB4_6790
.LBB4_6415:                             ;   in Loop: Header=BB4_5816 Depth=2
	s_or_b32 exec_lo, exec_lo, s24
	s_and_saveexec_b32 s23, s10
	s_cbranch_execz .LBB4_6417
.LBB4_6416:                             ;   in Loop: Header=BB4_5816 Depth=2
	v_and_b32_e32 v181, 0xffff, v51
	v_lshlrev_b32_e32 v51, 24, v51
	s_delay_alu instid0(VALU_DEP_2) | instskip(NEXT) | instid1(VALU_DEP_2)
	v_and_b32_e32 v182, 7, v181
	v_and_b32_e32 v51, 0x80000000, v51
	s_delay_alu instid0(VALU_DEP_2) | instskip(NEXT) | instid1(VALU_DEP_1)
	v_clz_i32_u32_e32 v183, v182
	v_min_u32_e32 v183, 32, v183
	s_delay_alu instid0(VALU_DEP_1) | instskip(SKIP_1) | instid1(VALU_DEP_2)
	v_subrev_nc_u32_e32 v40, 28, v183
	v_sub_nc_u32_e32 v183, 29, v183
	v_lshlrev_b32_e32 v40, v40, v181
	v_bfe_u32 v181, v181, 3, 4
	s_delay_alu instid0(VALU_DEP_2) | instskip(NEXT) | instid1(VALU_DEP_2)
	v_and_b32_e32 v40, 7, v40
	v_cmp_eq_u32_e32 vcc_lo, 0, v181
	s_delay_alu instid0(VALU_DEP_2) | instskip(NEXT) | instid1(VALU_DEP_1)
	v_dual_cndmask_b32 v181, v181, v183 :: v_dual_cndmask_b32 v182, v182, v40
	v_lshl_add_u32 v181, v181, 23, 0x3b800000
	s_delay_alu instid0(VALU_DEP_2) | instskip(NEXT) | instid1(VALU_DEP_1)
	v_lshlrev_b32_e32 v182, 20, v182
	v_or3_b32 v181, v51, v181, v182
.LBB4_6417:                             ;   in Loop: Header=BB4_5816 Depth=2
	s_or_b32 exec_lo, exec_lo, s23
	s_delay_alu instid0(VALU_DEP_1) | instskip(NEXT) | instid1(VALU_DEP_1)
	v_mul_f32_e32 v181, s22, v181
	v_and_b32_e32 v51, 0x7f800000, v181
	s_delay_alu instid0(VALU_DEP_1)
	v_cmp_ne_u32_e32 vcc_lo, 0x7f800000, v51
	v_mov_b32_e32 v51, 0x80
	s_and_saveexec_b32 s23, vcc_lo
	s_cbranch_execz .LBB4_6425
; %bb.6418:                             ;   in Loop: Header=BB4_5816 Depth=2
	v_mov_b32_e32 v51, 0
	s_mov_b32 s24, exec_lo
	v_cmpx_ne_u32_e32 0, v181
	s_cbranch_execz .LBB4_6424
; %bb.6419:                             ;   in Loop: Header=BB4_5816 Depth=2
	v_bfe_u32 v51, v181, 23, 8
	s_delay_alu instid0(VALU_DEP_1) | instskip(SKIP_1) | instid1(VALU_DEP_2)
	v_sub_nc_u32_e32 v183, 0x78, v51
	v_cmp_gt_u32_e32 vcc_lo, 0x79, v51
	v_dual_cndmask_b32 v183, 0, v183 :: v_dual_and_b32 v182, 0x7fffff, v181
	s_delay_alu instid0(VALU_DEP_1) | instskip(SKIP_2) | instid1(VALU_DEP_4)
	v_or_b32_e32 v40, 0x800000, v182
	v_cmp_eq_u32_e32 vcc_lo, 0, v51
	v_add_nc_u32_e32 v51, 0xffffff89, v51
	v_cndmask_b32_e64 v183, v183, 0x77, vcc_lo
	s_delay_alu instid0(VALU_DEP_4) | instskip(NEXT) | instid1(VALU_DEP_3)
	v_cndmask_b32_e32 v182, v40, v182, vcc_lo
	v_cndmask_b32_e64 v51, v51, 0xffffff8a, vcc_lo
	s_delay_alu instid0(VALU_DEP_3) | instskip(NEXT) | instid1(VALU_DEP_3)
	v_lshl_add_u32 v40, 0x100000, v183, -1
	v_lshrrev_b32_e32 v41, v183, v182
	v_lshlrev_b32_e64 v43, v183, 0x80000
	s_delay_alu instid0(VALU_DEP_4) | instskip(NEXT) | instid1(VALU_DEP_4)
	v_add_nc_u32_e32 v183, v183, v51
	v_and_b32_e32 v182, v40, v182
	s_delay_alu instid0(VALU_DEP_4) | instskip(NEXT) | instid1(VALU_DEP_2)
	v_bfe_u32 v42, v41, 20, 1
	v_cmp_eq_u32_e64 s10, v182, v43
	s_delay_alu instid0(VALU_DEP_2) | instskip(NEXT) | instid1(VALU_DEP_1)
	v_add_nc_u32_e32 v40, -1, v42
	v_cndmask_b32_e64 v182, 0, v40, s10
	v_lshrrev_b32_e32 v40, 23, v41
	s_mov_b32 s10, exec_lo
	s_delay_alu instid0(VALU_DEP_2) | instskip(NEXT) | instid1(VALU_DEP_2)
	v_add_nc_u32_e32 v182, v182, v41
	v_xor_b32_e32 v40, 1, v40
	s_delay_alu instid0(VALU_DEP_2) | instskip(NEXT) | instid1(VALU_DEP_1)
	v_and_b32_e32 v51, 0xfffff, v182
	v_add_nc_u32_e32 v182, v51, v41
                                        ; implicit-def: $vgpr51
	s_delay_alu instid0(VALU_DEP_3)
	v_cmpx_ne_u32_e64 v183, v40
	s_xor_b32 s10, exec_lo, s10
; %bb.6420:                             ;   in Loop: Header=BB4_5816 Depth=2
	s_delay_alu instid0(VALU_DEP_2) | instskip(SKIP_2) | instid1(VALU_DEP_2)
	v_cmp_lt_u32_e32 vcc_lo, 0xffffff, v182
	v_sub_nc_u32_e32 v51, v183, v40
	v_cndmask_b32_e64 v183, 0, 1, vcc_lo
	v_add_co_ci_u32_e32 v51, vcc_lo, 0, v51, vcc_lo
	s_delay_alu instid0(VALU_DEP_2)
	v_lshrrev_b32_e32 v182, v183, v182
; %bb.6421:                             ;   in Loop: Header=BB4_5816 Depth=2
	s_and_not1_saveexec_b32 s10, s10
; %bb.6422:                             ;   in Loop: Header=BB4_5816 Depth=2
	s_delay_alu instid0(VALU_DEP_1)
	v_bfe_u32 v51, v182, 23, 1
; %bb.6423:                             ;   in Loop: Header=BB4_5816 Depth=2
	s_or_b32 exec_lo, exec_lo, s10
	v_lshrrev_b32_e32 v182, 20, v182
	s_delay_alu instid0(VALU_DEP_2) | instskip(SKIP_2) | instid1(VALU_DEP_2)
	v_cmp_gt_i32_e32 vcc_lo, 16, v51
	v_lshrrev_b32_e32 v181, 24, v181
	v_min_i32_e32 v183, 15, v51
	v_dual_cndmask_b32 v182, 7, v182 :: v_dual_and_b32 v181, 0x80, v181
	s_delay_alu instid0(VALU_DEP_2) | instskip(NEXT) | instid1(VALU_DEP_2)
	v_lshlrev_b32_e32 v183, 3, v183
	v_or_b32_e32 v51, v51, v182
	s_delay_alu instid0(VALU_DEP_1) | instskip(SKIP_1) | instid1(VALU_DEP_1)
	v_cmp_ne_u32_e32 vcc_lo, 0, v51
	v_and_b32_e32 v40, 7, v182
	v_or3_b32 v181, v183, v181, v40
	s_delay_alu instid0(VALU_DEP_1)
	v_cndmask_b32_e32 v51, 0, v181, vcc_lo
.LBB4_6424:                             ;   in Loop: Header=BB4_5816 Depth=2
	s_or_b32 exec_lo, exec_lo, s24
.LBB4_6425:                             ;   in Loop: Header=BB4_5816 Depth=2
	s_delay_alu instid0(SALU_CYCLE_1) | instskip(SKIP_3) | instid1(VALU_DEP_1)
	s_or_b32 exec_lo, exec_lo, s23
	v_lshrrev_b32_e32 v181, 16, v10
	s_mov_b32 s10, 0
	s_mov_b32 s24, exec_lo
                                        ; implicit-def: $sgpr23
	v_and_b32_e32 v183, 0xff, v181
	s_delay_alu instid0(VALU_DEP_1)
	v_cmpx_lt_i16_e64 0x7f, v183
	s_xor_b32 s24, exec_lo, s24
	s_cbranch_execnz .LBB4_6791
; %bb.6426:                             ;   in Loop: Header=BB4_5816 Depth=2
	s_or_saveexec_b32 s24, s24
	v_mov_b32_e32 v182, s23
	s_xor_b32 exec_lo, exec_lo, s24
	s_cbranch_execnz .LBB4_6794
.LBB4_6427:                             ;   in Loop: Header=BB4_5816 Depth=2
	s_or_b32 exec_lo, exec_lo, s24
	s_and_saveexec_b32 s23, s10
	s_cbranch_execz .LBB4_6429
.LBB4_6428:                             ;   in Loop: Header=BB4_5816 Depth=2
	v_bfe_u32 v182, v10, 16, 3
	v_lshlrev_b32_e32 v41, 8, v10
	s_delay_alu instid0(VALU_DEP_2) | instskip(NEXT) | instid1(VALU_DEP_1)
	v_clz_i32_u32_e32 v183, v182
	v_min_u32_e32 v183, 32, v183
	s_delay_alu instid0(VALU_DEP_1) | instskip(SKIP_1) | instid1(VALU_DEP_2)
	v_subrev_nc_u32_e32 v40, 28, v183
	v_sub_nc_u32_e32 v183, 29, v183
	v_lshlrev_b32_e32 v181, v40, v181
	v_bfe_u32 v40, v10, 19, 4
	s_delay_alu instid0(VALU_DEP_2) | instskip(NEXT) | instid1(VALU_DEP_2)
	v_and_b32_e32 v181, 7, v181
	v_cmp_eq_u32_e32 vcc_lo, 0, v40
	v_cndmask_b32_e32 v183, v40, v183, vcc_lo
	s_delay_alu instid0(VALU_DEP_3) | instskip(SKIP_1) | instid1(VALU_DEP_3)
	v_cndmask_b32_e32 v181, v182, v181, vcc_lo
	v_and_b32_e32 v182, 0x80000000, v41
	v_lshl_add_u32 v183, v183, 23, 0x3b800000
	s_delay_alu instid0(VALU_DEP_3) | instskip(NEXT) | instid1(VALU_DEP_1)
	v_lshlrev_b32_e32 v181, 20, v181
	v_or3_b32 v182, v182, v183, v181
.LBB4_6429:                             ;   in Loop: Header=BB4_5816 Depth=2
	s_or_b32 exec_lo, exec_lo, s23
	s_delay_alu instid0(VALU_DEP_1) | instskip(NEXT) | instid1(VALU_DEP_1)
	v_mul_f32_e32 v182, s22, v182
	v_and_b32_e32 v181, 0x7f800000, v182
	s_delay_alu instid0(VALU_DEP_1)
	v_cmp_ne_u32_e32 vcc_lo, 0x7f800000, v181
	v_mov_b32_e32 v181, 0x80
	s_and_saveexec_b32 s23, vcc_lo
	s_cbranch_execz .LBB4_6437
; %bb.6430:                             ;   in Loop: Header=BB4_5816 Depth=2
	v_mov_b32_e32 v181, 0
	s_mov_b32 s24, exec_lo
	v_cmpx_ne_u32_e32 0, v182
	s_cbranch_execz .LBB4_6436
; %bb.6431:                             ;   in Loop: Header=BB4_5816 Depth=2
	v_bfe_u32 v181, v182, 23, 8
	s_delay_alu instid0(VALU_DEP_1) | instskip(SKIP_1) | instid1(VALU_DEP_2)
	v_sub_nc_u32_e32 v40, 0x78, v181
	v_cmp_gt_u32_e32 vcc_lo, 0x79, v181
	v_dual_cndmask_b32 v40, 0, v40 :: v_dual_and_b32 v183, 0x7fffff, v182
	s_delay_alu instid0(VALU_DEP_1) | instskip(SKIP_2) | instid1(VALU_DEP_4)
	v_or_b32_e32 v41, 0x800000, v183
	v_cmp_eq_u32_e32 vcc_lo, 0, v181
	v_add_nc_u32_e32 v181, 0xffffff89, v181
	v_cndmask_b32_e64 v40, v40, 0x77, vcc_lo
	s_delay_alu instid0(VALU_DEP_2) | instskip(SKIP_1) | instid1(VALU_DEP_3)
	v_cndmask_b32_e64 v181, v181, 0xffffff8a, vcc_lo
	v_cndmask_b32_e32 v183, v41, v183, vcc_lo
	v_lshl_add_u32 v41, 0x100000, v40, -1
	v_lshlrev_b32_e64 v44, v40, 0x80000
	s_delay_alu instid0(VALU_DEP_3) | instskip(SKIP_1) | instid1(VALU_DEP_4)
	v_lshrrev_b32_e32 v42, v40, v183
	v_add_nc_u32_e32 v40, v40, v181
	v_and_b32_e32 v183, v41, v183
	s_delay_alu instid0(VALU_DEP_3) | instskip(NEXT) | instid1(VALU_DEP_2)
	v_bfe_u32 v43, v42, 20, 1
	v_cmp_eq_u32_e64 s10, v183, v44
	s_delay_alu instid0(VALU_DEP_2) | instskip(NEXT) | instid1(VALU_DEP_1)
	v_add_nc_u32_e32 v41, -1, v43
	v_cndmask_b32_e64 v183, 0, v41, s10
	v_lshrrev_b32_e32 v41, 23, v42
	s_mov_b32 s10, exec_lo
	s_delay_alu instid0(VALU_DEP_2) | instskip(NEXT) | instid1(VALU_DEP_2)
	v_add_nc_u32_e32 v183, v183, v42
	v_xor_b32_e32 v41, 1, v41
	s_delay_alu instid0(VALU_DEP_2) | instskip(NEXT) | instid1(VALU_DEP_1)
	v_and_b32_e32 v181, 0xfffff, v183
	v_add_nc_u32_e32 v183, v181, v42
                                        ; implicit-def: $vgpr181
	s_delay_alu instid0(VALU_DEP_3)
	v_cmpx_ne_u32_e64 v40, v41
	s_xor_b32 s10, exec_lo, s10
; %bb.6432:                             ;   in Loop: Header=BB4_5816 Depth=2
	s_delay_alu instid0(VALU_DEP_2) | instskip(SKIP_2) | instid1(VALU_DEP_2)
	v_cmp_lt_u32_e32 vcc_lo, 0xffffff, v183
	v_sub_nc_u32_e32 v181, v40, v41
	v_cndmask_b32_e64 v40, 0, 1, vcc_lo
	v_add_co_ci_u32_e32 v181, vcc_lo, 0, v181, vcc_lo
	s_delay_alu instid0(VALU_DEP_2)
	v_lshrrev_b32_e32 v183, v40, v183
; %bb.6433:                             ;   in Loop: Header=BB4_5816 Depth=2
	s_and_not1_saveexec_b32 s10, s10
; %bb.6434:                             ;   in Loop: Header=BB4_5816 Depth=2
	s_delay_alu instid0(VALU_DEP_1)
	v_bfe_u32 v181, v183, 23, 1
; %bb.6435:                             ;   in Loop: Header=BB4_5816 Depth=2
	s_or_b32 exec_lo, exec_lo, s10
	v_lshrrev_b32_e32 v183, 20, v183
	s_delay_alu instid0(VALU_DEP_2) | instskip(SKIP_2) | instid1(VALU_DEP_2)
	v_cmp_gt_i32_e32 vcc_lo, 16, v181
	v_lshrrev_b32_e32 v182, 24, v182
	v_min_i32_e32 v40, 15, v181
	v_dual_cndmask_b32 v183, 7, v183 :: v_dual_and_b32 v182, 0x80, v182
	s_delay_alu instid0(VALU_DEP_1) | instskip(SKIP_1) | instid1(VALU_DEP_2)
	v_or_b32_e32 v181, v181, v183
	v_and_b32_e32 v41, 7, v183
	v_cmp_ne_u32_e32 vcc_lo, 0, v181
	v_lshlrev_b32_e32 v40, 3, v40
	s_delay_alu instid0(VALU_DEP_1) | instskip(NEXT) | instid1(VALU_DEP_1)
	v_or3_b32 v182, v40, v182, v41
	v_cndmask_b32_e32 v181, 0, v182, vcc_lo
.LBB4_6436:                             ;   in Loop: Header=BB4_5816 Depth=2
	s_or_b32 exec_lo, exec_lo, s24
.LBB4_6437:                             ;   in Loop: Header=BB4_5816 Depth=2
	s_delay_alu instid0(SALU_CYCLE_1) | instskip(SKIP_3) | instid1(VALU_DEP_1)
	s_or_b32 exec_lo, exec_lo, s23
	v_lshrrev_b32_e32 v182, 24, v10
	s_mov_b32 s10, 0
	s_mov_b32 s24, exec_lo
                                        ; implicit-def: $sgpr23
	v_cmpx_lt_i16_e64 0x7f, v182
	s_xor_b32 s24, exec_lo, s24
	s_cbranch_execnz .LBB4_6795
; %bb.6438:                             ;   in Loop: Header=BB4_5816 Depth=2
	s_or_saveexec_b32 s24, s24
	v_mov_b32_e32 v183, s23
	s_xor_b32 exec_lo, exec_lo, s24
	s_cbranch_execnz .LBB4_6798
.LBB4_6439:                             ;   in Loop: Header=BB4_5816 Depth=2
	s_or_b32 exec_lo, exec_lo, s24
	s_and_saveexec_b32 s23, s10
	s_cbranch_execz .LBB4_6441
.LBB4_6440:                             ;   in Loop: Header=BB4_5816 Depth=2
	v_bfe_u32 v183, v10, 24, 3
	s_delay_alu instid0(VALU_DEP_1) | instskip(NEXT) | instid1(VALU_DEP_1)
	v_clz_i32_u32_e32 v40, v183
	v_min_u32_e32 v40, 32, v40
	s_delay_alu instid0(VALU_DEP_1) | instskip(SKIP_1) | instid1(VALU_DEP_2)
	v_subrev_nc_u32_e32 v41, 28, v40
	v_sub_nc_u32_e32 v40, 29, v40
	v_lshlrev_b32_e32 v182, v41, v182
	v_bfe_u32 v41, v10, 27, 4
	v_and_b32_e32 v10, 0x80000000, v10
	s_delay_alu instid0(VALU_DEP_3) | instskip(NEXT) | instid1(VALU_DEP_3)
	v_and_b32_e32 v182, 7, v182
	v_cmp_eq_u32_e32 vcc_lo, 0, v41
	v_cndmask_b32_e32 v40, v41, v40, vcc_lo
	s_delay_alu instid0(VALU_DEP_3) | instskip(NEXT) | instid1(VALU_DEP_2)
	v_cndmask_b32_e32 v182, v183, v182, vcc_lo
	v_lshl_add_u32 v183, v40, 23, 0x3b800000
	s_delay_alu instid0(VALU_DEP_2) | instskip(NEXT) | instid1(VALU_DEP_1)
	v_lshlrev_b32_e32 v182, 20, v182
	v_or3_b32 v183, v10, v183, v182
.LBB4_6441:                             ;   in Loop: Header=BB4_5816 Depth=2
	s_or_b32 exec_lo, exec_lo, s23
	s_delay_alu instid0(VALU_DEP_1) | instskip(NEXT) | instid1(VALU_DEP_1)
	v_mul_f32_e32 v182, s22, v183
	v_and_b32_e32 v10, 0x7f800000, v182
	s_delay_alu instid0(VALU_DEP_1)
	v_cmp_ne_u32_e32 vcc_lo, 0x7f800000, v10
	v_mov_b32_e32 v10, 0x80
	s_and_saveexec_b32 s23, vcc_lo
	s_cbranch_execz .LBB4_6449
; %bb.6442:                             ;   in Loop: Header=BB4_5816 Depth=2
	v_mov_b32_e32 v10, 0
	s_mov_b32 s24, exec_lo
	v_cmpx_ne_u32_e32 0, v182
	s_cbranch_execz .LBB4_6448
; %bb.6443:                             ;   in Loop: Header=BB4_5816 Depth=2
	v_bfe_u32 v10, v182, 23, 8
	s_delay_alu instid0(VALU_DEP_1) | instskip(SKIP_1) | instid1(VALU_DEP_2)
	v_sub_nc_u32_e32 v40, 0x78, v10
	v_cmp_gt_u32_e32 vcc_lo, 0x79, v10
	v_dual_cndmask_b32 v40, 0, v40 :: v_dual_and_b32 v183, 0x7fffff, v182
	s_delay_alu instid0(VALU_DEP_1) | instskip(SKIP_2) | instid1(VALU_DEP_4)
	v_or_b32_e32 v41, 0x800000, v183
	v_cmp_eq_u32_e32 vcc_lo, 0, v10
	v_add_nc_u32_e32 v10, 0xffffff89, v10
	v_cndmask_b32_e64 v40, v40, 0x77, vcc_lo
	s_delay_alu instid0(VALU_DEP_4) | instskip(NEXT) | instid1(VALU_DEP_3)
	v_cndmask_b32_e32 v183, v41, v183, vcc_lo
	v_cndmask_b32_e64 v10, v10, 0xffffff8a, vcc_lo
	s_delay_alu instid0(VALU_DEP_3) | instskip(NEXT) | instid1(VALU_DEP_3)
	v_lshl_add_u32 v41, 0x100000, v40, -1
	v_lshrrev_b32_e32 v42, v40, v183
	v_lshlrev_b32_e64 v44, v40, 0x80000
	s_delay_alu instid0(VALU_DEP_4) | instskip(NEXT) | instid1(VALU_DEP_4)
	v_add_nc_u32_e32 v40, v40, v10
	v_and_b32_e32 v183, v41, v183
	s_delay_alu instid0(VALU_DEP_4) | instskip(NEXT) | instid1(VALU_DEP_2)
	v_bfe_u32 v43, v42, 20, 1
	v_cmp_eq_u32_e64 s10, v183, v44
	s_delay_alu instid0(VALU_DEP_2) | instskip(NEXT) | instid1(VALU_DEP_1)
	v_add_nc_u32_e32 v41, -1, v43
	v_cndmask_b32_e64 v183, 0, v41, s10
	v_lshrrev_b32_e32 v41, 23, v42
	s_mov_b32 s10, exec_lo
	s_delay_alu instid0(VALU_DEP_2) | instskip(NEXT) | instid1(VALU_DEP_2)
	v_add_nc_u32_e32 v183, v183, v42
	v_xor_b32_e32 v41, 1, v41
	s_delay_alu instid0(VALU_DEP_2) | instskip(NEXT) | instid1(VALU_DEP_1)
	v_and_b32_e32 v10, 0xfffff, v183
	v_add_nc_u32_e32 v183, v10, v42
                                        ; implicit-def: $vgpr10
	s_delay_alu instid0(VALU_DEP_3)
	v_cmpx_ne_u32_e64 v40, v41
	s_xor_b32 s10, exec_lo, s10
; %bb.6444:                             ;   in Loop: Header=BB4_5816 Depth=2
	s_delay_alu instid0(VALU_DEP_2) | instskip(SKIP_2) | instid1(VALU_DEP_2)
	v_cmp_lt_u32_e32 vcc_lo, 0xffffff, v183
	v_sub_nc_u32_e32 v10, v40, v41
	v_cndmask_b32_e64 v40, 0, 1, vcc_lo
	v_add_co_ci_u32_e32 v10, vcc_lo, 0, v10, vcc_lo
	s_delay_alu instid0(VALU_DEP_2)
	v_lshrrev_b32_e32 v183, v40, v183
; %bb.6445:                             ;   in Loop: Header=BB4_5816 Depth=2
	s_and_not1_saveexec_b32 s10, s10
; %bb.6446:                             ;   in Loop: Header=BB4_5816 Depth=2
	s_delay_alu instid0(VALU_DEP_1)
	v_bfe_u32 v10, v183, 23, 1
; %bb.6447:                             ;   in Loop: Header=BB4_5816 Depth=2
	s_or_b32 exec_lo, exec_lo, s10
	v_lshrrev_b32_e32 v183, 20, v183
	s_delay_alu instid0(VALU_DEP_2) | instskip(SKIP_2) | instid1(VALU_DEP_2)
	v_cmp_gt_i32_e32 vcc_lo, 16, v10
	v_lshrrev_b32_e32 v182, 24, v182
	v_min_i32_e32 v40, 15, v10
	v_dual_cndmask_b32 v183, 7, v183 :: v_dual_and_b32 v182, 0x80, v182
	s_delay_alu instid0(VALU_DEP_2) | instskip(NEXT) | instid1(VALU_DEP_2)
	v_lshlrev_b32_e32 v40, 3, v40
	v_or_b32_e32 v10, v10, v183
	s_delay_alu instid0(VALU_DEP_1) | instskip(SKIP_1) | instid1(VALU_DEP_1)
	v_cmp_ne_u32_e32 vcc_lo, 0, v10
	v_and_b32_e32 v41, 7, v183
	v_or3_b32 v182, v40, v182, v41
	s_delay_alu instid0(VALU_DEP_1)
	v_cndmask_b32_e32 v10, 0, v182, vcc_lo
.LBB4_6448:                             ;   in Loop: Header=BB4_5816 Depth=2
	s_or_b32 exec_lo, exec_lo, s24
.LBB4_6449:                             ;   in Loop: Header=BB4_5816 Depth=2
	s_delay_alu instid0(SALU_CYCLE_1) | instskip(SKIP_3) | instid1(VALU_DEP_1)
	s_or_b32 exec_lo, exec_lo, s23
	v_and_b32_e32 v183, 0xff, v11
	s_mov_b32 s10, 0
	s_mov_b32 s24, exec_lo
                                        ; implicit-def: $sgpr23
	v_cmpx_lt_i16_e64 0x7f, v183
	s_xor_b32 s24, exec_lo, s24
	s_cbranch_execnz .LBB4_6799
; %bb.6450:                             ;   in Loop: Header=BB4_5816 Depth=2
	s_or_saveexec_b32 s24, s24
	v_mov_b32_e32 v182, s23
	s_xor_b32 exec_lo, exec_lo, s24
	s_cbranch_execnz .LBB4_6802
.LBB4_6451:                             ;   in Loop: Header=BB4_5816 Depth=2
	s_or_b32 exec_lo, exec_lo, s24
	s_and_saveexec_b32 s23, s10
	s_cbranch_execz .LBB4_6453
.LBB4_6452:                             ;   in Loop: Header=BB4_5816 Depth=2
	v_and_b32_e32 v182, 7, v11
	v_bfe_u32 v41, v11, 3, 4
	v_lshlrev_b32_e32 v42, 24, v11
	s_delay_alu instid0(VALU_DEP_3) | instskip(NEXT) | instid1(VALU_DEP_3)
	v_clz_i32_u32_e32 v183, v182
	v_cmp_eq_u32_e32 vcc_lo, 0, v41
	s_delay_alu instid0(VALU_DEP_2) | instskip(NEXT) | instid1(VALU_DEP_1)
	v_min_u32_e32 v183, 32, v183
	v_subrev_nc_u32_e32 v40, 28, v183
	v_sub_nc_u32_e32 v183, 29, v183
	s_delay_alu instid0(VALU_DEP_2) | instskip(NEXT) | instid1(VALU_DEP_1)
	v_lshlrev_b32_e32 v40, v40, v11
	v_dual_cndmask_b32 v183, v41, v183 :: v_dual_and_b32 v40, 7, v40
	s_delay_alu instid0(VALU_DEP_1) | instskip(NEXT) | instid1(VALU_DEP_2)
	v_lshl_add_u32 v183, v183, 23, 0x3b800000
	v_cndmask_b32_e32 v182, v182, v40, vcc_lo
	v_and_b32_e32 v40, 0x80000000, v42
	s_delay_alu instid0(VALU_DEP_2) | instskip(NEXT) | instid1(VALU_DEP_1)
	v_lshlrev_b32_e32 v182, 20, v182
	v_or3_b32 v182, v40, v183, v182
.LBB4_6453:                             ;   in Loop: Header=BB4_5816 Depth=2
	s_or_b32 exec_lo, exec_lo, s23
	s_delay_alu instid0(VALU_DEP_1) | instskip(NEXT) | instid1(VALU_DEP_1)
	v_mul_f32_e32 v183, s22, v182
	v_and_b32_e32 v182, 0x7f800000, v183
	s_delay_alu instid0(VALU_DEP_1)
	v_cmp_ne_u32_e32 vcc_lo, 0x7f800000, v182
	v_mov_b32_e32 v182, 0x80
	s_and_saveexec_b32 s23, vcc_lo
	s_cbranch_execz .LBB4_6461
; %bb.6454:                             ;   in Loop: Header=BB4_5816 Depth=2
	v_mov_b32_e32 v182, 0
	s_mov_b32 s24, exec_lo
	v_cmpx_ne_u32_e32 0, v183
	s_cbranch_execz .LBB4_6460
; %bb.6455:                             ;   in Loop: Header=BB4_5816 Depth=2
	v_bfe_u32 v182, v183, 23, 8
	s_delay_alu instid0(VALU_DEP_1) | instskip(SKIP_1) | instid1(VALU_DEP_2)
	v_sub_nc_u32_e32 v41, 0x78, v182
	v_cmp_gt_u32_e32 vcc_lo, 0x79, v182
	v_dual_cndmask_b32 v41, 0, v41 :: v_dual_and_b32 v40, 0x7fffff, v183
	s_delay_alu instid0(VALU_DEP_1) | instskip(SKIP_2) | instid1(VALU_DEP_4)
	v_or_b32_e32 v42, 0x800000, v40
	v_cmp_eq_u32_e32 vcc_lo, 0, v182
	v_add_nc_u32_e32 v182, 0xffffff89, v182
	v_cndmask_b32_e64 v41, v41, 0x77, vcc_lo
	s_delay_alu instid0(VALU_DEP_2) | instskip(SKIP_1) | instid1(VALU_DEP_3)
	v_cndmask_b32_e64 v182, v182, 0xffffff8a, vcc_lo
	v_cndmask_b32_e32 v40, v42, v40, vcc_lo
	v_lshl_add_u32 v42, 0x100000, v41, -1
	v_lshlrev_b32_e64 v45, v41, 0x80000
	s_delay_alu instid0(VALU_DEP_3) | instskip(SKIP_1) | instid1(VALU_DEP_4)
	v_lshrrev_b32_e32 v43, v41, v40
	v_add_nc_u32_e32 v41, v41, v182
	v_and_b32_e32 v40, v42, v40
	s_delay_alu instid0(VALU_DEP_3) | instskip(NEXT) | instid1(VALU_DEP_2)
	v_bfe_u32 v44, v43, 20, 1
	v_cmp_eq_u32_e64 s10, v40, v45
	s_delay_alu instid0(VALU_DEP_2) | instskip(NEXT) | instid1(VALU_DEP_1)
	v_add_nc_u32_e32 v42, -1, v44
	v_cndmask_b32_e64 v40, 0, v42, s10
	v_lshrrev_b32_e32 v42, 23, v43
	s_mov_b32 s10, exec_lo
	s_delay_alu instid0(VALU_DEP_2) | instskip(NEXT) | instid1(VALU_DEP_2)
	v_add_nc_u32_e32 v40, v40, v43
	v_xor_b32_e32 v42, 1, v42
	s_delay_alu instid0(VALU_DEP_2) | instskip(NEXT) | instid1(VALU_DEP_1)
	v_and_b32_e32 v182, 0xfffff, v40
	v_add_nc_u32_e32 v40, v182, v43
                                        ; implicit-def: $vgpr182
	s_delay_alu instid0(VALU_DEP_3)
	v_cmpx_ne_u32_e64 v41, v42
	s_xor_b32 s10, exec_lo, s10
; %bb.6456:                             ;   in Loop: Header=BB4_5816 Depth=2
	s_delay_alu instid0(VALU_DEP_2) | instskip(SKIP_2) | instid1(VALU_DEP_2)
	v_cmp_lt_u32_e32 vcc_lo, 0xffffff, v40
	v_sub_nc_u32_e32 v182, v41, v42
	v_cndmask_b32_e64 v41, 0, 1, vcc_lo
	v_add_co_ci_u32_e32 v182, vcc_lo, 0, v182, vcc_lo
	s_delay_alu instid0(VALU_DEP_2)
	v_lshrrev_b32_e32 v40, v41, v40
; %bb.6457:                             ;   in Loop: Header=BB4_5816 Depth=2
	s_and_not1_saveexec_b32 s10, s10
; %bb.6458:                             ;   in Loop: Header=BB4_5816 Depth=2
	s_delay_alu instid0(VALU_DEP_1)
	v_bfe_u32 v182, v40, 23, 1
; %bb.6459:                             ;   in Loop: Header=BB4_5816 Depth=2
	s_or_b32 exec_lo, exec_lo, s10
	v_lshrrev_b32_e32 v40, 20, v40
	s_delay_alu instid0(VALU_DEP_2) | instskip(SKIP_2) | instid1(VALU_DEP_2)
	v_cmp_gt_i32_e32 vcc_lo, 16, v182
	v_min_i32_e32 v41, 15, v182
	v_lshrrev_b32_e32 v183, 24, v183
	v_dual_cndmask_b32 v40, 7, v40 :: v_dual_lshlrev_b32 v41, 3, v41
	s_delay_alu instid0(VALU_DEP_2) | instskip(NEXT) | instid1(VALU_DEP_2)
	v_and_b32_e32 v183, 0x80, v183
	v_or_b32_e32 v182, v182, v40
	v_and_b32_e32 v42, 7, v40
	s_delay_alu instid0(VALU_DEP_2) | instskip(SKIP_1) | instid1(VALU_DEP_1)
	v_cmp_ne_u32_e32 vcc_lo, 0, v182
	v_and_b32_e32 v41, 0xf8, v41
	v_or3_b32 v183, v41, v183, v42
	s_delay_alu instid0(VALU_DEP_1)
	v_cndmask_b32_e32 v182, 0, v183, vcc_lo
.LBB4_6460:                             ;   in Loop: Header=BB4_5816 Depth=2
	s_or_b32 exec_lo, exec_lo, s24
.LBB4_6461:                             ;   in Loop: Header=BB4_5816 Depth=2
	s_delay_alu instid0(SALU_CYCLE_1) | instskip(SKIP_3) | instid1(VALU_DEP_1)
	s_or_b32 exec_lo, exec_lo, s23
	v_lshrrev_b16 v183, 8, v11
	s_mov_b32 s10, 0
	s_mov_b32 s24, exec_lo
                                        ; implicit-def: $sgpr23
	v_cmpx_lt_i16_e64 0x7f, v183
	s_xor_b32 s24, exec_lo, s24
	s_cbranch_execnz .LBB4_6803
; %bb.6462:                             ;   in Loop: Header=BB4_5816 Depth=2
	s_or_saveexec_b32 s24, s24
	v_mov_b32_e32 v40, s23
	s_xor_b32 exec_lo, exec_lo, s24
	s_cbranch_execnz .LBB4_6806
.LBB4_6463:                             ;   in Loop: Header=BB4_5816 Depth=2
	s_or_b32 exec_lo, exec_lo, s24
	s_and_saveexec_b32 s23, s10
	s_cbranch_execz .LBB4_6465
.LBB4_6464:                             ;   in Loop: Header=BB4_5816 Depth=2
	v_and_b32_e32 v40, 0xffff, v183
	v_lshlrev_b32_e32 v183, 24, v183
	s_delay_alu instid0(VALU_DEP_2) | instskip(NEXT) | instid1(VALU_DEP_2)
	v_and_b32_e32 v41, 7, v40
	v_and_b32_e32 v183, 0x80000000, v183
	s_delay_alu instid0(VALU_DEP_2) | instskip(NEXT) | instid1(VALU_DEP_1)
	v_clz_i32_u32_e32 v42, v41
	v_min_u32_e32 v42, 32, v42
	s_delay_alu instid0(VALU_DEP_1) | instskip(SKIP_1) | instid1(VALU_DEP_2)
	v_subrev_nc_u32_e32 v43, 28, v42
	v_sub_nc_u32_e32 v42, 29, v42
	v_lshlrev_b32_e32 v43, v43, v40
	v_bfe_u32 v40, v40, 3, 4
	s_delay_alu instid0(VALU_DEP_2) | instskip(NEXT) | instid1(VALU_DEP_2)
	v_and_b32_e32 v43, 7, v43
	v_cmp_eq_u32_e32 vcc_lo, 0, v40
	s_delay_alu instid0(VALU_DEP_2) | instskip(NEXT) | instid1(VALU_DEP_1)
	v_dual_cndmask_b32 v40, v40, v42 :: v_dual_cndmask_b32 v41, v41, v43
	v_lshl_add_u32 v40, v40, 23, 0x3b800000
	s_delay_alu instid0(VALU_DEP_2) | instskip(NEXT) | instid1(VALU_DEP_1)
	v_lshlrev_b32_e32 v41, 20, v41
	v_or3_b32 v40, v183, v40, v41
.LBB4_6465:                             ;   in Loop: Header=BB4_5816 Depth=2
	s_or_b32 exec_lo, exec_lo, s23
	s_delay_alu instid0(VALU_DEP_1) | instskip(NEXT) | instid1(VALU_DEP_1)
	v_mul_f32_e32 v40, s22, v40
	v_and_b32_e32 v183, 0x7f800000, v40
	s_delay_alu instid0(VALU_DEP_1)
	v_cmp_ne_u32_e32 vcc_lo, 0x7f800000, v183
	v_mov_b32_e32 v183, 0x8000
	s_and_saveexec_b32 s23, vcc_lo
	s_cbranch_execz .LBB4_6473
; %bb.6466:                             ;   in Loop: Header=BB4_5816 Depth=2
	v_mov_b32_e32 v183, 0
	s_mov_b32 s24, exec_lo
	v_cmpx_ne_u32_e32 0, v40
	s_cbranch_execz .LBB4_6472
; %bb.6467:                             ;   in Loop: Header=BB4_5816 Depth=2
	v_bfe_u32 v183, v40, 23, 8
	s_delay_alu instid0(VALU_DEP_1) | instskip(SKIP_1) | instid1(VALU_DEP_2)
	v_sub_nc_u32_e32 v42, 0x78, v183
	v_cmp_gt_u32_e32 vcc_lo, 0x79, v183
	v_dual_cndmask_b32 v42, 0, v42 :: v_dual_and_b32 v41, 0x7fffff, v40
	s_delay_alu instid0(VALU_DEP_1) | instskip(SKIP_2) | instid1(VALU_DEP_4)
	v_or_b32_e32 v43, 0x800000, v41
	v_cmp_eq_u32_e32 vcc_lo, 0, v183
	v_add_nc_u32_e32 v183, 0xffffff89, v183
	v_cndmask_b32_e64 v42, v42, 0x77, vcc_lo
	s_delay_alu instid0(VALU_DEP_2) | instskip(SKIP_1) | instid1(VALU_DEP_3)
	v_cndmask_b32_e64 v183, v183, 0xffffff8a, vcc_lo
	v_cndmask_b32_e32 v41, v43, v41, vcc_lo
	v_lshl_add_u32 v43, 0x100000, v42, -1
	v_lshlrev_b32_e64 v46, v42, 0x80000
	s_delay_alu instid0(VALU_DEP_3) | instskip(SKIP_1) | instid1(VALU_DEP_4)
	v_lshrrev_b32_e32 v44, v42, v41
	v_add_nc_u32_e32 v42, v42, v183
	v_and_b32_e32 v41, v43, v41
	s_delay_alu instid0(VALU_DEP_3) | instskip(NEXT) | instid1(VALU_DEP_2)
	v_bfe_u32 v45, v44, 20, 1
	v_cmp_eq_u32_e64 s10, v41, v46
	s_delay_alu instid0(VALU_DEP_2) | instskip(NEXT) | instid1(VALU_DEP_1)
	v_add_nc_u32_e32 v43, -1, v45
	v_cndmask_b32_e64 v41, 0, v43, s10
	v_lshrrev_b32_e32 v43, 23, v44
	s_mov_b32 s10, exec_lo
	s_delay_alu instid0(VALU_DEP_2) | instskip(NEXT) | instid1(VALU_DEP_2)
	v_add_nc_u32_e32 v41, v41, v44
	v_xor_b32_e32 v43, 1, v43
	s_delay_alu instid0(VALU_DEP_2) | instskip(NEXT) | instid1(VALU_DEP_1)
	v_and_b32_e32 v183, 0xfffff, v41
	v_add_nc_u32_e32 v41, v183, v44
                                        ; implicit-def: $vgpr183
	s_delay_alu instid0(VALU_DEP_3)
	v_cmpx_ne_u32_e64 v42, v43
	s_xor_b32 s10, exec_lo, s10
; %bb.6468:                             ;   in Loop: Header=BB4_5816 Depth=2
	s_delay_alu instid0(VALU_DEP_2) | instskip(SKIP_2) | instid1(VALU_DEP_2)
	v_cmp_lt_u32_e32 vcc_lo, 0xffffff, v41
	v_sub_nc_u32_e32 v183, v42, v43
	v_cndmask_b32_e64 v42, 0, 1, vcc_lo
	v_add_co_ci_u32_e32 v183, vcc_lo, 0, v183, vcc_lo
	s_delay_alu instid0(VALU_DEP_2)
	v_lshrrev_b32_e32 v41, v42, v41
; %bb.6469:                             ;   in Loop: Header=BB4_5816 Depth=2
	s_and_not1_saveexec_b32 s10, s10
; %bb.6470:                             ;   in Loop: Header=BB4_5816 Depth=2
	s_delay_alu instid0(VALU_DEP_1)
	v_bfe_u32 v183, v41, 23, 1
; %bb.6471:                             ;   in Loop: Header=BB4_5816 Depth=2
	s_or_b32 exec_lo, exec_lo, s10
	v_lshrrev_b32_e32 v41, 20, v41
	s_delay_alu instid0(VALU_DEP_2) | instskip(SKIP_2) | instid1(VALU_DEP_2)
	v_cmp_gt_i32_e32 vcc_lo, 16, v183
	v_min_i32_e32 v42, 15, v183
	v_lshrrev_b32_e32 v40, 24, v40
	v_dual_cndmask_b32 v41, 7, v41 :: v_dual_lshlrev_b32 v42, 3, v42
	s_delay_alu instid0(VALU_DEP_2) | instskip(NEXT) | instid1(VALU_DEP_2)
	v_and_b32_e32 v40, 0x80, v40
	v_or_b32_e32 v183, v183, v41
	v_and_b32_e32 v43, 7, v41
	s_delay_alu instid0(VALU_DEP_2) | instskip(SKIP_1) | instid1(VALU_DEP_1)
	v_cmp_ne_u32_e32 vcc_lo, 0, v183
	v_and_b32_e32 v42, 0xf8, v42
	v_or3_b32 v40, v40, v42, v43
	s_delay_alu instid0(VALU_DEP_1) | instskip(NEXT) | instid1(VALU_DEP_1)
	v_lshlrev_b32_e32 v40, 8, v40
	v_cndmask_b32_e32 v183, 0, v40, vcc_lo
.LBB4_6472:                             ;   in Loop: Header=BB4_5816 Depth=2
	s_or_b32 exec_lo, exec_lo, s24
.LBB4_6473:                             ;   in Loop: Header=BB4_5816 Depth=2
	s_delay_alu instid0(SALU_CYCLE_1) | instskip(SKIP_3) | instid1(VALU_DEP_1)
	s_or_b32 exec_lo, exec_lo, s23
	v_lshrrev_b32_e32 v40, 16, v11
	s_mov_b32 s10, 0
	s_mov_b32 s24, exec_lo
                                        ; implicit-def: $sgpr23
	v_and_b32_e32 v42, 0xff, v40
	s_delay_alu instid0(VALU_DEP_1)
	v_cmpx_lt_i16_e32 0x7f, v42
	s_xor_b32 s24, exec_lo, s24
	s_cbranch_execnz .LBB4_6807
; %bb.6474:                             ;   in Loop: Header=BB4_5816 Depth=2
	s_or_saveexec_b32 s24, s24
	v_mov_b32_e32 v41, s23
	s_xor_b32 exec_lo, exec_lo, s24
	s_cbranch_execnz .LBB4_6810
.LBB4_6475:                             ;   in Loop: Header=BB4_5816 Depth=2
	s_or_b32 exec_lo, exec_lo, s24
	s_and_saveexec_b32 s23, s10
	s_cbranch_execz .LBB4_6477
.LBB4_6476:                             ;   in Loop: Header=BB4_5816 Depth=2
	v_bfe_u32 v41, v11, 16, 3
	v_lshlrev_b32_e32 v44, 8, v11
	s_delay_alu instid0(VALU_DEP_2) | instskip(NEXT) | instid1(VALU_DEP_1)
	v_clz_i32_u32_e32 v42, v41
	v_min_u32_e32 v42, 32, v42
	s_delay_alu instid0(VALU_DEP_1) | instskip(SKIP_1) | instid1(VALU_DEP_2)
	v_subrev_nc_u32_e32 v43, 28, v42
	v_sub_nc_u32_e32 v42, 29, v42
	v_lshlrev_b32_e32 v40, v43, v40
	v_bfe_u32 v43, v11, 19, 4
	s_delay_alu instid0(VALU_DEP_2) | instskip(NEXT) | instid1(VALU_DEP_2)
	v_and_b32_e32 v40, 7, v40
	v_cmp_eq_u32_e32 vcc_lo, 0, v43
	v_cndmask_b32_e32 v42, v43, v42, vcc_lo
	s_delay_alu instid0(VALU_DEP_3) | instskip(SKIP_1) | instid1(VALU_DEP_3)
	v_cndmask_b32_e32 v40, v41, v40, vcc_lo
	v_and_b32_e32 v41, 0x80000000, v44
	v_lshl_add_u32 v42, v42, 23, 0x3b800000
	s_delay_alu instid0(VALU_DEP_3) | instskip(NEXT) | instid1(VALU_DEP_1)
	v_lshlrev_b32_e32 v40, 20, v40
	v_or3_b32 v41, v41, v42, v40
.LBB4_6477:                             ;   in Loop: Header=BB4_5816 Depth=2
	s_or_b32 exec_lo, exec_lo, s23
	s_delay_alu instid0(VALU_DEP_1) | instskip(NEXT) | instid1(VALU_DEP_1)
	v_mul_f32_e32 v41, s22, v41
	v_and_b32_e32 v40, 0x7f800000, v41
	s_delay_alu instid0(VALU_DEP_1)
	v_cmp_ne_u32_e32 vcc_lo, 0x7f800000, v40
	v_mov_b32_e32 v40, 0x80
	s_and_saveexec_b32 s23, vcc_lo
	s_cbranch_execz .LBB4_6485
; %bb.6478:                             ;   in Loop: Header=BB4_5816 Depth=2
	v_mov_b32_e32 v40, 0
	s_mov_b32 s24, exec_lo
	v_cmpx_ne_u32_e32 0, v41
	s_cbranch_execz .LBB4_6484
; %bb.6479:                             ;   in Loop: Header=BB4_5816 Depth=2
	v_bfe_u32 v40, v41, 23, 8
	s_delay_alu instid0(VALU_DEP_1) | instskip(SKIP_1) | instid1(VALU_DEP_2)
	v_sub_nc_u32_e32 v43, 0x78, v40
	v_cmp_gt_u32_e32 vcc_lo, 0x79, v40
	v_dual_cndmask_b32 v43, 0, v43 :: v_dual_and_b32 v42, 0x7fffff, v41
	s_delay_alu instid0(VALU_DEP_1) | instskip(SKIP_2) | instid1(VALU_DEP_4)
	v_or_b32_e32 v44, 0x800000, v42
	v_cmp_eq_u32_e32 vcc_lo, 0, v40
	v_add_nc_u32_e32 v40, 0xffffff89, v40
	v_cndmask_b32_e64 v43, v43, 0x77, vcc_lo
	s_delay_alu instid0(VALU_DEP_2) | instskip(SKIP_1) | instid1(VALU_DEP_3)
	v_cndmask_b32_e64 v40, v40, 0xffffff8a, vcc_lo
	v_cndmask_b32_e32 v42, v44, v42, vcc_lo
	v_lshl_add_u32 v44, 0x100000, v43, -1
	v_lshlrev_b32_e64 v47, v43, 0x80000
	s_delay_alu instid0(VALU_DEP_3) | instskip(SKIP_1) | instid1(VALU_DEP_4)
	v_lshrrev_b32_e32 v45, v43, v42
	v_add_nc_u32_e32 v43, v43, v40
	v_and_b32_e32 v42, v44, v42
	s_delay_alu instid0(VALU_DEP_3) | instskip(NEXT) | instid1(VALU_DEP_2)
	v_bfe_u32 v46, v45, 20, 1
	v_cmp_eq_u32_e64 s10, v42, v47
	s_delay_alu instid0(VALU_DEP_2) | instskip(NEXT) | instid1(VALU_DEP_1)
	v_add_nc_u32_e32 v44, -1, v46
	v_cndmask_b32_e64 v42, 0, v44, s10
	v_lshrrev_b32_e32 v44, 23, v45
	s_mov_b32 s10, exec_lo
	s_delay_alu instid0(VALU_DEP_2) | instskip(NEXT) | instid1(VALU_DEP_2)
	v_add_nc_u32_e32 v42, v42, v45
	v_xor_b32_e32 v44, 1, v44
	s_delay_alu instid0(VALU_DEP_2) | instskip(NEXT) | instid1(VALU_DEP_1)
	v_and_b32_e32 v40, 0xfffff, v42
	v_add_nc_u32_e32 v42, v40, v45
                                        ; implicit-def: $vgpr40
	s_delay_alu instid0(VALU_DEP_3)
	v_cmpx_ne_u32_e64 v43, v44
	s_xor_b32 s10, exec_lo, s10
; %bb.6480:                             ;   in Loop: Header=BB4_5816 Depth=2
	s_delay_alu instid0(VALU_DEP_2) | instskip(SKIP_2) | instid1(VALU_DEP_2)
	v_cmp_lt_u32_e32 vcc_lo, 0xffffff, v42
	v_sub_nc_u32_e32 v40, v43, v44
	v_cndmask_b32_e64 v43, 0, 1, vcc_lo
	v_add_co_ci_u32_e32 v40, vcc_lo, 0, v40, vcc_lo
	s_delay_alu instid0(VALU_DEP_2)
	v_lshrrev_b32_e32 v42, v43, v42
; %bb.6481:                             ;   in Loop: Header=BB4_5816 Depth=2
	s_and_not1_saveexec_b32 s10, s10
; %bb.6482:                             ;   in Loop: Header=BB4_5816 Depth=2
	s_delay_alu instid0(VALU_DEP_1)
	v_bfe_u32 v40, v42, 23, 1
; %bb.6483:                             ;   in Loop: Header=BB4_5816 Depth=2
	s_or_b32 exec_lo, exec_lo, s10
	v_lshrrev_b32_e32 v42, 20, v42
	s_delay_alu instid0(VALU_DEP_2) | instskip(SKIP_2) | instid1(VALU_DEP_2)
	v_cmp_gt_i32_e32 vcc_lo, 16, v40
	v_min_i32_e32 v43, 15, v40
	v_lshrrev_b32_e32 v41, 24, v41
	v_dual_cndmask_b32 v42, 7, v42 :: v_dual_lshlrev_b32 v43, 3, v43
	s_delay_alu instid0(VALU_DEP_2) | instskip(NEXT) | instid1(VALU_DEP_2)
	v_and_b32_e32 v41, 0x80, v41
	v_or_b32_e32 v40, v40, v42
	v_and_b32_e32 v44, 7, v42
	s_delay_alu instid0(VALU_DEP_2) | instskip(SKIP_1) | instid1(VALU_DEP_1)
	v_cmp_ne_u32_e32 vcc_lo, 0, v40
	v_and_b32_e32 v43, 0xf8, v43
	v_or3_b32 v41, v43, v41, v44
	s_delay_alu instid0(VALU_DEP_1)
	v_cndmask_b32_e32 v40, 0, v41, vcc_lo
.LBB4_6484:                             ;   in Loop: Header=BB4_5816 Depth=2
	s_or_b32 exec_lo, exec_lo, s24
.LBB4_6485:                             ;   in Loop: Header=BB4_5816 Depth=2
	s_delay_alu instid0(SALU_CYCLE_1) | instskip(SKIP_3) | instid1(VALU_DEP_1)
	s_or_b32 exec_lo, exec_lo, s23
	v_lshrrev_b32_e32 v41, 24, v11
	s_mov_b32 s10, 0
	s_mov_b32 s24, exec_lo
                                        ; implicit-def: $sgpr23
	v_cmpx_lt_i16_e32 0x7f, v41
	s_xor_b32 s24, exec_lo, s24
	s_cbranch_execnz .LBB4_6811
; %bb.6486:                             ;   in Loop: Header=BB4_5816 Depth=2
	s_or_saveexec_b32 s24, s24
	v_mov_b32_e32 v42, s23
	s_xor_b32 exec_lo, exec_lo, s24
	s_cbranch_execnz .LBB4_6814
.LBB4_6487:                             ;   in Loop: Header=BB4_5816 Depth=2
	s_or_b32 exec_lo, exec_lo, s24
	s_and_saveexec_b32 s23, s10
	s_cbranch_execz .LBB4_6489
.LBB4_6488:                             ;   in Loop: Header=BB4_5816 Depth=2
	v_bfe_u32 v42, v11, 24, 3
	s_delay_alu instid0(VALU_DEP_1) | instskip(NEXT) | instid1(VALU_DEP_1)
	v_clz_i32_u32_e32 v43, v42
	v_min_u32_e32 v43, 32, v43
	s_delay_alu instid0(VALU_DEP_1) | instskip(SKIP_1) | instid1(VALU_DEP_2)
	v_subrev_nc_u32_e32 v44, 28, v43
	v_sub_nc_u32_e32 v43, 29, v43
	v_lshlrev_b32_e32 v41, v44, v41
	v_bfe_u32 v44, v11, 27, 4
	v_and_b32_e32 v11, 0x80000000, v11
	s_delay_alu instid0(VALU_DEP_3) | instskip(NEXT) | instid1(VALU_DEP_3)
	v_and_b32_e32 v41, 7, v41
	v_cmp_eq_u32_e32 vcc_lo, 0, v44
	v_cndmask_b32_e32 v43, v44, v43, vcc_lo
	s_delay_alu instid0(VALU_DEP_3) | instskip(NEXT) | instid1(VALU_DEP_2)
	v_cndmask_b32_e32 v41, v42, v41, vcc_lo
	v_lshl_add_u32 v42, v43, 23, 0x3b800000
	s_delay_alu instid0(VALU_DEP_2) | instskip(NEXT) | instid1(VALU_DEP_1)
	v_lshlrev_b32_e32 v41, 20, v41
	v_or3_b32 v42, v11, v42, v41
.LBB4_6489:                             ;   in Loop: Header=BB4_5816 Depth=2
	s_or_b32 exec_lo, exec_lo, s23
	s_delay_alu instid0(VALU_DEP_1) | instskip(NEXT) | instid1(VALU_DEP_1)
	v_mul_f32_e32 v41, s22, v42
	v_and_b32_e32 v11, 0x7f800000, v41
	s_delay_alu instid0(VALU_DEP_1)
	v_cmp_ne_u32_e32 vcc_lo, 0x7f800000, v11
	v_mov_b32_e32 v11, 0x8000
	s_and_saveexec_b32 s23, vcc_lo
	s_cbranch_execz .LBB4_6497
; %bb.6490:                             ;   in Loop: Header=BB4_5816 Depth=2
	v_mov_b32_e32 v11, 0
	s_mov_b32 s24, exec_lo
	v_cmpx_ne_u32_e32 0, v41
	s_cbranch_execz .LBB4_6496
; %bb.6491:                             ;   in Loop: Header=BB4_5816 Depth=2
	v_bfe_u32 v11, v41, 23, 8
	s_delay_alu instid0(VALU_DEP_1) | instskip(SKIP_1) | instid1(VALU_DEP_2)
	v_sub_nc_u32_e32 v43, 0x78, v11
	v_cmp_gt_u32_e32 vcc_lo, 0x79, v11
	v_dual_cndmask_b32 v43, 0, v43 :: v_dual_and_b32 v42, 0x7fffff, v41
	s_delay_alu instid0(VALU_DEP_1) | instskip(SKIP_2) | instid1(VALU_DEP_4)
	v_or_b32_e32 v44, 0x800000, v42
	v_cmp_eq_u32_e32 vcc_lo, 0, v11
	v_add_nc_u32_e32 v11, 0xffffff89, v11
	v_cndmask_b32_e64 v43, v43, 0x77, vcc_lo
	s_delay_alu instid0(VALU_DEP_4) | instskip(NEXT) | instid1(VALU_DEP_3)
	v_cndmask_b32_e32 v42, v44, v42, vcc_lo
	v_cndmask_b32_e64 v11, v11, 0xffffff8a, vcc_lo
	s_delay_alu instid0(VALU_DEP_3) | instskip(NEXT) | instid1(VALU_DEP_3)
	v_lshl_add_u32 v44, 0x100000, v43, -1
	v_lshrrev_b32_e32 v45, v43, v42
	v_lshlrev_b32_e64 v47, v43, 0x80000
	s_delay_alu instid0(VALU_DEP_4) | instskip(NEXT) | instid1(VALU_DEP_4)
	v_add_nc_u32_e32 v43, v43, v11
	v_and_b32_e32 v42, v44, v42
	s_delay_alu instid0(VALU_DEP_4) | instskip(NEXT) | instid1(VALU_DEP_2)
	v_bfe_u32 v46, v45, 20, 1
	v_cmp_eq_u32_e64 s10, v42, v47
	s_delay_alu instid0(VALU_DEP_2) | instskip(NEXT) | instid1(VALU_DEP_1)
	v_add_nc_u32_e32 v44, -1, v46
	v_cndmask_b32_e64 v42, 0, v44, s10
	v_lshrrev_b32_e32 v44, 23, v45
	s_mov_b32 s10, exec_lo
	s_delay_alu instid0(VALU_DEP_2) | instskip(NEXT) | instid1(VALU_DEP_2)
	v_add_nc_u32_e32 v42, v42, v45
	v_xor_b32_e32 v44, 1, v44
	s_delay_alu instid0(VALU_DEP_2) | instskip(NEXT) | instid1(VALU_DEP_1)
	v_and_b32_e32 v11, 0xfffff, v42
	v_add_nc_u32_e32 v42, v11, v45
                                        ; implicit-def: $vgpr11
	s_delay_alu instid0(VALU_DEP_3)
	v_cmpx_ne_u32_e64 v43, v44
	s_xor_b32 s10, exec_lo, s10
; %bb.6492:                             ;   in Loop: Header=BB4_5816 Depth=2
	s_delay_alu instid0(VALU_DEP_2) | instskip(SKIP_2) | instid1(VALU_DEP_2)
	v_cmp_lt_u32_e32 vcc_lo, 0xffffff, v42
	v_sub_nc_u32_e32 v11, v43, v44
	v_cndmask_b32_e64 v43, 0, 1, vcc_lo
	v_add_co_ci_u32_e32 v11, vcc_lo, 0, v11, vcc_lo
	s_delay_alu instid0(VALU_DEP_2)
	v_lshrrev_b32_e32 v42, v43, v42
; %bb.6493:                             ;   in Loop: Header=BB4_5816 Depth=2
	s_and_not1_saveexec_b32 s10, s10
; %bb.6494:                             ;   in Loop: Header=BB4_5816 Depth=2
	s_delay_alu instid0(VALU_DEP_1)
	v_bfe_u32 v11, v42, 23, 1
; %bb.6495:                             ;   in Loop: Header=BB4_5816 Depth=2
	s_or_b32 exec_lo, exec_lo, s10
	v_lshrrev_b32_e32 v42, 20, v42
	s_delay_alu instid0(VALU_DEP_2) | instskip(SKIP_2) | instid1(VALU_DEP_2)
	v_cmp_gt_i32_e32 vcc_lo, 16, v11
	v_min_i32_e32 v43, 15, v11
	v_lshrrev_b32_e32 v41, 24, v41
	v_dual_cndmask_b32 v42, 7, v42 :: v_dual_lshlrev_b32 v43, 3, v43
	s_delay_alu instid0(VALU_DEP_2) | instskip(NEXT) | instid1(VALU_DEP_2)
	v_and_b32_e32 v41, 0x80, v41
	v_or_b32_e32 v11, v11, v42
	s_delay_alu instid0(VALU_DEP_3) | instskip(NEXT) | instid1(VALU_DEP_2)
	v_and_b32_e32 v43, 0xf8, v43
	v_cmp_ne_u32_e32 vcc_lo, 0, v11
	v_and_b32_e32 v44, 7, v42
	s_delay_alu instid0(VALU_DEP_1) | instskip(NEXT) | instid1(VALU_DEP_1)
	v_or3_b32 v41, v41, v43, v44
	v_lshlrev_b32_e32 v41, 8, v41
	s_delay_alu instid0(VALU_DEP_1)
	v_cndmask_b32_e32 v11, 0, v41, vcc_lo
.LBB4_6496:                             ;   in Loop: Header=BB4_5816 Depth=2
	s_or_b32 exec_lo, exec_lo, s24
.LBB4_6497:                             ;   in Loop: Header=BB4_5816 Depth=2
	s_delay_alu instid0(SALU_CYCLE_1) | instskip(SKIP_3) | instid1(VALU_DEP_1)
	s_or_b32 exec_lo, exec_lo, s23
	v_and_b32_e32 v42, 0xff, v12
	s_mov_b32 s10, 0
	s_mov_b32 s24, exec_lo
                                        ; implicit-def: $sgpr23
	v_cmpx_lt_i16_e32 0x7f, v42
	s_xor_b32 s24, exec_lo, s24
	s_cbranch_execnz .LBB4_6815
; %bb.6498:                             ;   in Loop: Header=BB4_5816 Depth=2
	s_or_saveexec_b32 s24, s24
	v_mov_b32_e32 v41, s23
	s_xor_b32 exec_lo, exec_lo, s24
	s_cbranch_execnz .LBB4_6818
.LBB4_6499:                             ;   in Loop: Header=BB4_5816 Depth=2
	s_or_b32 exec_lo, exec_lo, s24
	s_and_saveexec_b32 s23, s10
	s_cbranch_execz .LBB4_6501
.LBB4_6500:                             ;   in Loop: Header=BB4_5816 Depth=2
	v_bfe_u32 v44, v12, 3, 4
	v_lshlrev_b32_e32 v45, 24, v12
	s_delay_alu instid0(VALU_DEP_2) | instskip(SKIP_1) | instid1(VALU_DEP_1)
	v_cmp_eq_u32_e32 vcc_lo, 0, v44
	v_and_b32_e32 v41, 7, v12
	v_clz_i32_u32_e32 v42, v41
	s_delay_alu instid0(VALU_DEP_1) | instskip(NEXT) | instid1(VALU_DEP_1)
	v_min_u32_e32 v42, 32, v42
	v_subrev_nc_u32_e32 v43, 28, v42
	v_sub_nc_u32_e32 v42, 29, v42
	s_delay_alu instid0(VALU_DEP_1) | instskip(NEXT) | instid1(VALU_DEP_1)
	v_dual_cndmask_b32 v42, v44, v42 :: v_dual_lshlrev_b32 v43, v43, v12
	v_and_b32_e32 v43, 7, v43
	s_delay_alu instid0(VALU_DEP_2) | instskip(NEXT) | instid1(VALU_DEP_2)
	v_lshl_add_u32 v42, v42, 23, 0x3b800000
	v_cndmask_b32_e32 v41, v41, v43, vcc_lo
	v_and_b32_e32 v43, 0x80000000, v45
	s_delay_alu instid0(VALU_DEP_2) | instskip(NEXT) | instid1(VALU_DEP_1)
	v_lshlrev_b32_e32 v41, 20, v41
	v_or3_b32 v41, v43, v42, v41
.LBB4_6501:                             ;   in Loop: Header=BB4_5816 Depth=2
	s_or_b32 exec_lo, exec_lo, s23
	s_delay_alu instid0(VALU_DEP_1) | instskip(NEXT) | instid1(VALU_DEP_1)
	v_mul_f32_e32 v42, s22, v41
	v_and_b32_e32 v41, 0x7f800000, v42
	s_delay_alu instid0(VALU_DEP_1)
	v_cmp_ne_u32_e32 vcc_lo, 0x7f800000, v41
	v_mov_b32_e32 v41, 0x80
	s_and_saveexec_b32 s23, vcc_lo
	s_cbranch_execz .LBB4_6509
; %bb.6502:                             ;   in Loop: Header=BB4_5816 Depth=2
	v_mov_b32_e32 v41, 0
	s_mov_b32 s24, exec_lo
	v_cmpx_ne_u32_e32 0, v42
	s_cbranch_execz .LBB4_6508
; %bb.6503:                             ;   in Loop: Header=BB4_5816 Depth=2
	v_bfe_u32 v41, v42, 23, 8
	s_delay_alu instid0(VALU_DEP_1) | instskip(SKIP_1) | instid1(VALU_DEP_2)
	v_sub_nc_u32_e32 v44, 0x78, v41
	v_cmp_gt_u32_e32 vcc_lo, 0x79, v41
	v_dual_cndmask_b32 v44, 0, v44 :: v_dual_and_b32 v43, 0x7fffff, v42
	s_delay_alu instid0(VALU_DEP_1) | instskip(SKIP_2) | instid1(VALU_DEP_4)
	v_or_b32_e32 v45, 0x800000, v43
	v_cmp_eq_u32_e32 vcc_lo, 0, v41
	v_add_nc_u32_e32 v41, 0xffffff89, v41
	v_cndmask_b32_e64 v44, v44, 0x77, vcc_lo
	s_delay_alu instid0(VALU_DEP_2) | instskip(SKIP_1) | instid1(VALU_DEP_3)
	v_cndmask_b32_e64 v41, v41, 0xffffff8a, vcc_lo
	v_cndmask_b32_e32 v43, v45, v43, vcc_lo
	v_lshl_add_u32 v45, 0x100000, v44, -1
	v_lshlrev_b32_e64 v56, v44, 0x80000
	s_delay_alu instid0(VALU_DEP_3) | instskip(SKIP_1) | instid1(VALU_DEP_4)
	v_lshrrev_b32_e32 v46, v44, v43
	v_add_nc_u32_e32 v44, v44, v41
	v_and_b32_e32 v43, v45, v43
	s_delay_alu instid0(VALU_DEP_3) | instskip(NEXT) | instid1(VALU_DEP_2)
	v_bfe_u32 v47, v46, 20, 1
	v_cmp_eq_u32_e64 s10, v43, v56
	s_delay_alu instid0(VALU_DEP_2) | instskip(NEXT) | instid1(VALU_DEP_1)
	v_add_nc_u32_e32 v45, -1, v47
	v_cndmask_b32_e64 v43, 0, v45, s10
	v_lshrrev_b32_e32 v45, 23, v46
	s_mov_b32 s10, exec_lo
	s_delay_alu instid0(VALU_DEP_2) | instskip(NEXT) | instid1(VALU_DEP_2)
	v_add_nc_u32_e32 v43, v43, v46
	v_xor_b32_e32 v45, 1, v45
	s_delay_alu instid0(VALU_DEP_2) | instskip(NEXT) | instid1(VALU_DEP_1)
	v_and_b32_e32 v41, 0xfffff, v43
	v_add_nc_u32_e32 v43, v41, v46
                                        ; implicit-def: $vgpr41
	s_delay_alu instid0(VALU_DEP_3)
	v_cmpx_ne_u32_e64 v44, v45
	s_xor_b32 s10, exec_lo, s10
; %bb.6504:                             ;   in Loop: Header=BB4_5816 Depth=2
	s_delay_alu instid0(VALU_DEP_2) | instskip(SKIP_2) | instid1(VALU_DEP_2)
	v_cmp_lt_u32_e32 vcc_lo, 0xffffff, v43
	v_sub_nc_u32_e32 v41, v44, v45
	v_cndmask_b32_e64 v44, 0, 1, vcc_lo
	v_add_co_ci_u32_e32 v41, vcc_lo, 0, v41, vcc_lo
	s_delay_alu instid0(VALU_DEP_2)
	v_lshrrev_b32_e32 v43, v44, v43
; %bb.6505:                             ;   in Loop: Header=BB4_5816 Depth=2
	s_and_not1_saveexec_b32 s10, s10
; %bb.6506:                             ;   in Loop: Header=BB4_5816 Depth=2
	s_delay_alu instid0(VALU_DEP_1)
	v_bfe_u32 v41, v43, 23, 1
; %bb.6507:                             ;   in Loop: Header=BB4_5816 Depth=2
	s_or_b32 exec_lo, exec_lo, s10
	v_lshrrev_b32_e32 v43, 20, v43
	s_delay_alu instid0(VALU_DEP_2) | instskip(SKIP_2) | instid1(VALU_DEP_2)
	v_cmp_gt_i32_e32 vcc_lo, 16, v41
	v_lshrrev_b32_e32 v42, 24, v42
	v_min_i32_e32 v44, 15, v41
	v_dual_cndmask_b32 v43, 7, v43 :: v_dual_and_b32 v42, 0x80, v42
	s_delay_alu instid0(VALU_DEP_1) | instskip(SKIP_1) | instid1(VALU_DEP_2)
	v_or_b32_e32 v41, v41, v43
	v_and_b32_e32 v45, 7, v43
	v_cmp_ne_u32_e32 vcc_lo, 0, v41
	v_lshlrev_b32_e32 v44, 3, v44
	s_delay_alu instid0(VALU_DEP_1) | instskip(NEXT) | instid1(VALU_DEP_1)
	v_or3_b32 v42, v44, v42, v45
	v_cndmask_b32_e32 v41, 0, v42, vcc_lo
.LBB4_6508:                             ;   in Loop: Header=BB4_5816 Depth=2
	s_or_b32 exec_lo, exec_lo, s24
.LBB4_6509:                             ;   in Loop: Header=BB4_5816 Depth=2
	s_delay_alu instid0(SALU_CYCLE_1) | instskip(SKIP_3) | instid1(VALU_DEP_1)
	s_or_b32 exec_lo, exec_lo, s23
	v_lshrrev_b16 v42, 8, v12
	s_mov_b32 s10, 0
	s_mov_b32 s24, exec_lo
                                        ; implicit-def: $sgpr23
	v_cmpx_lt_i16_e32 0x7f, v42
	s_xor_b32 s24, exec_lo, s24
	s_cbranch_execnz .LBB4_6819
; %bb.6510:                             ;   in Loop: Header=BB4_5816 Depth=2
	s_or_saveexec_b32 s24, s24
	v_mov_b32_e32 v43, s23
	s_xor_b32 exec_lo, exec_lo, s24
	s_cbranch_execnz .LBB4_6822
.LBB4_6511:                             ;   in Loop: Header=BB4_5816 Depth=2
	s_or_b32 exec_lo, exec_lo, s24
	s_and_saveexec_b32 s23, s10
	s_cbranch_execz .LBB4_6513
.LBB4_6512:                             ;   in Loop: Header=BB4_5816 Depth=2
	v_and_b32_e32 v43, 0xffff, v42
	v_lshlrev_b32_e32 v42, 24, v42
	s_delay_alu instid0(VALU_DEP_2) | instskip(NEXT) | instid1(VALU_DEP_2)
	v_and_b32_e32 v44, 7, v43
	v_and_b32_e32 v42, 0x80000000, v42
	s_delay_alu instid0(VALU_DEP_2) | instskip(NEXT) | instid1(VALU_DEP_1)
	v_clz_i32_u32_e32 v45, v44
	v_min_u32_e32 v45, 32, v45
	s_delay_alu instid0(VALU_DEP_1) | instskip(SKIP_1) | instid1(VALU_DEP_2)
	v_subrev_nc_u32_e32 v46, 28, v45
	v_sub_nc_u32_e32 v45, 29, v45
	v_lshlrev_b32_e32 v46, v46, v43
	v_bfe_u32 v43, v43, 3, 4
	s_delay_alu instid0(VALU_DEP_2) | instskip(NEXT) | instid1(VALU_DEP_2)
	v_and_b32_e32 v46, 7, v46
	v_cmp_eq_u32_e32 vcc_lo, 0, v43
	s_delay_alu instid0(VALU_DEP_2) | instskip(NEXT) | instid1(VALU_DEP_1)
	v_dual_cndmask_b32 v43, v43, v45 :: v_dual_cndmask_b32 v44, v44, v46
	v_lshl_add_u32 v43, v43, 23, 0x3b800000
	s_delay_alu instid0(VALU_DEP_2) | instskip(NEXT) | instid1(VALU_DEP_1)
	v_lshlrev_b32_e32 v44, 20, v44
	v_or3_b32 v43, v42, v43, v44
.LBB4_6513:                             ;   in Loop: Header=BB4_5816 Depth=2
	s_or_b32 exec_lo, exec_lo, s23
	s_delay_alu instid0(VALU_DEP_1) | instskip(NEXT) | instid1(VALU_DEP_1)
	v_mul_f32_e32 v43, s22, v43
	v_and_b32_e32 v42, 0x7f800000, v43
	s_delay_alu instid0(VALU_DEP_1)
	v_cmp_ne_u32_e32 vcc_lo, 0x7f800000, v42
	v_mov_b32_e32 v42, 0x80
	s_and_saveexec_b32 s23, vcc_lo
	s_cbranch_execz .LBB4_6521
; %bb.6514:                             ;   in Loop: Header=BB4_5816 Depth=2
	v_mov_b32_e32 v42, 0
	s_mov_b32 s24, exec_lo
	v_cmpx_ne_u32_e32 0, v43
	s_cbranch_execz .LBB4_6520
; %bb.6515:                             ;   in Loop: Header=BB4_5816 Depth=2
	v_bfe_u32 v42, v43, 23, 8
	s_delay_alu instid0(VALU_DEP_1) | instskip(SKIP_1) | instid1(VALU_DEP_2)
	v_sub_nc_u32_e32 v45, 0x78, v42
	v_cmp_gt_u32_e32 vcc_lo, 0x79, v42
	v_dual_cndmask_b32 v45, 0, v45 :: v_dual_and_b32 v44, 0x7fffff, v43
	s_delay_alu instid0(VALU_DEP_1) | instskip(SKIP_2) | instid1(VALU_DEP_4)
	v_or_b32_e32 v46, 0x800000, v44
	v_cmp_eq_u32_e32 vcc_lo, 0, v42
	v_add_nc_u32_e32 v42, 0xffffff89, v42
	v_cndmask_b32_e64 v45, v45, 0x77, vcc_lo
	s_delay_alu instid0(VALU_DEP_2) | instskip(SKIP_1) | instid1(VALU_DEP_3)
	v_cndmask_b32_e64 v42, v42, 0xffffff8a, vcc_lo
	v_cndmask_b32_e32 v44, v46, v44, vcc_lo
	v_lshl_add_u32 v46, 0x100000, v45, -1
	v_lshlrev_b32_e64 v57, v45, 0x80000
	s_delay_alu instid0(VALU_DEP_3) | instskip(SKIP_1) | instid1(VALU_DEP_4)
	v_lshrrev_b32_e32 v47, v45, v44
	v_add_nc_u32_e32 v45, v45, v42
	v_and_b32_e32 v44, v46, v44
	s_delay_alu instid0(VALU_DEP_3) | instskip(NEXT) | instid1(VALU_DEP_2)
	v_bfe_u32 v56, v47, 20, 1
	v_cmp_eq_u32_e64 s10, v44, v57
	s_delay_alu instid0(VALU_DEP_2) | instskip(NEXT) | instid1(VALU_DEP_1)
	v_add_nc_u32_e32 v46, -1, v56
	v_cndmask_b32_e64 v44, 0, v46, s10
	v_lshrrev_b32_e32 v46, 23, v47
	s_mov_b32 s10, exec_lo
	s_delay_alu instid0(VALU_DEP_2) | instskip(NEXT) | instid1(VALU_DEP_2)
	v_add_nc_u32_e32 v44, v44, v47
	v_xor_b32_e32 v46, 1, v46
	s_delay_alu instid0(VALU_DEP_2) | instskip(NEXT) | instid1(VALU_DEP_1)
	v_and_b32_e32 v42, 0xfffff, v44
	v_add_nc_u32_e32 v44, v42, v47
                                        ; implicit-def: $vgpr42
	s_delay_alu instid0(VALU_DEP_3)
	v_cmpx_ne_u32_e64 v45, v46
	s_xor_b32 s10, exec_lo, s10
; %bb.6516:                             ;   in Loop: Header=BB4_5816 Depth=2
	s_delay_alu instid0(VALU_DEP_2) | instskip(SKIP_2) | instid1(VALU_DEP_2)
	v_cmp_lt_u32_e32 vcc_lo, 0xffffff, v44
	v_sub_nc_u32_e32 v42, v45, v46
	v_cndmask_b32_e64 v45, 0, 1, vcc_lo
	v_add_co_ci_u32_e32 v42, vcc_lo, 0, v42, vcc_lo
	s_delay_alu instid0(VALU_DEP_2)
	v_lshrrev_b32_e32 v44, v45, v44
; %bb.6517:                             ;   in Loop: Header=BB4_5816 Depth=2
	s_and_not1_saveexec_b32 s10, s10
; %bb.6518:                             ;   in Loop: Header=BB4_5816 Depth=2
	s_delay_alu instid0(VALU_DEP_1)
	v_bfe_u32 v42, v44, 23, 1
; %bb.6519:                             ;   in Loop: Header=BB4_5816 Depth=2
	s_or_b32 exec_lo, exec_lo, s10
	v_lshrrev_b32_e32 v44, 20, v44
	s_delay_alu instid0(VALU_DEP_2) | instskip(SKIP_2) | instid1(VALU_DEP_2)
	v_cmp_gt_i32_e32 vcc_lo, 16, v42
	v_lshrrev_b32_e32 v43, 24, v43
	v_min_i32_e32 v45, 15, v42
	v_dual_cndmask_b32 v44, 7, v44 :: v_dual_and_b32 v43, 0x80, v43
	s_delay_alu instid0(VALU_DEP_1) | instskip(SKIP_1) | instid1(VALU_DEP_2)
	v_or_b32_e32 v42, v42, v44
	v_and_b32_e32 v46, 7, v44
	v_cmp_ne_u32_e32 vcc_lo, 0, v42
	v_lshlrev_b32_e32 v45, 3, v45
	s_delay_alu instid0(VALU_DEP_1) | instskip(NEXT) | instid1(VALU_DEP_1)
	v_or3_b32 v43, v45, v43, v46
	v_cndmask_b32_e32 v42, 0, v43, vcc_lo
.LBB4_6520:                             ;   in Loop: Header=BB4_5816 Depth=2
	s_or_b32 exec_lo, exec_lo, s24
.LBB4_6521:                             ;   in Loop: Header=BB4_5816 Depth=2
	s_delay_alu instid0(SALU_CYCLE_1) | instskip(SKIP_3) | instid1(VALU_DEP_1)
	s_or_b32 exec_lo, exec_lo, s23
	v_lshrrev_b32_e32 v43, 16, v12
	s_mov_b32 s10, 0
	s_mov_b32 s24, exec_lo
                                        ; implicit-def: $sgpr23
	v_and_b32_e32 v45, 0xff, v43
	s_delay_alu instid0(VALU_DEP_1)
	v_cmpx_lt_i16_e32 0x7f, v45
	s_xor_b32 s24, exec_lo, s24
	s_cbranch_execnz .LBB4_6823
; %bb.6522:                             ;   in Loop: Header=BB4_5816 Depth=2
	s_or_saveexec_b32 s24, s24
	v_mov_b32_e32 v44, s23
	s_xor_b32 exec_lo, exec_lo, s24
	s_cbranch_execnz .LBB4_6826
.LBB4_6523:                             ;   in Loop: Header=BB4_5816 Depth=2
	s_or_b32 exec_lo, exec_lo, s24
	s_and_saveexec_b32 s23, s10
	s_cbranch_execz .LBB4_6525
.LBB4_6524:                             ;   in Loop: Header=BB4_5816 Depth=2
	v_bfe_u32 v44, v12, 16, 3
	v_lshlrev_b32_e32 v47, 8, v12
	s_delay_alu instid0(VALU_DEP_2) | instskip(NEXT) | instid1(VALU_DEP_1)
	v_clz_i32_u32_e32 v45, v44
	v_min_u32_e32 v45, 32, v45
	s_delay_alu instid0(VALU_DEP_1) | instskip(SKIP_1) | instid1(VALU_DEP_2)
	v_subrev_nc_u32_e32 v46, 28, v45
	v_sub_nc_u32_e32 v45, 29, v45
	v_lshlrev_b32_e32 v43, v46, v43
	v_bfe_u32 v46, v12, 19, 4
	s_delay_alu instid0(VALU_DEP_2) | instskip(NEXT) | instid1(VALU_DEP_2)
	v_and_b32_e32 v43, 7, v43
	v_cmp_eq_u32_e32 vcc_lo, 0, v46
	v_cndmask_b32_e32 v45, v46, v45, vcc_lo
	s_delay_alu instid0(VALU_DEP_3) | instskip(SKIP_1) | instid1(VALU_DEP_3)
	v_cndmask_b32_e32 v43, v44, v43, vcc_lo
	v_and_b32_e32 v44, 0x80000000, v47
	v_lshl_add_u32 v45, v45, 23, 0x3b800000
	s_delay_alu instid0(VALU_DEP_3) | instskip(NEXT) | instid1(VALU_DEP_1)
	v_lshlrev_b32_e32 v43, 20, v43
	v_or3_b32 v44, v44, v45, v43
.LBB4_6525:                             ;   in Loop: Header=BB4_5816 Depth=2
	s_or_b32 exec_lo, exec_lo, s23
	s_delay_alu instid0(VALU_DEP_1) | instskip(NEXT) | instid1(VALU_DEP_1)
	v_mul_f32_e32 v44, s22, v44
	v_and_b32_e32 v43, 0x7f800000, v44
	s_delay_alu instid0(VALU_DEP_1)
	v_cmp_ne_u32_e32 vcc_lo, 0x7f800000, v43
	v_mov_b32_e32 v43, 0x80
	s_and_saveexec_b32 s23, vcc_lo
	s_cbranch_execz .LBB4_6533
; %bb.6526:                             ;   in Loop: Header=BB4_5816 Depth=2
	v_mov_b32_e32 v43, 0
	s_mov_b32 s24, exec_lo
	v_cmpx_ne_u32_e32 0, v44
	s_cbranch_execz .LBB4_6532
; %bb.6527:                             ;   in Loop: Header=BB4_5816 Depth=2
	v_bfe_u32 v43, v44, 23, 8
	s_delay_alu instid0(VALU_DEP_1) | instskip(SKIP_1) | instid1(VALU_DEP_2)
	v_sub_nc_u32_e32 v46, 0x78, v43
	v_cmp_gt_u32_e32 vcc_lo, 0x79, v43
	v_dual_cndmask_b32 v46, 0, v46 :: v_dual_and_b32 v45, 0x7fffff, v44
	s_delay_alu instid0(VALU_DEP_1) | instskip(SKIP_2) | instid1(VALU_DEP_4)
	v_or_b32_e32 v47, 0x800000, v45
	v_cmp_eq_u32_e32 vcc_lo, 0, v43
	v_add_nc_u32_e32 v43, 0xffffff89, v43
	v_cndmask_b32_e64 v46, v46, 0x77, vcc_lo
	s_delay_alu instid0(VALU_DEP_2) | instskip(SKIP_1) | instid1(VALU_DEP_3)
	v_cndmask_b32_e64 v43, v43, 0xffffff8a, vcc_lo
	v_cndmask_b32_e32 v45, v47, v45, vcc_lo
	v_lshl_add_u32 v47, 0x100000, v46, -1
	v_lshlrev_b32_e64 v58, v46, 0x80000
	s_delay_alu instid0(VALU_DEP_3) | instskip(SKIP_1) | instid1(VALU_DEP_4)
	v_lshrrev_b32_e32 v56, v46, v45
	v_add_nc_u32_e32 v46, v46, v43
	v_and_b32_e32 v45, v47, v45
	s_delay_alu instid0(VALU_DEP_3) | instskip(NEXT) | instid1(VALU_DEP_2)
	v_bfe_u32 v57, v56, 20, 1
	v_cmp_eq_u32_e64 s10, v45, v58
	s_delay_alu instid0(VALU_DEP_2) | instskip(NEXT) | instid1(VALU_DEP_1)
	v_add_nc_u32_e32 v47, -1, v57
	v_cndmask_b32_e64 v45, 0, v47, s10
	v_lshrrev_b32_e32 v47, 23, v56
	s_mov_b32 s10, exec_lo
	s_delay_alu instid0(VALU_DEP_2) | instskip(NEXT) | instid1(VALU_DEP_2)
	v_add_nc_u32_e32 v45, v45, v56
	v_xor_b32_e32 v47, 1, v47
	s_delay_alu instid0(VALU_DEP_2) | instskip(NEXT) | instid1(VALU_DEP_1)
	v_and_b32_e32 v43, 0xfffff, v45
	v_add_nc_u32_e32 v45, v43, v56
                                        ; implicit-def: $vgpr43
	s_delay_alu instid0(VALU_DEP_3)
	v_cmpx_ne_u32_e64 v46, v47
	s_xor_b32 s10, exec_lo, s10
; %bb.6528:                             ;   in Loop: Header=BB4_5816 Depth=2
	s_delay_alu instid0(VALU_DEP_2) | instskip(SKIP_2) | instid1(VALU_DEP_2)
	v_cmp_lt_u32_e32 vcc_lo, 0xffffff, v45
	v_sub_nc_u32_e32 v43, v46, v47
	v_cndmask_b32_e64 v46, 0, 1, vcc_lo
	v_add_co_ci_u32_e32 v43, vcc_lo, 0, v43, vcc_lo
	s_delay_alu instid0(VALU_DEP_2)
	v_lshrrev_b32_e32 v45, v46, v45
; %bb.6529:                             ;   in Loop: Header=BB4_5816 Depth=2
	s_and_not1_saveexec_b32 s10, s10
; %bb.6530:                             ;   in Loop: Header=BB4_5816 Depth=2
	s_delay_alu instid0(VALU_DEP_1)
	v_bfe_u32 v43, v45, 23, 1
; %bb.6531:                             ;   in Loop: Header=BB4_5816 Depth=2
	s_or_b32 exec_lo, exec_lo, s10
	v_lshrrev_b32_e32 v45, 20, v45
	s_delay_alu instid0(VALU_DEP_2) | instskip(SKIP_2) | instid1(VALU_DEP_2)
	v_cmp_gt_i32_e32 vcc_lo, 16, v43
	v_lshrrev_b32_e32 v44, 24, v44
	v_min_i32_e32 v46, 15, v43
	v_dual_cndmask_b32 v45, 7, v45 :: v_dual_and_b32 v44, 0x80, v44
	s_delay_alu instid0(VALU_DEP_1) | instskip(SKIP_1) | instid1(VALU_DEP_2)
	v_or_b32_e32 v43, v43, v45
	v_and_b32_e32 v47, 7, v45
	v_cmp_ne_u32_e32 vcc_lo, 0, v43
	v_lshlrev_b32_e32 v46, 3, v46
	s_delay_alu instid0(VALU_DEP_1) | instskip(NEXT) | instid1(VALU_DEP_1)
	v_or3_b32 v44, v46, v44, v47
	v_cndmask_b32_e32 v43, 0, v44, vcc_lo
.LBB4_6532:                             ;   in Loop: Header=BB4_5816 Depth=2
	s_or_b32 exec_lo, exec_lo, s24
.LBB4_6533:                             ;   in Loop: Header=BB4_5816 Depth=2
	s_delay_alu instid0(SALU_CYCLE_1) | instskip(SKIP_3) | instid1(VALU_DEP_1)
	s_or_b32 exec_lo, exec_lo, s23
	v_lshrrev_b32_e32 v44, 24, v12
	s_mov_b32 s10, 0
	s_mov_b32 s24, exec_lo
                                        ; implicit-def: $sgpr23
	v_cmpx_lt_i16_e32 0x7f, v44
	s_xor_b32 s24, exec_lo, s24
	s_cbranch_execnz .LBB4_6827
; %bb.6534:                             ;   in Loop: Header=BB4_5816 Depth=2
	s_or_saveexec_b32 s24, s24
	v_mov_b32_e32 v45, s23
	s_xor_b32 exec_lo, exec_lo, s24
	s_cbranch_execnz .LBB4_6830
.LBB4_6535:                             ;   in Loop: Header=BB4_5816 Depth=2
	s_or_b32 exec_lo, exec_lo, s24
	s_and_saveexec_b32 s23, s10
	s_cbranch_execz .LBB4_6537
.LBB4_6536:                             ;   in Loop: Header=BB4_5816 Depth=2
	v_bfe_u32 v45, v12, 24, 3
	s_delay_alu instid0(VALU_DEP_1) | instskip(NEXT) | instid1(VALU_DEP_1)
	v_clz_i32_u32_e32 v46, v45
	v_min_u32_e32 v46, 32, v46
	s_delay_alu instid0(VALU_DEP_1) | instskip(SKIP_1) | instid1(VALU_DEP_2)
	v_subrev_nc_u32_e32 v47, 28, v46
	v_sub_nc_u32_e32 v46, 29, v46
	v_lshlrev_b32_e32 v44, v47, v44
	v_bfe_u32 v47, v12, 27, 4
	v_and_b32_e32 v12, 0x80000000, v12
	s_delay_alu instid0(VALU_DEP_3) | instskip(NEXT) | instid1(VALU_DEP_3)
	v_and_b32_e32 v44, 7, v44
	v_cmp_eq_u32_e32 vcc_lo, 0, v47
	v_cndmask_b32_e32 v46, v47, v46, vcc_lo
	s_delay_alu instid0(VALU_DEP_3) | instskip(NEXT) | instid1(VALU_DEP_2)
	v_cndmask_b32_e32 v44, v45, v44, vcc_lo
	v_lshl_add_u32 v45, v46, 23, 0x3b800000
	s_delay_alu instid0(VALU_DEP_2) | instskip(NEXT) | instid1(VALU_DEP_1)
	v_lshlrev_b32_e32 v44, 20, v44
	v_or3_b32 v45, v12, v45, v44
.LBB4_6537:                             ;   in Loop: Header=BB4_5816 Depth=2
	s_or_b32 exec_lo, exec_lo, s23
	s_delay_alu instid0(VALU_DEP_1) | instskip(NEXT) | instid1(VALU_DEP_1)
	v_mul_f32_e32 v44, s22, v45
	v_and_b32_e32 v12, 0x7f800000, v44
	s_delay_alu instid0(VALU_DEP_1)
	v_cmp_ne_u32_e32 vcc_lo, 0x7f800000, v12
	v_mov_b32_e32 v12, 0x80
	s_and_saveexec_b32 s23, vcc_lo
	s_cbranch_execz .LBB4_6545
; %bb.6538:                             ;   in Loop: Header=BB4_5816 Depth=2
	v_mov_b32_e32 v12, 0
	s_mov_b32 s24, exec_lo
	v_cmpx_ne_u32_e32 0, v44
	s_cbranch_execz .LBB4_6544
; %bb.6539:                             ;   in Loop: Header=BB4_5816 Depth=2
	v_bfe_u32 v12, v44, 23, 8
	s_delay_alu instid0(VALU_DEP_1) | instskip(SKIP_1) | instid1(VALU_DEP_2)
	v_sub_nc_u32_e32 v46, 0x78, v12
	v_cmp_gt_u32_e32 vcc_lo, 0x79, v12
	v_dual_cndmask_b32 v46, 0, v46 :: v_dual_and_b32 v45, 0x7fffff, v44
	s_delay_alu instid0(VALU_DEP_1) | instskip(SKIP_2) | instid1(VALU_DEP_4)
	v_or_b32_e32 v47, 0x800000, v45
	v_cmp_eq_u32_e32 vcc_lo, 0, v12
	v_add_nc_u32_e32 v12, 0xffffff89, v12
	v_cndmask_b32_e64 v46, v46, 0x77, vcc_lo
	s_delay_alu instid0(VALU_DEP_4) | instskip(NEXT) | instid1(VALU_DEP_3)
	v_cndmask_b32_e32 v45, v47, v45, vcc_lo
	v_cndmask_b32_e64 v12, v12, 0xffffff8a, vcc_lo
	s_delay_alu instid0(VALU_DEP_3) | instskip(NEXT) | instid1(VALU_DEP_3)
	v_lshl_add_u32 v47, 0x100000, v46, -1
	v_lshrrev_b32_e32 v56, v46, v45
	v_lshlrev_b32_e64 v58, v46, 0x80000
	s_delay_alu instid0(VALU_DEP_4) | instskip(NEXT) | instid1(VALU_DEP_4)
	v_add_nc_u32_e32 v46, v46, v12
	v_and_b32_e32 v45, v47, v45
	s_delay_alu instid0(VALU_DEP_4) | instskip(NEXT) | instid1(VALU_DEP_2)
	v_bfe_u32 v57, v56, 20, 1
	v_cmp_eq_u32_e64 s10, v45, v58
	s_delay_alu instid0(VALU_DEP_2) | instskip(NEXT) | instid1(VALU_DEP_1)
	v_add_nc_u32_e32 v47, -1, v57
	v_cndmask_b32_e64 v45, 0, v47, s10
	v_lshrrev_b32_e32 v47, 23, v56
	s_mov_b32 s10, exec_lo
	s_delay_alu instid0(VALU_DEP_2) | instskip(NEXT) | instid1(VALU_DEP_2)
	v_add_nc_u32_e32 v45, v45, v56
	v_xor_b32_e32 v47, 1, v47
	s_delay_alu instid0(VALU_DEP_2) | instskip(NEXT) | instid1(VALU_DEP_1)
	v_and_b32_e32 v12, 0xfffff, v45
	v_add_nc_u32_e32 v45, v12, v56
                                        ; implicit-def: $vgpr12
	s_delay_alu instid0(VALU_DEP_3)
	v_cmpx_ne_u32_e64 v46, v47
	s_xor_b32 s10, exec_lo, s10
; %bb.6540:                             ;   in Loop: Header=BB4_5816 Depth=2
	s_delay_alu instid0(VALU_DEP_2) | instskip(SKIP_2) | instid1(VALU_DEP_2)
	v_cmp_lt_u32_e32 vcc_lo, 0xffffff, v45
	v_sub_nc_u32_e32 v12, v46, v47
	v_cndmask_b32_e64 v46, 0, 1, vcc_lo
	v_add_co_ci_u32_e32 v12, vcc_lo, 0, v12, vcc_lo
	s_delay_alu instid0(VALU_DEP_2)
	v_lshrrev_b32_e32 v45, v46, v45
; %bb.6541:                             ;   in Loop: Header=BB4_5816 Depth=2
	s_and_not1_saveexec_b32 s10, s10
; %bb.6542:                             ;   in Loop: Header=BB4_5816 Depth=2
	s_delay_alu instid0(VALU_DEP_1)
	v_bfe_u32 v12, v45, 23, 1
; %bb.6543:                             ;   in Loop: Header=BB4_5816 Depth=2
	s_or_b32 exec_lo, exec_lo, s10
	v_lshrrev_b32_e32 v45, 20, v45
	s_delay_alu instid0(VALU_DEP_2) | instskip(SKIP_2) | instid1(VALU_DEP_2)
	v_cmp_gt_i32_e32 vcc_lo, 16, v12
	v_lshrrev_b32_e32 v44, 24, v44
	v_min_i32_e32 v46, 15, v12
	v_dual_cndmask_b32 v45, 7, v45 :: v_dual_and_b32 v44, 0x80, v44
	s_delay_alu instid0(VALU_DEP_2) | instskip(NEXT) | instid1(VALU_DEP_2)
	v_lshlrev_b32_e32 v46, 3, v46
	v_or_b32_e32 v12, v12, v45
	s_delay_alu instid0(VALU_DEP_1) | instskip(SKIP_1) | instid1(VALU_DEP_1)
	v_cmp_ne_u32_e32 vcc_lo, 0, v12
	v_and_b32_e32 v47, 7, v45
	v_or3_b32 v44, v46, v44, v47
	s_delay_alu instid0(VALU_DEP_1)
	v_cndmask_b32_e32 v12, 0, v44, vcc_lo
.LBB4_6544:                             ;   in Loop: Header=BB4_5816 Depth=2
	s_or_b32 exec_lo, exec_lo, s24
.LBB4_6545:                             ;   in Loop: Header=BB4_5816 Depth=2
	s_delay_alu instid0(SALU_CYCLE_1) | instskip(SKIP_3) | instid1(VALU_DEP_1)
	s_or_b32 exec_lo, exec_lo, s23
	v_and_b32_e32 v45, 0xff, v13
	s_mov_b32 s10, 0
	s_mov_b32 s24, exec_lo
                                        ; implicit-def: $sgpr23
	v_cmpx_lt_i16_e32 0x7f, v45
	s_xor_b32 s24, exec_lo, s24
	s_cbranch_execnz .LBB4_6831
; %bb.6546:                             ;   in Loop: Header=BB4_5816 Depth=2
	s_or_saveexec_b32 s24, s24
	v_mov_b32_e32 v44, s23
	s_xor_b32 exec_lo, exec_lo, s24
	s_cbranch_execnz .LBB4_6834
.LBB4_6547:                             ;   in Loop: Header=BB4_5816 Depth=2
	s_or_b32 exec_lo, exec_lo, s24
	s_and_saveexec_b32 s23, s10
	s_cbranch_execz .LBB4_6549
.LBB4_6548:                             ;   in Loop: Header=BB4_5816 Depth=2
	v_and_b32_e32 v44, 7, v13
	v_bfe_u32 v47, v13, 3, 4
	v_lshlrev_b32_e32 v56, 24, v13
	s_delay_alu instid0(VALU_DEP_3) | instskip(NEXT) | instid1(VALU_DEP_3)
	v_clz_i32_u32_e32 v45, v44
	v_cmp_eq_u32_e32 vcc_lo, 0, v47
	s_delay_alu instid0(VALU_DEP_2) | instskip(NEXT) | instid1(VALU_DEP_1)
	v_min_u32_e32 v45, 32, v45
	v_subrev_nc_u32_e32 v46, 28, v45
	v_sub_nc_u32_e32 v45, 29, v45
	s_delay_alu instid0(VALU_DEP_2) | instskip(NEXT) | instid1(VALU_DEP_1)
	v_lshlrev_b32_e32 v46, v46, v13
	v_dual_cndmask_b32 v45, v47, v45 :: v_dual_and_b32 v46, 7, v46
	s_delay_alu instid0(VALU_DEP_1) | instskip(NEXT) | instid1(VALU_DEP_2)
	v_lshl_add_u32 v45, v45, 23, 0x3b800000
	v_cndmask_b32_e32 v44, v44, v46, vcc_lo
	v_and_b32_e32 v46, 0x80000000, v56
	s_delay_alu instid0(VALU_DEP_2) | instskip(NEXT) | instid1(VALU_DEP_1)
	v_lshlrev_b32_e32 v44, 20, v44
	v_or3_b32 v44, v46, v45, v44
.LBB4_6549:                             ;   in Loop: Header=BB4_5816 Depth=2
	s_or_b32 exec_lo, exec_lo, s23
	s_delay_alu instid0(VALU_DEP_1) | instskip(NEXT) | instid1(VALU_DEP_1)
	v_mul_f32_e32 v45, s22, v44
	v_and_b32_e32 v44, 0x7f800000, v45
	s_delay_alu instid0(VALU_DEP_1)
	v_cmp_ne_u32_e32 vcc_lo, 0x7f800000, v44
	v_mov_b32_e32 v44, 0x80
	s_and_saveexec_b32 s23, vcc_lo
	s_cbranch_execz .LBB4_6557
; %bb.6550:                             ;   in Loop: Header=BB4_5816 Depth=2
	v_mov_b32_e32 v44, 0
	s_mov_b32 s24, exec_lo
	v_cmpx_ne_u32_e32 0, v45
	s_cbranch_execz .LBB4_6556
; %bb.6551:                             ;   in Loop: Header=BB4_5816 Depth=2
	v_bfe_u32 v44, v45, 23, 8
	s_delay_alu instid0(VALU_DEP_1) | instskip(SKIP_1) | instid1(VALU_DEP_2)
	v_sub_nc_u32_e32 v47, 0x78, v44
	v_cmp_gt_u32_e32 vcc_lo, 0x79, v44
	v_dual_cndmask_b32 v47, 0, v47 :: v_dual_and_b32 v46, 0x7fffff, v45
	s_delay_alu instid0(VALU_DEP_1) | instskip(SKIP_2) | instid1(VALU_DEP_4)
	v_or_b32_e32 v56, 0x800000, v46
	v_cmp_eq_u32_e32 vcc_lo, 0, v44
	v_add_nc_u32_e32 v44, 0xffffff89, v44
	v_cndmask_b32_e64 v47, v47, 0x77, vcc_lo
	s_delay_alu instid0(VALU_DEP_2) | instskip(SKIP_1) | instid1(VALU_DEP_3)
	v_cndmask_b32_e64 v44, v44, 0xffffff8a, vcc_lo
	v_cndmask_b32_e32 v46, v56, v46, vcc_lo
	v_lshl_add_u32 v56, 0x100000, v47, -1
	v_lshlrev_b32_e64 v59, v47, 0x80000
	s_delay_alu instid0(VALU_DEP_3) | instskip(SKIP_1) | instid1(VALU_DEP_4)
	v_lshrrev_b32_e32 v57, v47, v46
	v_add_nc_u32_e32 v47, v47, v44
	v_and_b32_e32 v46, v56, v46
	s_delay_alu instid0(VALU_DEP_3) | instskip(NEXT) | instid1(VALU_DEP_2)
	v_bfe_u32 v58, v57, 20, 1
	v_cmp_eq_u32_e64 s10, v46, v59
	s_delay_alu instid0(VALU_DEP_2) | instskip(NEXT) | instid1(VALU_DEP_1)
	v_add_nc_u32_e32 v56, -1, v58
	v_cndmask_b32_e64 v46, 0, v56, s10
	v_lshrrev_b32_e32 v56, 23, v57
	s_mov_b32 s10, exec_lo
	s_delay_alu instid0(VALU_DEP_2) | instskip(NEXT) | instid1(VALU_DEP_2)
	v_add_nc_u32_e32 v46, v46, v57
	v_xor_b32_e32 v56, 1, v56
	s_delay_alu instid0(VALU_DEP_2) | instskip(NEXT) | instid1(VALU_DEP_1)
	v_and_b32_e32 v44, 0xfffff, v46
	v_add_nc_u32_e32 v46, v44, v57
                                        ; implicit-def: $vgpr44
	s_delay_alu instid0(VALU_DEP_3)
	v_cmpx_ne_u32_e64 v47, v56
	s_xor_b32 s10, exec_lo, s10
; %bb.6552:                             ;   in Loop: Header=BB4_5816 Depth=2
	s_delay_alu instid0(VALU_DEP_2) | instskip(SKIP_2) | instid1(VALU_DEP_2)
	v_cmp_lt_u32_e32 vcc_lo, 0xffffff, v46
	v_sub_nc_u32_e32 v44, v47, v56
	v_cndmask_b32_e64 v47, 0, 1, vcc_lo
	v_add_co_ci_u32_e32 v44, vcc_lo, 0, v44, vcc_lo
	s_delay_alu instid0(VALU_DEP_2)
	v_lshrrev_b32_e32 v46, v47, v46
; %bb.6553:                             ;   in Loop: Header=BB4_5816 Depth=2
	s_and_not1_saveexec_b32 s10, s10
; %bb.6554:                             ;   in Loop: Header=BB4_5816 Depth=2
	s_delay_alu instid0(VALU_DEP_1)
	v_bfe_u32 v44, v46, 23, 1
; %bb.6555:                             ;   in Loop: Header=BB4_5816 Depth=2
	s_or_b32 exec_lo, exec_lo, s10
	v_lshrrev_b32_e32 v46, 20, v46
	s_delay_alu instid0(VALU_DEP_2) | instskip(SKIP_2) | instid1(VALU_DEP_2)
	v_cmp_gt_i32_e32 vcc_lo, 16, v44
	v_min_i32_e32 v47, 15, v44
	v_lshrrev_b32_e32 v45, 24, v45
	v_dual_cndmask_b32 v46, 7, v46 :: v_dual_lshlrev_b32 v47, 3, v47
	s_delay_alu instid0(VALU_DEP_2) | instskip(NEXT) | instid1(VALU_DEP_2)
	v_and_b32_e32 v45, 0x80, v45
	v_or_b32_e32 v44, v44, v46
	v_and_b32_e32 v56, 7, v46
	s_delay_alu instid0(VALU_DEP_2) | instskip(SKIP_1) | instid1(VALU_DEP_1)
	v_cmp_ne_u32_e32 vcc_lo, 0, v44
	v_and_b32_e32 v47, 0xf8, v47
	v_or3_b32 v45, v47, v45, v56
	s_delay_alu instid0(VALU_DEP_1)
	v_cndmask_b32_e32 v44, 0, v45, vcc_lo
.LBB4_6556:                             ;   in Loop: Header=BB4_5816 Depth=2
	s_or_b32 exec_lo, exec_lo, s24
.LBB4_6557:                             ;   in Loop: Header=BB4_5816 Depth=2
	s_delay_alu instid0(SALU_CYCLE_1) | instskip(SKIP_3) | instid1(VALU_DEP_1)
	s_or_b32 exec_lo, exec_lo, s23
	v_lshrrev_b16 v45, 8, v13
	s_mov_b32 s10, 0
	s_mov_b32 s24, exec_lo
                                        ; implicit-def: $sgpr23
	v_cmpx_lt_i16_e32 0x7f, v45
	s_xor_b32 s24, exec_lo, s24
	s_cbranch_execnz .LBB4_6835
; %bb.6558:                             ;   in Loop: Header=BB4_5816 Depth=2
	s_or_saveexec_b32 s24, s24
	v_mov_b32_e32 v46, s23
	s_xor_b32 exec_lo, exec_lo, s24
	s_cbranch_execnz .LBB4_6838
.LBB4_6559:                             ;   in Loop: Header=BB4_5816 Depth=2
	s_or_b32 exec_lo, exec_lo, s24
	s_and_saveexec_b32 s23, s10
	s_cbranch_execz .LBB4_6561
.LBB4_6560:                             ;   in Loop: Header=BB4_5816 Depth=2
	v_and_b32_e32 v46, 0xffff, v45
	v_lshlrev_b32_e32 v45, 24, v45
	s_delay_alu instid0(VALU_DEP_2) | instskip(NEXT) | instid1(VALU_DEP_2)
	v_and_b32_e32 v47, 7, v46
	v_and_b32_e32 v45, 0x80000000, v45
	s_delay_alu instid0(VALU_DEP_2) | instskip(NEXT) | instid1(VALU_DEP_1)
	v_clz_i32_u32_e32 v56, v47
	v_min_u32_e32 v56, 32, v56
	s_delay_alu instid0(VALU_DEP_1) | instskip(SKIP_1) | instid1(VALU_DEP_2)
	v_subrev_nc_u32_e32 v57, 28, v56
	v_sub_nc_u32_e32 v56, 29, v56
	v_lshlrev_b32_e32 v57, v57, v46
	v_bfe_u32 v46, v46, 3, 4
	s_delay_alu instid0(VALU_DEP_2) | instskip(NEXT) | instid1(VALU_DEP_2)
	v_and_b32_e32 v57, 7, v57
	v_cmp_eq_u32_e32 vcc_lo, 0, v46
	s_delay_alu instid0(VALU_DEP_2) | instskip(NEXT) | instid1(VALU_DEP_1)
	v_dual_cndmask_b32 v46, v46, v56 :: v_dual_cndmask_b32 v47, v47, v57
	v_lshl_add_u32 v46, v46, 23, 0x3b800000
	s_delay_alu instid0(VALU_DEP_2) | instskip(NEXT) | instid1(VALU_DEP_1)
	v_lshlrev_b32_e32 v47, 20, v47
	v_or3_b32 v46, v45, v46, v47
.LBB4_6561:                             ;   in Loop: Header=BB4_5816 Depth=2
	s_or_b32 exec_lo, exec_lo, s23
	s_delay_alu instid0(VALU_DEP_1) | instskip(NEXT) | instid1(VALU_DEP_1)
	v_mul_f32_e32 v46, s22, v46
	v_and_b32_e32 v45, 0x7f800000, v46
	s_delay_alu instid0(VALU_DEP_1)
	v_cmp_ne_u32_e32 vcc_lo, 0x7f800000, v45
	v_mov_b32_e32 v45, 0x8000
	s_and_saveexec_b32 s23, vcc_lo
	s_cbranch_execz .LBB4_6569
; %bb.6562:                             ;   in Loop: Header=BB4_5816 Depth=2
	v_mov_b32_e32 v45, 0
	s_mov_b32 s24, exec_lo
	v_cmpx_ne_u32_e32 0, v46
	s_cbranch_execz .LBB4_6568
; %bb.6563:                             ;   in Loop: Header=BB4_5816 Depth=2
	v_bfe_u32 v45, v46, 23, 8
	s_delay_alu instid0(VALU_DEP_1) | instskip(SKIP_1) | instid1(VALU_DEP_2)
	v_sub_nc_u32_e32 v56, 0x78, v45
	v_cmp_gt_u32_e32 vcc_lo, 0x79, v45
	v_dual_cndmask_b32 v56, 0, v56 :: v_dual_and_b32 v47, 0x7fffff, v46
	s_delay_alu instid0(VALU_DEP_1) | instskip(SKIP_2) | instid1(VALU_DEP_4)
	v_or_b32_e32 v57, 0x800000, v47
	v_cmp_eq_u32_e32 vcc_lo, 0, v45
	v_add_nc_u32_e32 v45, 0xffffff89, v45
	v_cndmask_b32_e64 v56, v56, 0x77, vcc_lo
	s_delay_alu instid0(VALU_DEP_2) | instskip(SKIP_1) | instid1(VALU_DEP_3)
	v_cndmask_b32_e64 v45, v45, 0xffffff8a, vcc_lo
	v_cndmask_b32_e32 v47, v57, v47, vcc_lo
	v_lshl_add_u32 v57, 0x100000, v56, -1
	v_lshlrev_b32_e64 v60, v56, 0x80000
	s_delay_alu instid0(VALU_DEP_3) | instskip(SKIP_1) | instid1(VALU_DEP_4)
	v_lshrrev_b32_e32 v58, v56, v47
	v_add_nc_u32_e32 v56, v56, v45
	v_and_b32_e32 v47, v57, v47
	s_delay_alu instid0(VALU_DEP_3) | instskip(NEXT) | instid1(VALU_DEP_2)
	v_bfe_u32 v59, v58, 20, 1
	v_cmp_eq_u32_e64 s10, v47, v60
	s_delay_alu instid0(VALU_DEP_2) | instskip(NEXT) | instid1(VALU_DEP_1)
	v_add_nc_u32_e32 v57, -1, v59
	v_cndmask_b32_e64 v47, 0, v57, s10
	v_lshrrev_b32_e32 v57, 23, v58
	s_mov_b32 s10, exec_lo
	s_delay_alu instid0(VALU_DEP_2) | instskip(NEXT) | instid1(VALU_DEP_2)
	v_add_nc_u32_e32 v47, v47, v58
	v_xor_b32_e32 v57, 1, v57
	s_delay_alu instid0(VALU_DEP_2) | instskip(NEXT) | instid1(VALU_DEP_1)
	v_and_b32_e32 v45, 0xfffff, v47
	v_add_nc_u32_e32 v47, v45, v58
                                        ; implicit-def: $vgpr45
	s_delay_alu instid0(VALU_DEP_3)
	v_cmpx_ne_u32_e64 v56, v57
	s_xor_b32 s10, exec_lo, s10
; %bb.6564:                             ;   in Loop: Header=BB4_5816 Depth=2
	s_delay_alu instid0(VALU_DEP_2) | instskip(SKIP_2) | instid1(VALU_DEP_2)
	v_cmp_lt_u32_e32 vcc_lo, 0xffffff, v47
	v_sub_nc_u32_e32 v45, v56, v57
	v_cndmask_b32_e64 v56, 0, 1, vcc_lo
	v_add_co_ci_u32_e32 v45, vcc_lo, 0, v45, vcc_lo
	s_delay_alu instid0(VALU_DEP_2)
	v_lshrrev_b32_e32 v47, v56, v47
; %bb.6565:                             ;   in Loop: Header=BB4_5816 Depth=2
	s_and_not1_saveexec_b32 s10, s10
; %bb.6566:                             ;   in Loop: Header=BB4_5816 Depth=2
	s_delay_alu instid0(VALU_DEP_1)
	v_bfe_u32 v45, v47, 23, 1
; %bb.6567:                             ;   in Loop: Header=BB4_5816 Depth=2
	s_or_b32 exec_lo, exec_lo, s10
	v_lshrrev_b32_e32 v47, 20, v47
	s_delay_alu instid0(VALU_DEP_2) | instskip(SKIP_2) | instid1(VALU_DEP_2)
	v_cmp_gt_i32_e32 vcc_lo, 16, v45
	v_min_i32_e32 v56, 15, v45
	v_lshrrev_b32_e32 v46, 24, v46
	v_dual_cndmask_b32 v47, 7, v47 :: v_dual_lshlrev_b32 v56, 3, v56
	s_delay_alu instid0(VALU_DEP_2) | instskip(NEXT) | instid1(VALU_DEP_2)
	v_and_b32_e32 v46, 0x80, v46
	v_or_b32_e32 v45, v45, v47
	v_and_b32_e32 v57, 7, v47
	s_delay_alu instid0(VALU_DEP_2) | instskip(SKIP_1) | instid1(VALU_DEP_1)
	v_cmp_ne_u32_e32 vcc_lo, 0, v45
	v_and_b32_e32 v56, 0xf8, v56
	v_or3_b32 v46, v46, v56, v57
	s_delay_alu instid0(VALU_DEP_1) | instskip(NEXT) | instid1(VALU_DEP_1)
	v_lshlrev_b32_e32 v46, 8, v46
	v_cndmask_b32_e32 v45, 0, v46, vcc_lo
.LBB4_6568:                             ;   in Loop: Header=BB4_5816 Depth=2
	s_or_b32 exec_lo, exec_lo, s24
.LBB4_6569:                             ;   in Loop: Header=BB4_5816 Depth=2
	s_delay_alu instid0(SALU_CYCLE_1) | instskip(SKIP_3) | instid1(VALU_DEP_1)
	s_or_b32 exec_lo, exec_lo, s23
	v_lshrrev_b32_e32 v46, 16, v13
	s_mov_b32 s10, 0
	s_mov_b32 s24, exec_lo
                                        ; implicit-def: $sgpr23
	v_and_b32_e32 v56, 0xff, v46
	s_delay_alu instid0(VALU_DEP_1)
	v_cmpx_lt_i16_e32 0x7f, v56
	s_xor_b32 s24, exec_lo, s24
	s_cbranch_execnz .LBB4_6839
; %bb.6570:                             ;   in Loop: Header=BB4_5816 Depth=2
	s_or_saveexec_b32 s24, s24
	v_mov_b32_e32 v47, s23
	s_xor_b32 exec_lo, exec_lo, s24
	s_cbranch_execnz .LBB4_6842
.LBB4_6571:                             ;   in Loop: Header=BB4_5816 Depth=2
	s_or_b32 exec_lo, exec_lo, s24
	s_and_saveexec_b32 s23, s10
	s_cbranch_execz .LBB4_6573
.LBB4_6572:                             ;   in Loop: Header=BB4_5816 Depth=2
	v_bfe_u32 v47, v13, 16, 3
	v_lshlrev_b32_e32 v58, 8, v13
	s_delay_alu instid0(VALU_DEP_2) | instskip(NEXT) | instid1(VALU_DEP_1)
	v_clz_i32_u32_e32 v56, v47
	v_min_u32_e32 v56, 32, v56
	s_delay_alu instid0(VALU_DEP_1) | instskip(SKIP_1) | instid1(VALU_DEP_2)
	v_subrev_nc_u32_e32 v57, 28, v56
	v_sub_nc_u32_e32 v56, 29, v56
	v_lshlrev_b32_e32 v46, v57, v46
	v_bfe_u32 v57, v13, 19, 4
	s_delay_alu instid0(VALU_DEP_2) | instskip(NEXT) | instid1(VALU_DEP_2)
	v_and_b32_e32 v46, 7, v46
	v_cmp_eq_u32_e32 vcc_lo, 0, v57
	v_cndmask_b32_e32 v56, v57, v56, vcc_lo
	s_delay_alu instid0(VALU_DEP_3) | instskip(SKIP_1) | instid1(VALU_DEP_3)
	v_cndmask_b32_e32 v46, v47, v46, vcc_lo
	v_and_b32_e32 v47, 0x80000000, v58
	v_lshl_add_u32 v56, v56, 23, 0x3b800000
	s_delay_alu instid0(VALU_DEP_3) | instskip(NEXT) | instid1(VALU_DEP_1)
	v_lshlrev_b32_e32 v46, 20, v46
	v_or3_b32 v47, v47, v56, v46
.LBB4_6573:                             ;   in Loop: Header=BB4_5816 Depth=2
	s_or_b32 exec_lo, exec_lo, s23
	s_delay_alu instid0(VALU_DEP_1) | instskip(NEXT) | instid1(VALU_DEP_1)
	v_mul_f32_e32 v47, s22, v47
	v_and_b32_e32 v46, 0x7f800000, v47
	s_delay_alu instid0(VALU_DEP_1)
	v_cmp_ne_u32_e32 vcc_lo, 0x7f800000, v46
	v_mov_b32_e32 v46, 0x80
	s_and_saveexec_b32 s23, vcc_lo
	s_cbranch_execz .LBB4_6581
; %bb.6574:                             ;   in Loop: Header=BB4_5816 Depth=2
	v_mov_b32_e32 v46, 0
	s_mov_b32 s24, exec_lo
	v_cmpx_ne_u32_e32 0, v47
	s_cbranch_execz .LBB4_6580
; %bb.6575:                             ;   in Loop: Header=BB4_5816 Depth=2
	v_bfe_u32 v46, v47, 23, 8
	s_delay_alu instid0(VALU_DEP_1) | instskip(SKIP_1) | instid1(VALU_DEP_2)
	v_sub_nc_u32_e32 v57, 0x78, v46
	v_cmp_gt_u32_e32 vcc_lo, 0x79, v46
	v_dual_cndmask_b32 v57, 0, v57 :: v_dual_and_b32 v56, 0x7fffff, v47
	s_delay_alu instid0(VALU_DEP_1) | instskip(SKIP_2) | instid1(VALU_DEP_4)
	v_or_b32_e32 v58, 0x800000, v56
	v_cmp_eq_u32_e32 vcc_lo, 0, v46
	v_add_nc_u32_e32 v46, 0xffffff89, v46
	v_cndmask_b32_e64 v57, v57, 0x77, vcc_lo
	s_delay_alu instid0(VALU_DEP_2) | instskip(SKIP_1) | instid1(VALU_DEP_3)
	v_cndmask_b32_e64 v46, v46, 0xffffff8a, vcc_lo
	v_cndmask_b32_e32 v56, v58, v56, vcc_lo
	v_lshl_add_u32 v58, 0x100000, v57, -1
	v_lshlrev_b32_e64 v61, v57, 0x80000
	s_delay_alu instid0(VALU_DEP_3) | instskip(SKIP_1) | instid1(VALU_DEP_4)
	v_lshrrev_b32_e32 v59, v57, v56
	v_add_nc_u32_e32 v57, v57, v46
	v_and_b32_e32 v56, v58, v56
	s_delay_alu instid0(VALU_DEP_3) | instskip(NEXT) | instid1(VALU_DEP_2)
	v_bfe_u32 v60, v59, 20, 1
	v_cmp_eq_u32_e64 s10, v56, v61
	s_delay_alu instid0(VALU_DEP_2) | instskip(NEXT) | instid1(VALU_DEP_1)
	v_add_nc_u32_e32 v58, -1, v60
	v_cndmask_b32_e64 v56, 0, v58, s10
	v_lshrrev_b32_e32 v58, 23, v59
	s_mov_b32 s10, exec_lo
	s_delay_alu instid0(VALU_DEP_2) | instskip(NEXT) | instid1(VALU_DEP_2)
	v_add_nc_u32_e32 v56, v56, v59
	v_xor_b32_e32 v58, 1, v58
	s_delay_alu instid0(VALU_DEP_2) | instskip(NEXT) | instid1(VALU_DEP_1)
	v_and_b32_e32 v46, 0xfffff, v56
	v_add_nc_u32_e32 v56, v46, v59
                                        ; implicit-def: $vgpr46
	s_delay_alu instid0(VALU_DEP_3)
	v_cmpx_ne_u32_e64 v57, v58
	s_xor_b32 s10, exec_lo, s10
; %bb.6576:                             ;   in Loop: Header=BB4_5816 Depth=2
	s_delay_alu instid0(VALU_DEP_2) | instskip(SKIP_2) | instid1(VALU_DEP_2)
	v_cmp_lt_u32_e32 vcc_lo, 0xffffff, v56
	v_sub_nc_u32_e32 v46, v57, v58
	v_cndmask_b32_e64 v57, 0, 1, vcc_lo
	v_add_co_ci_u32_e32 v46, vcc_lo, 0, v46, vcc_lo
	s_delay_alu instid0(VALU_DEP_2)
	v_lshrrev_b32_e32 v56, v57, v56
; %bb.6577:                             ;   in Loop: Header=BB4_5816 Depth=2
	s_and_not1_saveexec_b32 s10, s10
; %bb.6578:                             ;   in Loop: Header=BB4_5816 Depth=2
	s_delay_alu instid0(VALU_DEP_1)
	v_bfe_u32 v46, v56, 23, 1
; %bb.6579:                             ;   in Loop: Header=BB4_5816 Depth=2
	s_or_b32 exec_lo, exec_lo, s10
	v_lshrrev_b32_e32 v56, 20, v56
	s_delay_alu instid0(VALU_DEP_2) | instskip(SKIP_2) | instid1(VALU_DEP_2)
	v_cmp_gt_i32_e32 vcc_lo, 16, v46
	v_min_i32_e32 v57, 15, v46
	v_lshrrev_b32_e32 v47, 24, v47
	v_dual_cndmask_b32 v56, 7, v56 :: v_dual_lshlrev_b32 v57, 3, v57
	s_delay_alu instid0(VALU_DEP_2) | instskip(NEXT) | instid1(VALU_DEP_2)
	v_and_b32_e32 v47, 0x80, v47
	v_or_b32_e32 v46, v46, v56
	v_and_b32_e32 v58, 7, v56
	s_delay_alu instid0(VALU_DEP_2) | instskip(SKIP_1) | instid1(VALU_DEP_1)
	v_cmp_ne_u32_e32 vcc_lo, 0, v46
	v_and_b32_e32 v57, 0xf8, v57
	v_or3_b32 v47, v57, v47, v58
	s_delay_alu instid0(VALU_DEP_1)
	v_cndmask_b32_e32 v46, 0, v47, vcc_lo
.LBB4_6580:                             ;   in Loop: Header=BB4_5816 Depth=2
	s_or_b32 exec_lo, exec_lo, s24
.LBB4_6581:                             ;   in Loop: Header=BB4_5816 Depth=2
	s_delay_alu instid0(SALU_CYCLE_1) | instskip(SKIP_3) | instid1(VALU_DEP_1)
	s_or_b32 exec_lo, exec_lo, s23
	v_lshrrev_b32_e32 v47, 24, v13
	s_mov_b32 s10, 0
	s_mov_b32 s24, exec_lo
                                        ; implicit-def: $sgpr23
	v_cmpx_lt_i16_e32 0x7f, v47
	s_xor_b32 s24, exec_lo, s24
	s_cbranch_execnz .LBB4_6843
; %bb.6582:                             ;   in Loop: Header=BB4_5816 Depth=2
	s_or_saveexec_b32 s24, s24
	v_mov_b32_e32 v56, s23
	s_xor_b32 exec_lo, exec_lo, s24
	s_cbranch_execnz .LBB4_6846
.LBB4_6583:                             ;   in Loop: Header=BB4_5816 Depth=2
	s_or_b32 exec_lo, exec_lo, s24
	s_and_saveexec_b32 s23, s10
	s_cbranch_execz .LBB4_6585
.LBB4_6584:                             ;   in Loop: Header=BB4_5816 Depth=2
	v_bfe_u32 v56, v13, 24, 3
	s_delay_alu instid0(VALU_DEP_1) | instskip(NEXT) | instid1(VALU_DEP_1)
	v_clz_i32_u32_e32 v57, v56
	v_min_u32_e32 v57, 32, v57
	s_delay_alu instid0(VALU_DEP_1) | instskip(SKIP_1) | instid1(VALU_DEP_2)
	v_subrev_nc_u32_e32 v58, 28, v57
	v_sub_nc_u32_e32 v57, 29, v57
	v_lshlrev_b32_e32 v47, v58, v47
	v_bfe_u32 v58, v13, 27, 4
	v_and_b32_e32 v13, 0x80000000, v13
	s_delay_alu instid0(VALU_DEP_3) | instskip(NEXT) | instid1(VALU_DEP_3)
	v_and_b32_e32 v47, 7, v47
	v_cmp_eq_u32_e32 vcc_lo, 0, v58
	v_cndmask_b32_e32 v57, v58, v57, vcc_lo
	s_delay_alu instid0(VALU_DEP_3) | instskip(NEXT) | instid1(VALU_DEP_2)
	v_cndmask_b32_e32 v47, v56, v47, vcc_lo
	v_lshl_add_u32 v56, v57, 23, 0x3b800000
	s_delay_alu instid0(VALU_DEP_2) | instskip(NEXT) | instid1(VALU_DEP_1)
	v_lshlrev_b32_e32 v47, 20, v47
	v_or3_b32 v56, v13, v56, v47
.LBB4_6585:                             ;   in Loop: Header=BB4_5816 Depth=2
	s_or_b32 exec_lo, exec_lo, s23
	s_delay_alu instid0(VALU_DEP_1) | instskip(NEXT) | instid1(VALU_DEP_1)
	v_mul_f32_e32 v47, s22, v56
	v_and_b32_e32 v13, 0x7f800000, v47
	s_delay_alu instid0(VALU_DEP_1)
	v_cmp_ne_u32_e32 vcc_lo, 0x7f800000, v13
	v_mov_b32_e32 v13, 0x8000
	s_and_saveexec_b32 s22, vcc_lo
	s_cbranch_execz .LBB4_5815
; %bb.6586:                             ;   in Loop: Header=BB4_5816 Depth=2
	v_mov_b32_e32 v13, 0
	s_mov_b32 s23, exec_lo
	v_cmpx_ne_u32_e32 0, v47
	s_cbranch_execz .LBB4_5814
; %bb.6587:                             ;   in Loop: Header=BB4_5816 Depth=2
	v_bfe_u32 v13, v47, 23, 8
	s_delay_alu instid0(VALU_DEP_1) | instskip(SKIP_1) | instid1(VALU_DEP_2)
	v_sub_nc_u32_e32 v57, 0x78, v13
	v_cmp_gt_u32_e32 vcc_lo, 0x79, v13
	v_dual_cndmask_b32 v57, 0, v57 :: v_dual_and_b32 v56, 0x7fffff, v47
	s_delay_alu instid0(VALU_DEP_1) | instskip(SKIP_2) | instid1(VALU_DEP_4)
	v_or_b32_e32 v58, 0x800000, v56
	v_cmp_eq_u32_e32 vcc_lo, 0, v13
	v_add_nc_u32_e32 v13, 0xffffff89, v13
	v_cndmask_b32_e64 v57, v57, 0x77, vcc_lo
	s_delay_alu instid0(VALU_DEP_4) | instskip(NEXT) | instid1(VALU_DEP_3)
	v_cndmask_b32_e32 v56, v58, v56, vcc_lo
	v_cndmask_b32_e64 v13, v13, 0xffffff8a, vcc_lo
	s_delay_alu instid0(VALU_DEP_3) | instskip(NEXT) | instid1(VALU_DEP_3)
	v_lshl_add_u32 v58, 0x100000, v57, -1
	v_lshrrev_b32_e32 v59, v57, v56
	v_lshlrev_b32_e64 v61, v57, 0x80000
	s_delay_alu instid0(VALU_DEP_4) | instskip(NEXT) | instid1(VALU_DEP_4)
	v_add_nc_u32_e32 v57, v57, v13
	v_and_b32_e32 v56, v58, v56
	s_delay_alu instid0(VALU_DEP_4) | instskip(NEXT) | instid1(VALU_DEP_2)
	v_bfe_u32 v60, v59, 20, 1
	v_cmp_eq_u32_e64 s10, v56, v61
	s_delay_alu instid0(VALU_DEP_2) | instskip(NEXT) | instid1(VALU_DEP_1)
	v_add_nc_u32_e32 v58, -1, v60
	v_cndmask_b32_e64 v56, 0, v58, s10
	v_lshrrev_b32_e32 v58, 23, v59
	s_mov_b32 s10, exec_lo
	s_delay_alu instid0(VALU_DEP_2) | instskip(NEXT) | instid1(VALU_DEP_2)
	v_add_nc_u32_e32 v56, v56, v59
	v_xor_b32_e32 v58, 1, v58
	s_delay_alu instid0(VALU_DEP_2) | instskip(NEXT) | instid1(VALU_DEP_1)
	v_and_b32_e32 v13, 0xfffff, v56
	v_add_nc_u32_e32 v56, v13, v59
                                        ; implicit-def: $vgpr13
	s_delay_alu instid0(VALU_DEP_3)
	v_cmpx_ne_u32_e64 v57, v58
	s_xor_b32 s10, exec_lo, s10
; %bb.6588:                             ;   in Loop: Header=BB4_5816 Depth=2
	s_delay_alu instid0(VALU_DEP_2) | instskip(SKIP_2) | instid1(VALU_DEP_2)
	v_cmp_lt_u32_e32 vcc_lo, 0xffffff, v56
	v_sub_nc_u32_e32 v13, v57, v58
	v_cndmask_b32_e64 v57, 0, 1, vcc_lo
	v_add_co_ci_u32_e32 v13, vcc_lo, 0, v13, vcc_lo
	s_delay_alu instid0(VALU_DEP_2)
	v_lshrrev_b32_e32 v56, v57, v56
; %bb.6589:                             ;   in Loop: Header=BB4_5816 Depth=2
	s_and_not1_saveexec_b32 s10, s10
	s_cbranch_execz .LBB4_5813
; %bb.6590:                             ;   in Loop: Header=BB4_5816 Depth=2
	s_delay_alu instid0(VALU_DEP_1)
	v_bfe_u32 v13, v56, 23, 1
	s_branch .LBB4_5813
.LBB4_6591:                             ;   in Loop: Header=BB4_5816 Depth=2
	s_mov_b32 s10, -1
	s_mov_b32 s25, exec_lo
                                        ; implicit-def: $sgpr23
	v_cmpx_eq_u16_e32 0x80, v86
; %bb.6592:                             ;   in Loop: Header=BB4_5816 Depth=2
	s_mov_b32 s23, 0x7f800001
	s_xor_b32 s10, exec_lo, -1
; %bb.6593:                             ;   in Loop: Header=BB4_5816 Depth=2
	s_or_b32 exec_lo, exec_lo, s25
	s_delay_alu instid0(SALU_CYCLE_1)
	s_and_b32 s10, s10, exec_lo
                                        ; implicit-def: $vgpr86
	s_or_saveexec_b32 s24, s24
	v_mov_b32_e32 v85, s23
	s_xor_b32 exec_lo, exec_lo, s24
	s_cbranch_execz .LBB4_5827
.LBB4_6594:                             ;   in Loop: Header=BB4_5816 Depth=2
	v_cmp_ne_u16_e32 vcc_lo, 0, v86
	v_mov_b32_e32 v85, 0
	s_and_not1_b32 s10, s10, exec_lo
	s_and_b32 s23, vcc_lo, exec_lo
	s_delay_alu instid0(SALU_CYCLE_1)
	s_or_b32 s10, s10, s23
	s_or_b32 exec_lo, exec_lo, s24
	s_and_saveexec_b32 s23, s10
	s_cbranch_execnz .LBB4_5828
	s_branch .LBB4_5829
.LBB4_6595:                             ;   in Loop: Header=BB4_5816 Depth=2
	s_mov_b32 s10, -1
	s_mov_b32 s25, exec_lo
                                        ; implicit-def: $sgpr23
	v_cmpx_eq_u16_e32 0x80, v86
; %bb.6596:                             ;   in Loop: Header=BB4_5816 Depth=2
	s_mov_b32 s23, 0x7f800001
	s_xor_b32 s10, exec_lo, -1
; %bb.6597:                             ;   in Loop: Header=BB4_5816 Depth=2
	s_or_b32 exec_lo, exec_lo, s25
	s_delay_alu instid0(SALU_CYCLE_1)
	s_and_b32 s10, s10, exec_lo
	s_or_saveexec_b32 s24, s24
	v_mov_b32_e32 v87, s23
	s_xor_b32 exec_lo, exec_lo, s24
	s_cbranch_execz .LBB4_5839
.LBB4_6598:                             ;   in Loop: Header=BB4_5816 Depth=2
	v_cmp_ne_u16_e32 vcc_lo, 0, v86
	v_mov_b32_e32 v87, 0
	s_and_not1_b32 s10, s10, exec_lo
	s_and_b32 s23, vcc_lo, exec_lo
	s_delay_alu instid0(SALU_CYCLE_1)
	s_or_b32 s10, s10, s23
	s_or_b32 exec_lo, exec_lo, s24
	s_and_saveexec_b32 s23, s10
	s_cbranch_execnz .LBB4_5840
	s_branch .LBB4_5841
.LBB4_6599:                             ;   in Loop: Header=BB4_5816 Depth=2
	s_mov_b32 s10, -1
	s_mov_b32 s25, exec_lo
                                        ; implicit-def: $sgpr23
	v_cmpx_eq_u16_e32 0x80, v97
; %bb.6600:                             ;   in Loop: Header=BB4_5816 Depth=2
	s_mov_b32 s23, 0x7f800001
	s_xor_b32 s10, exec_lo, -1
; %bb.6601:                             ;   in Loop: Header=BB4_5816 Depth=2
	s_or_b32 exec_lo, exec_lo, s25
	s_delay_alu instid0(SALU_CYCLE_1)
	s_and_b32 s10, s10, exec_lo
                                        ; implicit-def: $vgpr97
	s_or_saveexec_b32 s24, s24
	v_mov_b32_e32 v96, s23
	s_xor_b32 exec_lo, exec_lo, s24
	s_cbranch_execz .LBB4_5851
.LBB4_6602:                             ;   in Loop: Header=BB4_5816 Depth=2
	v_cmp_ne_u16_e32 vcc_lo, 0, v97
	v_mov_b32_e32 v96, 0
	s_and_not1_b32 s10, s10, exec_lo
	s_and_b32 s23, vcc_lo, exec_lo
	s_delay_alu instid0(SALU_CYCLE_1)
	s_or_b32 s10, s10, s23
	s_or_b32 exec_lo, exec_lo, s24
	s_and_saveexec_b32 s23, s10
	s_cbranch_execnz .LBB4_5852
	s_branch .LBB4_5853
.LBB4_6603:                             ;   in Loop: Header=BB4_5816 Depth=2
	s_mov_b32 s10, -1
	s_mov_b32 s25, exec_lo
                                        ; implicit-def: $sgpr23
	v_cmpx_eq_u16_e32 0x80, v96
; %bb.6604:                             ;   in Loop: Header=BB4_5816 Depth=2
	s_mov_b32 s23, 0x7f800001
	s_xor_b32 s10, exec_lo, -1
; %bb.6605:                             ;   in Loop: Header=BB4_5816 Depth=2
	s_or_b32 exec_lo, exec_lo, s25
	s_delay_alu instid0(SALU_CYCLE_1)
	s_and_b32 s10, s10, exec_lo
	s_or_saveexec_b32 s24, s24
	v_mov_b32_e32 v97, s23
	s_xor_b32 exec_lo, exec_lo, s24
	s_cbranch_execz .LBB4_5863
.LBB4_6606:                             ;   in Loop: Header=BB4_5816 Depth=2
	v_cmp_ne_u16_e32 vcc_lo, 0, v96
	v_mov_b32_e32 v97, 0
	s_and_not1_b32 s10, s10, exec_lo
	s_and_b32 s23, vcc_lo, exec_lo
	s_delay_alu instid0(SALU_CYCLE_1)
	s_or_b32 s10, s10, s23
	s_or_b32 exec_lo, exec_lo, s24
	s_and_saveexec_b32 s23, s10
	s_cbranch_execnz .LBB4_5864
	s_branch .LBB4_5865
.LBB4_6607:                             ;   in Loop: Header=BB4_5816 Depth=2
	s_mov_b32 s10, -1
	s_mov_b32 s25, exec_lo
                                        ; implicit-def: $sgpr23
	v_cmpx_eq_u16_e32 0x80, v97
; %bb.6608:                             ;   in Loop: Header=BB4_5816 Depth=2
	s_mov_b32 s23, 0x7f800001
	s_xor_b32 s10, exec_lo, -1
; %bb.6609:                             ;   in Loop: Header=BB4_5816 Depth=2
	s_or_b32 exec_lo, exec_lo, s25
	s_delay_alu instid0(SALU_CYCLE_1)
	s_and_b32 s10, s10, exec_lo
                                        ; implicit-def: $vgpr97
	s_or_saveexec_b32 s24, s24
	v_mov_b32_e32 v10, s23
	s_xor_b32 exec_lo, exec_lo, s24
	s_cbranch_execz .LBB4_5875
.LBB4_6610:                             ;   in Loop: Header=BB4_5816 Depth=2
	v_cmp_ne_u16_e32 vcc_lo, 0, v97
	v_mov_b32_e32 v10, 0
	s_and_not1_b32 s10, s10, exec_lo
	s_and_b32 s23, vcc_lo, exec_lo
	s_delay_alu instid0(SALU_CYCLE_1)
	s_or_b32 s10, s10, s23
	s_or_b32 exec_lo, exec_lo, s24
	s_and_saveexec_b32 s23, s10
	s_cbranch_execnz .LBB4_5876
	s_branch .LBB4_5877
.LBB4_6611:                             ;   in Loop: Header=BB4_5816 Depth=2
	s_mov_b32 s10, -1
	s_mov_b32 s25, exec_lo
                                        ; implicit-def: $sgpr23
	v_cmpx_eq_u16_e32 0x80, v10
; %bb.6612:                             ;   in Loop: Header=BB4_5816 Depth=2
	s_mov_b32 s23, 0x7f800001
	s_xor_b32 s10, exec_lo, -1
; %bb.6613:                             ;   in Loop: Header=BB4_5816 Depth=2
	s_or_b32 exec_lo, exec_lo, s25
	s_delay_alu instid0(SALU_CYCLE_1)
	s_and_b32 s10, s10, exec_lo
	s_or_saveexec_b32 s24, s24
	v_mov_b32_e32 v98, s23
	s_xor_b32 exec_lo, exec_lo, s24
	s_cbranch_execz .LBB4_5887
.LBB4_6614:                             ;   in Loop: Header=BB4_5816 Depth=2
	v_cmp_ne_u16_e32 vcc_lo, 0, v10
	v_mov_b32_e32 v98, 0
	s_and_not1_b32 s10, s10, exec_lo
	s_and_b32 s23, vcc_lo, exec_lo
	s_delay_alu instid0(SALU_CYCLE_1)
	s_or_b32 s10, s10, s23
	s_or_b32 exec_lo, exec_lo, s24
	s_and_saveexec_b32 s23, s10
	s_cbranch_execnz .LBB4_5888
	s_branch .LBB4_5889
.LBB4_6615:                             ;   in Loop: Header=BB4_5816 Depth=2
	s_mov_b32 s10, -1
	s_mov_b32 s25, exec_lo
                                        ; implicit-def: $sgpr23
	v_cmpx_eq_u16_e32 0x80, v100
; %bb.6616:                             ;   in Loop: Header=BB4_5816 Depth=2
	s_mov_b32 s23, 0x7f800001
	s_xor_b32 s10, exec_lo, -1
; %bb.6617:                             ;   in Loop: Header=BB4_5816 Depth=2
	s_or_b32 exec_lo, exec_lo, s25
	s_delay_alu instid0(SALU_CYCLE_1)
	s_and_b32 s10, s10, exec_lo
                                        ; implicit-def: $vgpr100
	s_or_saveexec_b32 s24, s24
	v_mov_b32_e32 v99, s23
	s_xor_b32 exec_lo, exec_lo, s24
	s_cbranch_execz .LBB4_5899
.LBB4_6618:                             ;   in Loop: Header=BB4_5816 Depth=2
	v_cmp_ne_u16_e32 vcc_lo, 0, v100
	v_mov_b32_e32 v99, 0
	s_and_not1_b32 s10, s10, exec_lo
	s_and_b32 s23, vcc_lo, exec_lo
	s_delay_alu instid0(SALU_CYCLE_1)
	s_or_b32 s10, s10, s23
	s_or_b32 exec_lo, exec_lo, s24
	s_and_saveexec_b32 s23, s10
	s_cbranch_execnz .LBB4_5900
	s_branch .LBB4_5901
.LBB4_6619:                             ;   in Loop: Header=BB4_5816 Depth=2
	s_mov_b32 s10, -1
	s_mov_b32 s25, exec_lo
                                        ; implicit-def: $sgpr23
	v_cmpx_eq_u16_e32 0x80, v10
; %bb.6620:                             ;   in Loop: Header=BB4_5816 Depth=2
	s_mov_b32 s23, 0x7f800001
	s_xor_b32 s10, exec_lo, -1
; %bb.6621:                             ;   in Loop: Header=BB4_5816 Depth=2
	s_or_b32 exec_lo, exec_lo, s25
	s_delay_alu instid0(SALU_CYCLE_1)
	s_and_b32 s10, s10, exec_lo
	s_or_saveexec_b32 s24, s24
	v_mov_b32_e32 v100, s23
	s_xor_b32 exec_lo, exec_lo, s24
	s_cbranch_execz .LBB4_5911
.LBB4_6622:                             ;   in Loop: Header=BB4_5816 Depth=2
	v_cmp_ne_u16_e32 vcc_lo, 0, v10
	v_mov_b32_e32 v100, 0
	s_and_not1_b32 s10, s10, exec_lo
	s_and_b32 s23, vcc_lo, exec_lo
	s_delay_alu instid0(SALU_CYCLE_1)
	s_or_b32 s10, s10, s23
	s_or_b32 exec_lo, exec_lo, s24
	s_and_saveexec_b32 s23, s10
	s_cbranch_execnz .LBB4_5912
	s_branch .LBB4_5913
.LBB4_6623:                             ;   in Loop: Header=BB4_5816 Depth=2
	s_mov_b32 s10, -1
	s_mov_b32 s25, exec_lo
                                        ; implicit-def: $sgpr23
	v_cmpx_eq_u16_e32 0x80, v11
; %bb.6624:                             ;   in Loop: Header=BB4_5816 Depth=2
	s_mov_b32 s23, 0x7f800001
	s_xor_b32 s10, exec_lo, -1
; %bb.6625:                             ;   in Loop: Header=BB4_5816 Depth=2
	s_or_b32 exec_lo, exec_lo, s25
	s_delay_alu instid0(SALU_CYCLE_1)
	s_and_b32 s10, s10, exec_lo
                                        ; implicit-def: $vgpr11
	s_or_saveexec_b32 s24, s24
	v_mov_b32_e32 v10, s23
	s_xor_b32 exec_lo, exec_lo, s24
	s_cbranch_execz .LBB4_5923
.LBB4_6626:                             ;   in Loop: Header=BB4_5816 Depth=2
	v_cmp_ne_u16_e32 vcc_lo, 0, v11
	v_mov_b32_e32 v10, 0
	s_and_not1_b32 s10, s10, exec_lo
	s_and_b32 s23, vcc_lo, exec_lo
	s_delay_alu instid0(SALU_CYCLE_1)
	s_or_b32 s10, s10, s23
	s_or_b32 exec_lo, exec_lo, s24
	s_and_saveexec_b32 s23, s10
	s_cbranch_execnz .LBB4_5924
	s_branch .LBB4_5925
.LBB4_6627:                             ;   in Loop: Header=BB4_5816 Depth=2
	s_mov_b32 s10, -1
	s_mov_b32 s25, exec_lo
                                        ; implicit-def: $sgpr23
	v_cmpx_eq_u16_e32 0x80, v10
; %bb.6628:                             ;   in Loop: Header=BB4_5816 Depth=2
	s_mov_b32 s23, 0x7f800001
	s_xor_b32 s10, exec_lo, -1
; %bb.6629:                             ;   in Loop: Header=BB4_5816 Depth=2
	s_or_b32 exec_lo, exec_lo, s25
	s_delay_alu instid0(SALU_CYCLE_1)
	s_and_b32 s10, s10, exec_lo
	s_or_saveexec_b32 s24, s24
	v_mov_b32_e32 v11, s23
	s_xor_b32 exec_lo, exec_lo, s24
	s_cbranch_execz .LBB4_5935
.LBB4_6630:                             ;   in Loop: Header=BB4_5816 Depth=2
	v_cmp_ne_u16_e32 vcc_lo, 0, v10
	v_mov_b32_e32 v11, 0
	s_and_not1_b32 s10, s10, exec_lo
	s_and_b32 s23, vcc_lo, exec_lo
	s_delay_alu instid0(SALU_CYCLE_1)
	s_or_b32 s10, s10, s23
	s_or_b32 exec_lo, exec_lo, s24
	s_and_saveexec_b32 s23, s10
	s_cbranch_execnz .LBB4_5936
	s_branch .LBB4_5937
.LBB4_6631:                             ;   in Loop: Header=BB4_5816 Depth=2
	s_mov_b32 s10, -1
	s_mov_b32 s25, exec_lo
                                        ; implicit-def: $sgpr23
	v_cmpx_eq_u16_e32 0x80, v103
; %bb.6632:                             ;   in Loop: Header=BB4_5816 Depth=2
	s_mov_b32 s23, 0x7f800001
	s_xor_b32 s10, exec_lo, -1
; %bb.6633:                             ;   in Loop: Header=BB4_5816 Depth=2
	s_or_b32 exec_lo, exec_lo, s25
	s_delay_alu instid0(SALU_CYCLE_1)
	s_and_b32 s10, s10, exec_lo
                                        ; implicit-def: $vgpr103
	s_or_saveexec_b32 s24, s24
	v_mov_b32_e32 v11, s23
	s_xor_b32 exec_lo, exec_lo, s24
	s_cbranch_execz .LBB4_5947
.LBB4_6634:                             ;   in Loop: Header=BB4_5816 Depth=2
	v_cmp_ne_u16_e32 vcc_lo, 0, v103
	v_mov_b32_e32 v11, 0
	s_and_not1_b32 s10, s10, exec_lo
	s_and_b32 s23, vcc_lo, exec_lo
	s_delay_alu instid0(SALU_CYCLE_1)
	s_or_b32 s10, s10, s23
	s_or_b32 exec_lo, exec_lo, s24
	s_and_saveexec_b32 s23, s10
	s_cbranch_execnz .LBB4_5948
	s_branch .LBB4_5949
.LBB4_6635:                             ;   in Loop: Header=BB4_5816 Depth=2
	s_mov_b32 s10, -1
	s_mov_b32 s25, exec_lo
                                        ; implicit-def: $sgpr23
	v_cmpx_eq_u16_e32 0x80, v10
; %bb.6636:                             ;   in Loop: Header=BB4_5816 Depth=2
	s_mov_b32 s23, 0x7f800001
	s_xor_b32 s10, exec_lo, -1
; %bb.6637:                             ;   in Loop: Header=BB4_5816 Depth=2
	s_or_b32 exec_lo, exec_lo, s25
	s_delay_alu instid0(SALU_CYCLE_1)
	s_and_b32 s10, s10, exec_lo
	s_or_saveexec_b32 s24, s24
	v_mov_b32_e32 v11, s23
	s_xor_b32 exec_lo, exec_lo, s24
	s_cbranch_execz .LBB4_5959
.LBB4_6638:                             ;   in Loop: Header=BB4_5816 Depth=2
	v_cmp_ne_u16_e32 vcc_lo, 0, v10
	v_mov_b32_e32 v11, 0
	s_and_not1_b32 s10, s10, exec_lo
	s_and_b32 s23, vcc_lo, exec_lo
	s_delay_alu instid0(SALU_CYCLE_1)
	s_or_b32 s10, s10, s23
	s_or_b32 exec_lo, exec_lo, s24
	s_and_saveexec_b32 s23, s10
	s_cbranch_execnz .LBB4_5960
	s_branch .LBB4_5961
.LBB4_6639:                             ;   in Loop: Header=BB4_5816 Depth=2
	s_mov_b32 s10, -1
	s_mov_b32 s25, exec_lo
                                        ; implicit-def: $sgpr23
	v_cmpx_eq_u16_e32 0x80, v11
; %bb.6640:                             ;   in Loop: Header=BB4_5816 Depth=2
	s_mov_b32 s23, 0x7f800001
	s_xor_b32 s10, exec_lo, -1
; %bb.6641:                             ;   in Loop: Header=BB4_5816 Depth=2
	s_or_b32 exec_lo, exec_lo, s25
	s_delay_alu instid0(SALU_CYCLE_1)
	s_and_b32 s10, s10, exec_lo
                                        ; implicit-def: $vgpr11
	s_or_saveexec_b32 s24, s24
	v_mov_b32_e32 v10, s23
	s_xor_b32 exec_lo, exec_lo, s24
	s_cbranch_execz .LBB4_5971
.LBB4_6642:                             ;   in Loop: Header=BB4_5816 Depth=2
	v_cmp_ne_u16_e32 vcc_lo, 0, v11
	v_mov_b32_e32 v10, 0
	s_and_not1_b32 s10, s10, exec_lo
	s_and_b32 s23, vcc_lo, exec_lo
	s_delay_alu instid0(SALU_CYCLE_1)
	s_or_b32 s10, s10, s23
	s_or_b32 exec_lo, exec_lo, s24
	s_and_saveexec_b32 s23, s10
	s_cbranch_execnz .LBB4_5972
	s_branch .LBB4_5973
.LBB4_6643:                             ;   in Loop: Header=BB4_5816 Depth=2
	s_mov_b32 s10, -1
	s_mov_b32 s25, exec_lo
                                        ; implicit-def: $sgpr23
	v_cmpx_eq_u16_e32 0x80, v10
; %bb.6644:                             ;   in Loop: Header=BB4_5816 Depth=2
	s_mov_b32 s23, 0x7f800001
	s_xor_b32 s10, exec_lo, -1
; %bb.6645:                             ;   in Loop: Header=BB4_5816 Depth=2
	s_or_b32 exec_lo, exec_lo, s25
	s_delay_alu instid0(SALU_CYCLE_1)
	s_and_b32 s10, s10, exec_lo
	s_or_saveexec_b32 s24, s24
	v_mov_b32_e32 v11, s23
	s_xor_b32 exec_lo, exec_lo, s24
	s_cbranch_execz .LBB4_5983
.LBB4_6646:                             ;   in Loop: Header=BB4_5816 Depth=2
	v_cmp_ne_u16_e32 vcc_lo, 0, v10
	v_mov_b32_e32 v11, 0
	s_and_not1_b32 s10, s10, exec_lo
	s_and_b32 s23, vcc_lo, exec_lo
	s_delay_alu instid0(SALU_CYCLE_1)
	s_or_b32 s10, s10, s23
	s_or_b32 exec_lo, exec_lo, s24
	s_and_saveexec_b32 s23, s10
	s_cbranch_execnz .LBB4_5984
	s_branch .LBB4_5985
.LBB4_6647:                             ;   in Loop: Header=BB4_5816 Depth=2
	s_mov_b32 s10, -1
	s_mov_b32 s25, exec_lo
                                        ; implicit-def: $sgpr23
	v_cmpx_eq_u16_e32 0x80, v12
; %bb.6648:                             ;   in Loop: Header=BB4_5816 Depth=2
	s_mov_b32 s23, 0x7f800001
	s_xor_b32 s10, exec_lo, -1
; %bb.6649:                             ;   in Loop: Header=BB4_5816 Depth=2
	s_or_b32 exec_lo, exec_lo, s25
	s_delay_alu instid0(SALU_CYCLE_1)
	s_and_b32 s10, s10, exec_lo
                                        ; implicit-def: $vgpr12
	s_or_saveexec_b32 s24, s24
	v_mov_b32_e32 v11, s23
	s_xor_b32 exec_lo, exec_lo, s24
	s_cbranch_execz .LBB4_5995
.LBB4_6650:                             ;   in Loop: Header=BB4_5816 Depth=2
	v_cmp_ne_u16_e32 vcc_lo, 0, v12
	v_mov_b32_e32 v11, 0
	s_and_not1_b32 s10, s10, exec_lo
	s_and_b32 s23, vcc_lo, exec_lo
	s_delay_alu instid0(SALU_CYCLE_1)
	s_or_b32 s10, s10, s23
	s_or_b32 exec_lo, exec_lo, s24
	s_and_saveexec_b32 s23, s10
	s_cbranch_execnz .LBB4_5996
	s_branch .LBB4_5997
.LBB4_6651:                             ;   in Loop: Header=BB4_5816 Depth=2
	s_mov_b32 s10, -1
	s_mov_b32 s25, exec_lo
                                        ; implicit-def: $sgpr23
	v_cmpx_eq_u16_e32 0x80, v10
; %bb.6652:                             ;   in Loop: Header=BB4_5816 Depth=2
	s_mov_b32 s23, 0x7f800001
	s_xor_b32 s10, exec_lo, -1
; %bb.6653:                             ;   in Loop: Header=BB4_5816 Depth=2
	s_or_b32 exec_lo, exec_lo, s25
	s_delay_alu instid0(SALU_CYCLE_1)
	s_and_b32 s10, s10, exec_lo
	s_or_saveexec_b32 s24, s24
	v_mov_b32_e32 v11, s23
	s_xor_b32 exec_lo, exec_lo, s24
	s_cbranch_execz .LBB4_6007
.LBB4_6654:                             ;   in Loop: Header=BB4_5816 Depth=2
	v_cmp_ne_u16_e32 vcc_lo, 0, v10
	v_mov_b32_e32 v11, 0
	s_and_not1_b32 s10, s10, exec_lo
	s_and_b32 s23, vcc_lo, exec_lo
	s_delay_alu instid0(SALU_CYCLE_1)
	s_or_b32 s10, s10, s23
	s_or_b32 exec_lo, exec_lo, s24
	s_and_saveexec_b32 s23, s10
	s_cbranch_execnz .LBB4_6008
	s_branch .LBB4_6009
.LBB4_6655:                             ;   in Loop: Header=BB4_5816 Depth=2
	s_mov_b32 s10, -1
	s_mov_b32 s25, exec_lo
                                        ; implicit-def: $sgpr23
	v_cmpx_eq_u16_e32 0x80, v118
; %bb.6656:                             ;   in Loop: Header=BB4_5816 Depth=2
	s_mov_b32 s23, 0x7f800001
	s_xor_b32 s10, exec_lo, -1
; %bb.6657:                             ;   in Loop: Header=BB4_5816 Depth=2
	s_or_b32 exec_lo, exec_lo, s25
	s_delay_alu instid0(SALU_CYCLE_1)
	s_and_b32 s10, s10, exec_lo
                                        ; implicit-def: $vgpr118
	s_or_saveexec_b32 s24, s24
	v_mov_b32_e32 v117, s23
	s_xor_b32 exec_lo, exec_lo, s24
	s_cbranch_execz .LBB4_6019
.LBB4_6658:                             ;   in Loop: Header=BB4_5816 Depth=2
	v_cmp_ne_u16_e32 vcc_lo, 0, v118
	v_mov_b32_e32 v117, 0
	s_and_not1_b32 s10, s10, exec_lo
	s_and_b32 s23, vcc_lo, exec_lo
	s_delay_alu instid0(SALU_CYCLE_1)
	s_or_b32 s10, s10, s23
	s_or_b32 exec_lo, exec_lo, s24
	s_and_saveexec_b32 s23, s10
	s_cbranch_execnz .LBB4_6020
	s_branch .LBB4_6021
.LBB4_6659:                             ;   in Loop: Header=BB4_5816 Depth=2
	s_mov_b32 s10, -1
	s_mov_b32 s25, exec_lo
                                        ; implicit-def: $sgpr23
	v_cmpx_eq_u16_e32 0x80, v118
; %bb.6660:                             ;   in Loop: Header=BB4_5816 Depth=2
	s_mov_b32 s23, 0x7f800001
	s_xor_b32 s10, exec_lo, -1
; %bb.6661:                             ;   in Loop: Header=BB4_5816 Depth=2
	s_or_b32 exec_lo, exec_lo, s25
	s_delay_alu instid0(SALU_CYCLE_1)
	s_and_b32 s10, s10, exec_lo
	s_or_saveexec_b32 s24, s24
	v_mov_b32_e32 v119, s23
	s_xor_b32 exec_lo, exec_lo, s24
	s_cbranch_execz .LBB4_6031
.LBB4_6662:                             ;   in Loop: Header=BB4_5816 Depth=2
	v_cmp_ne_u16_e32 vcc_lo, 0, v118
	v_mov_b32_e32 v119, 0
	s_and_not1_b32 s10, s10, exec_lo
	s_and_b32 s23, vcc_lo, exec_lo
	s_delay_alu instid0(SALU_CYCLE_1)
	s_or_b32 s10, s10, s23
	s_or_b32 exec_lo, exec_lo, s24
	s_and_saveexec_b32 s23, s10
	s_cbranch_execnz .LBB4_6032
	s_branch .LBB4_6033
.LBB4_6663:                             ;   in Loop: Header=BB4_5816 Depth=2
	s_mov_b32 s10, -1
	s_mov_b32 s25, exec_lo
                                        ; implicit-def: $sgpr23
	v_cmpx_eq_u16_e64 0x80, v129
; %bb.6664:                             ;   in Loop: Header=BB4_5816 Depth=2
	s_mov_b32 s23, 0x7f800001
	s_xor_b32 s10, exec_lo, -1
; %bb.6665:                             ;   in Loop: Header=BB4_5816 Depth=2
	s_or_b32 exec_lo, exec_lo, s25
	s_delay_alu instid0(SALU_CYCLE_1)
	s_and_b32 s10, s10, exec_lo
                                        ; implicit-def: $vgpr129
	s_or_saveexec_b32 s24, s24
	v_mov_b32_e32 v128, s23
	s_xor_b32 exec_lo, exec_lo, s24
	s_cbranch_execz .LBB4_6043
.LBB4_6666:                             ;   in Loop: Header=BB4_5816 Depth=2
	v_cmp_ne_u16_e64 vcc_lo, 0, v129
	v_mov_b32_e32 v128, 0
	s_and_not1_b32 s10, s10, exec_lo
	s_delay_alu instid0(VALU_DEP_2) | instskip(NEXT) | instid1(SALU_CYCLE_1)
	s_and_b32 s23, vcc_lo, exec_lo
	s_or_b32 s10, s10, s23
	s_or_b32 exec_lo, exec_lo, s24
	s_and_saveexec_b32 s23, s10
	s_cbranch_execnz .LBB4_6044
	s_branch .LBB4_6045
.LBB4_6667:                             ;   in Loop: Header=BB4_5816 Depth=2
	s_mov_b32 s10, -1
	s_mov_b32 s25, exec_lo
                                        ; implicit-def: $sgpr23
	v_cmpx_eq_u16_e64 0x80, v128
; %bb.6668:                             ;   in Loop: Header=BB4_5816 Depth=2
	s_mov_b32 s23, 0x7f800001
	s_xor_b32 s10, exec_lo, -1
; %bb.6669:                             ;   in Loop: Header=BB4_5816 Depth=2
	s_or_b32 exec_lo, exec_lo, s25
	s_delay_alu instid0(SALU_CYCLE_1)
	s_and_b32 s10, s10, exec_lo
	s_or_saveexec_b32 s24, s24
	v_mov_b32_e32 v129, s23
	s_xor_b32 exec_lo, exec_lo, s24
	s_cbranch_execz .LBB4_6055
.LBB4_6670:                             ;   in Loop: Header=BB4_5816 Depth=2
	v_cmp_ne_u16_e64 vcc_lo, 0, v128
	v_mov_b32_e32 v129, 0
	s_and_not1_b32 s10, s10, exec_lo
	s_delay_alu instid0(VALU_DEP_2) | instskip(NEXT) | instid1(SALU_CYCLE_1)
	s_and_b32 s23, vcc_lo, exec_lo
	s_or_b32 s10, s10, s23
	s_or_b32 exec_lo, exec_lo, s24
	s_and_saveexec_b32 s23, s10
	s_cbranch_execnz .LBB4_6056
	s_branch .LBB4_6057
.LBB4_6671:                             ;   in Loop: Header=BB4_5816 Depth=2
	s_mov_b32 s10, -1
	s_mov_b32 s25, exec_lo
                                        ; implicit-def: $sgpr23
	v_cmpx_eq_u16_e64 0x80, v129
; %bb.6672:                             ;   in Loop: Header=BB4_5816 Depth=2
	s_mov_b32 s23, 0x7f800001
	s_xor_b32 s10, exec_lo, -1
; %bb.6673:                             ;   in Loop: Header=BB4_5816 Depth=2
	s_or_b32 exec_lo, exec_lo, s25
	s_delay_alu instid0(SALU_CYCLE_1)
	s_and_b32 s10, s10, exec_lo
                                        ; implicit-def: $vgpr129
	s_or_saveexec_b32 s24, s24
	v_mov_b32_e32 v10, s23
	s_xor_b32 exec_lo, exec_lo, s24
	s_cbranch_execz .LBB4_6067
.LBB4_6674:                             ;   in Loop: Header=BB4_5816 Depth=2
	v_cmp_ne_u16_e64 vcc_lo, 0, v129
	v_mov_b32_e32 v10, 0
	s_and_not1_b32 s10, s10, exec_lo
	s_delay_alu instid0(VALU_DEP_2) | instskip(NEXT) | instid1(SALU_CYCLE_1)
	s_and_b32 s23, vcc_lo, exec_lo
	s_or_b32 s10, s10, s23
	s_or_b32 exec_lo, exec_lo, s24
	s_and_saveexec_b32 s23, s10
	s_cbranch_execnz .LBB4_6068
	s_branch .LBB4_6069
.LBB4_6675:                             ;   in Loop: Header=BB4_5816 Depth=2
	s_mov_b32 s10, -1
	s_mov_b32 s25, exec_lo
                                        ; implicit-def: $sgpr23
	v_cmpx_eq_u16_e32 0x80, v10
; %bb.6676:                             ;   in Loop: Header=BB4_5816 Depth=2
	s_mov_b32 s23, 0x7f800001
	s_xor_b32 s10, exec_lo, -1
; %bb.6677:                             ;   in Loop: Header=BB4_5816 Depth=2
	s_or_b32 exec_lo, exec_lo, s25
	s_delay_alu instid0(SALU_CYCLE_1)
	s_and_b32 s10, s10, exec_lo
	s_or_saveexec_b32 s24, s24
	v_mov_b32_e32 v130, s23
	s_xor_b32 exec_lo, exec_lo, s24
	s_cbranch_execz .LBB4_6079
.LBB4_6678:                             ;   in Loop: Header=BB4_5816 Depth=2
	v_cmp_ne_u16_e32 vcc_lo, 0, v10
	v_mov_b32_e32 v130, 0
	s_and_not1_b32 s10, s10, exec_lo
	s_and_b32 s23, vcc_lo, exec_lo
	s_delay_alu instid0(SALU_CYCLE_1)
	s_or_b32 s10, s10, s23
	s_or_b32 exec_lo, exec_lo, s24
	s_and_saveexec_b32 s23, s10
	s_cbranch_execnz .LBB4_6080
	s_branch .LBB4_6081
.LBB4_6679:                             ;   in Loop: Header=BB4_5816 Depth=2
	s_mov_b32 s10, -1
	s_mov_b32 s25, exec_lo
                                        ; implicit-def: $sgpr23
	v_cmpx_eq_u16_e64 0x80, v132
; %bb.6680:                             ;   in Loop: Header=BB4_5816 Depth=2
	s_mov_b32 s23, 0x7f800001
	s_xor_b32 s10, exec_lo, -1
; %bb.6681:                             ;   in Loop: Header=BB4_5816 Depth=2
	s_or_b32 exec_lo, exec_lo, s25
	s_delay_alu instid0(SALU_CYCLE_1)
	s_and_b32 s10, s10, exec_lo
                                        ; implicit-def: $vgpr132
	s_or_saveexec_b32 s24, s24
	v_mov_b32_e32 v131, s23
	s_xor_b32 exec_lo, exec_lo, s24
	s_cbranch_execz .LBB4_6091
.LBB4_6682:                             ;   in Loop: Header=BB4_5816 Depth=2
	v_cmp_ne_u16_e64 vcc_lo, 0, v132
	v_mov_b32_e32 v131, 0
	s_and_not1_b32 s10, s10, exec_lo
	s_delay_alu instid0(VALU_DEP_2) | instskip(NEXT) | instid1(SALU_CYCLE_1)
	s_and_b32 s23, vcc_lo, exec_lo
	s_or_b32 s10, s10, s23
	s_or_b32 exec_lo, exec_lo, s24
	s_and_saveexec_b32 s23, s10
	s_cbranch_execnz .LBB4_6092
	s_branch .LBB4_6093
.LBB4_6683:                             ;   in Loop: Header=BB4_5816 Depth=2
	s_mov_b32 s10, -1
	s_mov_b32 s25, exec_lo
                                        ; implicit-def: $sgpr23
	v_cmpx_eq_u16_e32 0x80, v10
; %bb.6684:                             ;   in Loop: Header=BB4_5816 Depth=2
	s_mov_b32 s23, 0x7f800001
	s_xor_b32 s10, exec_lo, -1
; %bb.6685:                             ;   in Loop: Header=BB4_5816 Depth=2
	s_or_b32 exec_lo, exec_lo, s25
	s_delay_alu instid0(SALU_CYCLE_1)
	s_and_b32 s10, s10, exec_lo
	s_or_saveexec_b32 s24, s24
	v_mov_b32_e32 v132, s23
	s_xor_b32 exec_lo, exec_lo, s24
	s_cbranch_execz .LBB4_6103
.LBB4_6686:                             ;   in Loop: Header=BB4_5816 Depth=2
	v_cmp_ne_u16_e32 vcc_lo, 0, v10
	v_mov_b32_e32 v132, 0
	s_and_not1_b32 s10, s10, exec_lo
	s_and_b32 s23, vcc_lo, exec_lo
	s_delay_alu instid0(SALU_CYCLE_1)
	s_or_b32 s10, s10, s23
	s_or_b32 exec_lo, exec_lo, s24
	s_and_saveexec_b32 s23, s10
	s_cbranch_execnz .LBB4_6104
	s_branch .LBB4_6105
.LBB4_6687:                             ;   in Loop: Header=BB4_5816 Depth=2
	s_mov_b32 s10, -1
	s_mov_b32 s25, exec_lo
                                        ; implicit-def: $sgpr23
	v_cmpx_eq_u16_e32 0x80, v11
; %bb.6688:                             ;   in Loop: Header=BB4_5816 Depth=2
	s_mov_b32 s23, 0x7f800001
	s_xor_b32 s10, exec_lo, -1
; %bb.6689:                             ;   in Loop: Header=BB4_5816 Depth=2
	s_or_b32 exec_lo, exec_lo, s25
	s_delay_alu instid0(SALU_CYCLE_1)
	s_and_b32 s10, s10, exec_lo
                                        ; implicit-def: $vgpr11
	s_or_saveexec_b32 s24, s24
	v_mov_b32_e32 v10, s23
	s_xor_b32 exec_lo, exec_lo, s24
	s_cbranch_execz .LBB4_6115
.LBB4_6690:                             ;   in Loop: Header=BB4_5816 Depth=2
	v_cmp_ne_u16_e32 vcc_lo, 0, v11
	v_mov_b32_e32 v10, 0
	s_and_not1_b32 s10, s10, exec_lo
	s_and_b32 s23, vcc_lo, exec_lo
	s_delay_alu instid0(SALU_CYCLE_1)
	s_or_b32 s10, s10, s23
	s_or_b32 exec_lo, exec_lo, s24
	s_and_saveexec_b32 s23, s10
	s_cbranch_execnz .LBB4_6116
	s_branch .LBB4_6117
.LBB4_6691:                             ;   in Loop: Header=BB4_5816 Depth=2
	s_mov_b32 s10, -1
	s_mov_b32 s25, exec_lo
                                        ; implicit-def: $sgpr23
	v_cmpx_eq_u16_e32 0x80, v10
; %bb.6692:                             ;   in Loop: Header=BB4_5816 Depth=2
	s_mov_b32 s23, 0x7f800001
	s_xor_b32 s10, exec_lo, -1
; %bb.6693:                             ;   in Loop: Header=BB4_5816 Depth=2
	s_or_b32 exec_lo, exec_lo, s25
	s_delay_alu instid0(SALU_CYCLE_1)
	s_and_b32 s10, s10, exec_lo
	s_or_saveexec_b32 s24, s24
	v_mov_b32_e32 v11, s23
	s_xor_b32 exec_lo, exec_lo, s24
	s_cbranch_execz .LBB4_6127
.LBB4_6694:                             ;   in Loop: Header=BB4_5816 Depth=2
	v_cmp_ne_u16_e32 vcc_lo, 0, v10
	v_mov_b32_e32 v11, 0
	s_and_not1_b32 s10, s10, exec_lo
	s_and_b32 s23, vcc_lo, exec_lo
	s_delay_alu instid0(SALU_CYCLE_1)
	s_or_b32 s10, s10, s23
	s_or_b32 exec_lo, exec_lo, s24
	s_and_saveexec_b32 s23, s10
	s_cbranch_execnz .LBB4_6128
	s_branch .LBB4_6129
.LBB4_6695:                             ;   in Loop: Header=BB4_5816 Depth=2
	s_mov_b32 s10, -1
	s_mov_b32 s25, exec_lo
                                        ; implicit-def: $sgpr23
	v_cmpx_eq_u16_e64 0x80, v135
; %bb.6696:                             ;   in Loop: Header=BB4_5816 Depth=2
	s_mov_b32 s23, 0x7f800001
	s_xor_b32 s10, exec_lo, -1
; %bb.6697:                             ;   in Loop: Header=BB4_5816 Depth=2
	s_or_b32 exec_lo, exec_lo, s25
	s_delay_alu instid0(SALU_CYCLE_1)
	s_and_b32 s10, s10, exec_lo
                                        ; implicit-def: $vgpr135
	s_or_saveexec_b32 s24, s24
	v_mov_b32_e32 v11, s23
	s_xor_b32 exec_lo, exec_lo, s24
	s_cbranch_execz .LBB4_6139
.LBB4_6698:                             ;   in Loop: Header=BB4_5816 Depth=2
	v_cmp_ne_u16_e64 vcc_lo, 0, v135
	v_mov_b32_e32 v11, 0
	s_and_not1_b32 s10, s10, exec_lo
	s_delay_alu instid0(VALU_DEP_2) | instskip(NEXT) | instid1(SALU_CYCLE_1)
	s_and_b32 s23, vcc_lo, exec_lo
	s_or_b32 s10, s10, s23
	s_or_b32 exec_lo, exec_lo, s24
	s_and_saveexec_b32 s23, s10
	s_cbranch_execnz .LBB4_6140
	s_branch .LBB4_6141
.LBB4_6699:                             ;   in Loop: Header=BB4_5816 Depth=2
	s_mov_b32 s10, -1
	s_mov_b32 s25, exec_lo
                                        ; implicit-def: $sgpr23
	v_cmpx_eq_u16_e32 0x80, v10
; %bb.6700:                             ;   in Loop: Header=BB4_5816 Depth=2
	s_mov_b32 s23, 0x7f800001
	s_xor_b32 s10, exec_lo, -1
; %bb.6701:                             ;   in Loop: Header=BB4_5816 Depth=2
	s_or_b32 exec_lo, exec_lo, s25
	s_delay_alu instid0(SALU_CYCLE_1)
	s_and_b32 s10, s10, exec_lo
	s_or_saveexec_b32 s24, s24
	v_mov_b32_e32 v11, s23
	s_xor_b32 exec_lo, exec_lo, s24
	s_cbranch_execz .LBB4_6151
.LBB4_6702:                             ;   in Loop: Header=BB4_5816 Depth=2
	v_cmp_ne_u16_e32 vcc_lo, 0, v10
	v_mov_b32_e32 v11, 0
	s_and_not1_b32 s10, s10, exec_lo
	s_and_b32 s23, vcc_lo, exec_lo
	s_delay_alu instid0(SALU_CYCLE_1)
	s_or_b32 s10, s10, s23
	s_or_b32 exec_lo, exec_lo, s24
	s_and_saveexec_b32 s23, s10
	s_cbranch_execnz .LBB4_6152
	s_branch .LBB4_6153
.LBB4_6703:                             ;   in Loop: Header=BB4_5816 Depth=2
	s_mov_b32 s10, -1
	s_mov_b32 s25, exec_lo
                                        ; implicit-def: $sgpr23
	v_cmpx_eq_u16_e32 0x80, v11
; %bb.6704:                             ;   in Loop: Header=BB4_5816 Depth=2
	s_mov_b32 s23, 0x7f800001
	s_xor_b32 s10, exec_lo, -1
; %bb.6705:                             ;   in Loop: Header=BB4_5816 Depth=2
	s_or_b32 exec_lo, exec_lo, s25
	s_delay_alu instid0(SALU_CYCLE_1)
	s_and_b32 s10, s10, exec_lo
                                        ; implicit-def: $vgpr11
	s_or_saveexec_b32 s24, s24
	v_mov_b32_e32 v10, s23
	s_xor_b32 exec_lo, exec_lo, s24
	s_cbranch_execz .LBB4_6163
.LBB4_6706:                             ;   in Loop: Header=BB4_5816 Depth=2
	v_cmp_ne_u16_e32 vcc_lo, 0, v11
	v_mov_b32_e32 v10, 0
	s_and_not1_b32 s10, s10, exec_lo
	s_and_b32 s23, vcc_lo, exec_lo
	s_delay_alu instid0(SALU_CYCLE_1)
	s_or_b32 s10, s10, s23
	s_or_b32 exec_lo, exec_lo, s24
	s_and_saveexec_b32 s23, s10
	s_cbranch_execnz .LBB4_6164
	s_branch .LBB4_6165
.LBB4_6707:                             ;   in Loop: Header=BB4_5816 Depth=2
	s_mov_b32 s10, -1
	s_mov_b32 s25, exec_lo
                                        ; implicit-def: $sgpr23
	v_cmpx_eq_u16_e32 0x80, v10
; %bb.6708:                             ;   in Loop: Header=BB4_5816 Depth=2
	s_mov_b32 s23, 0x7f800001
	s_xor_b32 s10, exec_lo, -1
; %bb.6709:                             ;   in Loop: Header=BB4_5816 Depth=2
	s_or_b32 exec_lo, exec_lo, s25
	s_delay_alu instid0(SALU_CYCLE_1)
	s_and_b32 s10, s10, exec_lo
	s_or_saveexec_b32 s24, s24
	v_mov_b32_e32 v11, s23
	s_xor_b32 exec_lo, exec_lo, s24
	s_cbranch_execz .LBB4_6175
.LBB4_6710:                             ;   in Loop: Header=BB4_5816 Depth=2
	v_cmp_ne_u16_e32 vcc_lo, 0, v10
	v_mov_b32_e32 v11, 0
	s_and_not1_b32 s10, s10, exec_lo
	s_and_b32 s23, vcc_lo, exec_lo
	s_delay_alu instid0(SALU_CYCLE_1)
	s_or_b32 s10, s10, s23
	s_or_b32 exec_lo, exec_lo, s24
	s_and_saveexec_b32 s23, s10
	s_cbranch_execnz .LBB4_6176
	s_branch .LBB4_6177
.LBB4_6711:                             ;   in Loop: Header=BB4_5816 Depth=2
	s_mov_b32 s10, -1
	s_mov_b32 s25, exec_lo
                                        ; implicit-def: $sgpr23
	v_cmpx_eq_u16_e32 0x80, v12
; %bb.6712:                             ;   in Loop: Header=BB4_5816 Depth=2
	s_mov_b32 s23, 0x7f800001
	s_xor_b32 s10, exec_lo, -1
; %bb.6713:                             ;   in Loop: Header=BB4_5816 Depth=2
	s_or_b32 exec_lo, exec_lo, s25
	s_delay_alu instid0(SALU_CYCLE_1)
	s_and_b32 s10, s10, exec_lo
                                        ; implicit-def: $vgpr12
	s_or_saveexec_b32 s24, s24
	v_mov_b32_e32 v11, s23
	s_xor_b32 exec_lo, exec_lo, s24
	s_cbranch_execz .LBB4_6187
.LBB4_6714:                             ;   in Loop: Header=BB4_5816 Depth=2
	v_cmp_ne_u16_e32 vcc_lo, 0, v12
	v_mov_b32_e32 v11, 0
	s_and_not1_b32 s10, s10, exec_lo
	s_and_b32 s23, vcc_lo, exec_lo
	s_delay_alu instid0(SALU_CYCLE_1)
	s_or_b32 s10, s10, s23
	s_or_b32 exec_lo, exec_lo, s24
	s_and_saveexec_b32 s23, s10
	s_cbranch_execnz .LBB4_6188
	s_branch .LBB4_6189
.LBB4_6715:                             ;   in Loop: Header=BB4_5816 Depth=2
	s_mov_b32 s10, -1
	s_mov_b32 s25, exec_lo
                                        ; implicit-def: $sgpr23
	v_cmpx_eq_u16_e32 0x80, v10
; %bb.6716:                             ;   in Loop: Header=BB4_5816 Depth=2
	s_mov_b32 s23, 0x7f800001
	s_xor_b32 s10, exec_lo, -1
; %bb.6717:                             ;   in Loop: Header=BB4_5816 Depth=2
	s_or_b32 exec_lo, exec_lo, s25
	s_delay_alu instid0(SALU_CYCLE_1)
	s_and_b32 s10, s10, exec_lo
	s_or_saveexec_b32 s24, s24
	v_mov_b32_e32 v11, s23
	s_xor_b32 exec_lo, exec_lo, s24
	s_cbranch_execz .LBB4_6199
.LBB4_6718:                             ;   in Loop: Header=BB4_5816 Depth=2
	v_cmp_ne_u16_e32 vcc_lo, 0, v10
	v_mov_b32_e32 v11, 0
	s_and_not1_b32 s10, s10, exec_lo
	s_and_b32 s23, vcc_lo, exec_lo
	s_delay_alu instid0(SALU_CYCLE_1)
	s_or_b32 s10, s10, s23
	s_or_b32 exec_lo, exec_lo, s24
	s_and_saveexec_b32 s23, s10
	s_cbranch_execnz .LBB4_6200
	s_branch .LBB4_6201
.LBB4_6719:                             ;   in Loop: Header=BB4_5816 Depth=2
	s_mov_b32 s10, -1
	s_mov_b32 s25, exec_lo
                                        ; implicit-def: $sgpr23
	v_cmpx_eq_u16_e64 0x80, v150
; %bb.6720:                             ;   in Loop: Header=BB4_5816 Depth=2
	s_mov_b32 s23, 0x7f800001
	s_xor_b32 s10, exec_lo, -1
; %bb.6721:                             ;   in Loop: Header=BB4_5816 Depth=2
	s_or_b32 exec_lo, exec_lo, s25
	s_delay_alu instid0(SALU_CYCLE_1)
	s_and_b32 s10, s10, exec_lo
                                        ; implicit-def: $vgpr150
	s_or_saveexec_b32 s24, s24
	v_mov_b32_e32 v149, s23
	s_xor_b32 exec_lo, exec_lo, s24
	s_cbranch_execz .LBB4_6211
.LBB4_6722:                             ;   in Loop: Header=BB4_5816 Depth=2
	v_cmp_ne_u16_e64 vcc_lo, 0, v150
	v_mov_b32_e32 v149, 0
	s_and_not1_b32 s10, s10, exec_lo
	s_delay_alu instid0(VALU_DEP_2) | instskip(NEXT) | instid1(SALU_CYCLE_1)
	s_and_b32 s23, vcc_lo, exec_lo
	s_or_b32 s10, s10, s23
	s_or_b32 exec_lo, exec_lo, s24
	s_and_saveexec_b32 s23, s10
	s_cbranch_execnz .LBB4_6212
	s_branch .LBB4_6213
.LBB4_6723:                             ;   in Loop: Header=BB4_5816 Depth=2
	s_mov_b32 s10, -1
	s_mov_b32 s25, exec_lo
                                        ; implicit-def: $sgpr23
	v_cmpx_eq_u16_e64 0x80, v150
; %bb.6724:                             ;   in Loop: Header=BB4_5816 Depth=2
	s_mov_b32 s23, 0x7f800001
	s_xor_b32 s10, exec_lo, -1
; %bb.6725:                             ;   in Loop: Header=BB4_5816 Depth=2
	s_or_b32 exec_lo, exec_lo, s25
	s_delay_alu instid0(SALU_CYCLE_1)
	s_and_b32 s10, s10, exec_lo
	s_or_saveexec_b32 s24, s24
	v_mov_b32_e32 v151, s23
	s_xor_b32 exec_lo, exec_lo, s24
	s_cbranch_execz .LBB4_6223
.LBB4_6726:                             ;   in Loop: Header=BB4_5816 Depth=2
	v_cmp_ne_u16_e64 vcc_lo, 0, v150
	v_mov_b32_e32 v151, 0
	s_and_not1_b32 s10, s10, exec_lo
	s_delay_alu instid0(VALU_DEP_2) | instskip(NEXT) | instid1(SALU_CYCLE_1)
	s_and_b32 s23, vcc_lo, exec_lo
	s_or_b32 s10, s10, s23
	s_or_b32 exec_lo, exec_lo, s24
	s_and_saveexec_b32 s23, s10
	s_cbranch_execnz .LBB4_6224
	s_branch .LBB4_6225
.LBB4_6727:                             ;   in Loop: Header=BB4_5816 Depth=2
	s_mov_b32 s10, -1
	s_mov_b32 s25, exec_lo
                                        ; implicit-def: $sgpr23
	v_cmpx_eq_u16_e64 0x80, v161
; %bb.6728:                             ;   in Loop: Header=BB4_5816 Depth=2
	s_mov_b32 s23, 0x7f800001
	s_xor_b32 s10, exec_lo, -1
; %bb.6729:                             ;   in Loop: Header=BB4_5816 Depth=2
	s_or_b32 exec_lo, exec_lo, s25
	s_delay_alu instid0(SALU_CYCLE_1)
	s_and_b32 s10, s10, exec_lo
                                        ; implicit-def: $vgpr161
	s_or_saveexec_b32 s24, s24
	v_mov_b32_e32 v160, s23
	s_xor_b32 exec_lo, exec_lo, s24
	s_cbranch_execz .LBB4_6235
.LBB4_6730:                             ;   in Loop: Header=BB4_5816 Depth=2
	v_cmp_ne_u16_e64 vcc_lo, 0, v161
	v_mov_b32_e32 v160, 0
	s_and_not1_b32 s10, s10, exec_lo
	s_delay_alu instid0(VALU_DEP_2) | instskip(NEXT) | instid1(SALU_CYCLE_1)
	s_and_b32 s23, vcc_lo, exec_lo
	s_or_b32 s10, s10, s23
	s_or_b32 exec_lo, exec_lo, s24
	s_and_saveexec_b32 s23, s10
	s_cbranch_execnz .LBB4_6236
	s_branch .LBB4_6237
.LBB4_6731:                             ;   in Loop: Header=BB4_5816 Depth=2
	s_mov_b32 s10, -1
	s_mov_b32 s25, exec_lo
                                        ; implicit-def: $sgpr23
	v_cmpx_eq_u16_e64 0x80, v160
; %bb.6732:                             ;   in Loop: Header=BB4_5816 Depth=2
	s_mov_b32 s23, 0x7f800001
	s_xor_b32 s10, exec_lo, -1
; %bb.6733:                             ;   in Loop: Header=BB4_5816 Depth=2
	s_or_b32 exec_lo, exec_lo, s25
	s_delay_alu instid0(SALU_CYCLE_1)
	s_and_b32 s10, s10, exec_lo
	s_or_saveexec_b32 s24, s24
	v_mov_b32_e32 v161, s23
	s_xor_b32 exec_lo, exec_lo, s24
	s_cbranch_execz .LBB4_6247
.LBB4_6734:                             ;   in Loop: Header=BB4_5816 Depth=2
	v_cmp_ne_u16_e64 vcc_lo, 0, v160
	v_mov_b32_e32 v161, 0
	s_and_not1_b32 s10, s10, exec_lo
	s_delay_alu instid0(VALU_DEP_2) | instskip(NEXT) | instid1(SALU_CYCLE_1)
	s_and_b32 s23, vcc_lo, exec_lo
	s_or_b32 s10, s10, s23
	s_or_b32 exec_lo, exec_lo, s24
	s_and_saveexec_b32 s23, s10
	s_cbranch_execnz .LBB4_6248
	s_branch .LBB4_6249
.LBB4_6735:                             ;   in Loop: Header=BB4_5816 Depth=2
	s_mov_b32 s10, -1
	s_mov_b32 s25, exec_lo
                                        ; implicit-def: $sgpr23
	v_cmpx_eq_u16_e64 0x80, v161
; %bb.6736:                             ;   in Loop: Header=BB4_5816 Depth=2
	s_mov_b32 s23, 0x7f800001
	s_xor_b32 s10, exec_lo, -1
; %bb.6737:                             ;   in Loop: Header=BB4_5816 Depth=2
	s_or_b32 exec_lo, exec_lo, s25
	s_delay_alu instid0(SALU_CYCLE_1)
	s_and_b32 s10, s10, exec_lo
                                        ; implicit-def: $vgpr161
	s_or_saveexec_b32 s24, s24
	v_mov_b32_e32 v10, s23
	s_xor_b32 exec_lo, exec_lo, s24
	s_cbranch_execz .LBB4_6259
.LBB4_6738:                             ;   in Loop: Header=BB4_5816 Depth=2
	v_cmp_ne_u16_e64 vcc_lo, 0, v161
	v_mov_b32_e32 v10, 0
	s_and_not1_b32 s10, s10, exec_lo
	s_delay_alu instid0(VALU_DEP_2) | instskip(NEXT) | instid1(SALU_CYCLE_1)
	s_and_b32 s23, vcc_lo, exec_lo
	s_or_b32 s10, s10, s23
	s_or_b32 exec_lo, exec_lo, s24
	s_and_saveexec_b32 s23, s10
	s_cbranch_execnz .LBB4_6260
	s_branch .LBB4_6261
.LBB4_6739:                             ;   in Loop: Header=BB4_5816 Depth=2
	s_mov_b32 s10, -1
	s_mov_b32 s25, exec_lo
                                        ; implicit-def: $sgpr23
	v_cmpx_eq_u16_e32 0x80, v10
; %bb.6740:                             ;   in Loop: Header=BB4_5816 Depth=2
	s_mov_b32 s23, 0x7f800001
	s_xor_b32 s10, exec_lo, -1
; %bb.6741:                             ;   in Loop: Header=BB4_5816 Depth=2
	s_or_b32 exec_lo, exec_lo, s25
	s_delay_alu instid0(SALU_CYCLE_1)
	s_and_b32 s10, s10, exec_lo
	s_or_saveexec_b32 s24, s24
	v_mov_b32_e32 v162, s23
	s_xor_b32 exec_lo, exec_lo, s24
	s_cbranch_execz .LBB4_6271
.LBB4_6742:                             ;   in Loop: Header=BB4_5816 Depth=2
	v_cmp_ne_u16_e32 vcc_lo, 0, v10
	v_mov_b32_e32 v162, 0
	s_and_not1_b32 s10, s10, exec_lo
	s_and_b32 s23, vcc_lo, exec_lo
	s_delay_alu instid0(SALU_CYCLE_1)
	s_or_b32 s10, s10, s23
	s_or_b32 exec_lo, exec_lo, s24
	s_and_saveexec_b32 s23, s10
	s_cbranch_execnz .LBB4_6272
	s_branch .LBB4_6273
.LBB4_6743:                             ;   in Loop: Header=BB4_5816 Depth=2
	s_mov_b32 s10, -1
	s_mov_b32 s25, exec_lo
                                        ; implicit-def: $sgpr23
	v_cmpx_eq_u16_e64 0x80, v164
; %bb.6744:                             ;   in Loop: Header=BB4_5816 Depth=2
	s_mov_b32 s23, 0x7f800001
	s_xor_b32 s10, exec_lo, -1
; %bb.6745:                             ;   in Loop: Header=BB4_5816 Depth=2
	s_or_b32 exec_lo, exec_lo, s25
	s_delay_alu instid0(SALU_CYCLE_1)
	s_and_b32 s10, s10, exec_lo
                                        ; implicit-def: $vgpr164
	s_or_saveexec_b32 s24, s24
	v_mov_b32_e32 v163, s23
	s_xor_b32 exec_lo, exec_lo, s24
	s_cbranch_execz .LBB4_6283
.LBB4_6746:                             ;   in Loop: Header=BB4_5816 Depth=2
	v_cmp_ne_u16_e64 vcc_lo, 0, v164
	v_mov_b32_e32 v163, 0
	s_and_not1_b32 s10, s10, exec_lo
	s_delay_alu instid0(VALU_DEP_2) | instskip(NEXT) | instid1(SALU_CYCLE_1)
	s_and_b32 s23, vcc_lo, exec_lo
	s_or_b32 s10, s10, s23
	s_or_b32 exec_lo, exec_lo, s24
	s_and_saveexec_b32 s23, s10
	s_cbranch_execnz .LBB4_6284
	s_branch .LBB4_6285
.LBB4_6747:                             ;   in Loop: Header=BB4_5816 Depth=2
	s_mov_b32 s10, -1
	s_mov_b32 s25, exec_lo
                                        ; implicit-def: $sgpr23
	v_cmpx_eq_u16_e32 0x80, v10
; %bb.6748:                             ;   in Loop: Header=BB4_5816 Depth=2
	s_mov_b32 s23, 0x7f800001
	s_xor_b32 s10, exec_lo, -1
; %bb.6749:                             ;   in Loop: Header=BB4_5816 Depth=2
	s_or_b32 exec_lo, exec_lo, s25
	s_delay_alu instid0(SALU_CYCLE_1)
	s_and_b32 s10, s10, exec_lo
	s_or_saveexec_b32 s24, s24
	v_mov_b32_e32 v164, s23
	s_xor_b32 exec_lo, exec_lo, s24
	s_cbranch_execz .LBB4_6295
.LBB4_6750:                             ;   in Loop: Header=BB4_5816 Depth=2
	v_cmp_ne_u16_e32 vcc_lo, 0, v10
	v_mov_b32_e32 v164, 0
	s_and_not1_b32 s10, s10, exec_lo
	s_and_b32 s23, vcc_lo, exec_lo
	s_delay_alu instid0(SALU_CYCLE_1)
	s_or_b32 s10, s10, s23
	s_or_b32 exec_lo, exec_lo, s24
	s_and_saveexec_b32 s23, s10
	s_cbranch_execnz .LBB4_6296
	s_branch .LBB4_6297
.LBB4_6751:                             ;   in Loop: Header=BB4_5816 Depth=2
	s_mov_b32 s10, -1
	s_mov_b32 s25, exec_lo
                                        ; implicit-def: $sgpr23
	v_cmpx_eq_u16_e32 0x80, v11
; %bb.6752:                             ;   in Loop: Header=BB4_5816 Depth=2
	s_mov_b32 s23, 0x7f800001
	s_xor_b32 s10, exec_lo, -1
; %bb.6753:                             ;   in Loop: Header=BB4_5816 Depth=2
	s_or_b32 exec_lo, exec_lo, s25
	s_delay_alu instid0(SALU_CYCLE_1)
	s_and_b32 s10, s10, exec_lo
                                        ; implicit-def: $vgpr11
	s_or_saveexec_b32 s24, s24
	v_mov_b32_e32 v10, s23
	s_xor_b32 exec_lo, exec_lo, s24
	s_cbranch_execz .LBB4_6307
.LBB4_6754:                             ;   in Loop: Header=BB4_5816 Depth=2
	v_cmp_ne_u16_e32 vcc_lo, 0, v11
	v_mov_b32_e32 v10, 0
	s_and_not1_b32 s10, s10, exec_lo
	s_and_b32 s23, vcc_lo, exec_lo
	s_delay_alu instid0(SALU_CYCLE_1)
	s_or_b32 s10, s10, s23
	s_or_b32 exec_lo, exec_lo, s24
	s_and_saveexec_b32 s23, s10
	s_cbranch_execnz .LBB4_6308
	s_branch .LBB4_6309
.LBB4_6755:                             ;   in Loop: Header=BB4_5816 Depth=2
	s_mov_b32 s10, -1
	s_mov_b32 s25, exec_lo
                                        ; implicit-def: $sgpr23
	v_cmpx_eq_u16_e32 0x80, v10
; %bb.6756:                             ;   in Loop: Header=BB4_5816 Depth=2
	s_mov_b32 s23, 0x7f800001
	s_xor_b32 s10, exec_lo, -1
; %bb.6757:                             ;   in Loop: Header=BB4_5816 Depth=2
	s_or_b32 exec_lo, exec_lo, s25
	s_delay_alu instid0(SALU_CYCLE_1)
	s_and_b32 s10, s10, exec_lo
	s_or_saveexec_b32 s24, s24
	v_mov_b32_e32 v11, s23
	s_xor_b32 exec_lo, exec_lo, s24
	s_cbranch_execz .LBB4_6319
.LBB4_6758:                             ;   in Loop: Header=BB4_5816 Depth=2
	v_cmp_ne_u16_e32 vcc_lo, 0, v10
	v_mov_b32_e32 v11, 0
	s_and_not1_b32 s10, s10, exec_lo
	s_and_b32 s23, vcc_lo, exec_lo
	s_delay_alu instid0(SALU_CYCLE_1)
	s_or_b32 s10, s10, s23
	s_or_b32 exec_lo, exec_lo, s24
	s_and_saveexec_b32 s23, s10
	s_cbranch_execnz .LBB4_6320
	s_branch .LBB4_6321
.LBB4_6759:                             ;   in Loop: Header=BB4_5816 Depth=2
	s_mov_b32 s10, -1
	s_mov_b32 s25, exec_lo
                                        ; implicit-def: $sgpr23
	v_cmpx_eq_u16_e64 0x80, v167
; %bb.6760:                             ;   in Loop: Header=BB4_5816 Depth=2
	s_mov_b32 s23, 0x7f800001
	s_xor_b32 s10, exec_lo, -1
; %bb.6761:                             ;   in Loop: Header=BB4_5816 Depth=2
	s_or_b32 exec_lo, exec_lo, s25
	s_delay_alu instid0(SALU_CYCLE_1)
	s_and_b32 s10, s10, exec_lo
                                        ; implicit-def: $vgpr167
	s_or_saveexec_b32 s24, s24
	v_mov_b32_e32 v11, s23
	s_xor_b32 exec_lo, exec_lo, s24
	s_cbranch_execz .LBB4_6331
.LBB4_6762:                             ;   in Loop: Header=BB4_5816 Depth=2
	v_cmp_ne_u16_e64 vcc_lo, 0, v167
	v_mov_b32_e32 v11, 0
	s_and_not1_b32 s10, s10, exec_lo
	s_delay_alu instid0(VALU_DEP_2) | instskip(NEXT) | instid1(SALU_CYCLE_1)
	s_and_b32 s23, vcc_lo, exec_lo
	s_or_b32 s10, s10, s23
	s_or_b32 exec_lo, exec_lo, s24
	s_and_saveexec_b32 s23, s10
	s_cbranch_execnz .LBB4_6332
	s_branch .LBB4_6333
.LBB4_6763:                             ;   in Loop: Header=BB4_5816 Depth=2
	s_mov_b32 s10, -1
	s_mov_b32 s25, exec_lo
                                        ; implicit-def: $sgpr23
	v_cmpx_eq_u16_e32 0x80, v10
; %bb.6764:                             ;   in Loop: Header=BB4_5816 Depth=2
	s_mov_b32 s23, 0x7f800001
	s_xor_b32 s10, exec_lo, -1
; %bb.6765:                             ;   in Loop: Header=BB4_5816 Depth=2
	s_or_b32 exec_lo, exec_lo, s25
	s_delay_alu instid0(SALU_CYCLE_1)
	s_and_b32 s10, s10, exec_lo
	s_or_saveexec_b32 s24, s24
	v_mov_b32_e32 v11, s23
	s_xor_b32 exec_lo, exec_lo, s24
	s_cbranch_execz .LBB4_6343
.LBB4_6766:                             ;   in Loop: Header=BB4_5816 Depth=2
	v_cmp_ne_u16_e32 vcc_lo, 0, v10
	v_mov_b32_e32 v11, 0
	s_and_not1_b32 s10, s10, exec_lo
	s_and_b32 s23, vcc_lo, exec_lo
	s_delay_alu instid0(SALU_CYCLE_1)
	s_or_b32 s10, s10, s23
	s_or_b32 exec_lo, exec_lo, s24
	s_and_saveexec_b32 s23, s10
	s_cbranch_execnz .LBB4_6344
	s_branch .LBB4_6345
.LBB4_6767:                             ;   in Loop: Header=BB4_5816 Depth=2
	s_mov_b32 s10, -1
	s_mov_b32 s25, exec_lo
                                        ; implicit-def: $sgpr23
	v_cmpx_eq_u16_e32 0x80, v11
; %bb.6768:                             ;   in Loop: Header=BB4_5816 Depth=2
	s_mov_b32 s23, 0x7f800001
	s_xor_b32 s10, exec_lo, -1
; %bb.6769:                             ;   in Loop: Header=BB4_5816 Depth=2
	s_or_b32 exec_lo, exec_lo, s25
	s_delay_alu instid0(SALU_CYCLE_1)
	s_and_b32 s10, s10, exec_lo
                                        ; implicit-def: $vgpr11
	s_or_saveexec_b32 s24, s24
	v_mov_b32_e32 v10, s23
	s_xor_b32 exec_lo, exec_lo, s24
	s_cbranch_execz .LBB4_6355
.LBB4_6770:                             ;   in Loop: Header=BB4_5816 Depth=2
	v_cmp_ne_u16_e32 vcc_lo, 0, v11
	v_mov_b32_e32 v10, 0
	s_and_not1_b32 s10, s10, exec_lo
	s_and_b32 s23, vcc_lo, exec_lo
	s_delay_alu instid0(SALU_CYCLE_1)
	s_or_b32 s10, s10, s23
	s_or_b32 exec_lo, exec_lo, s24
	s_and_saveexec_b32 s23, s10
	s_cbranch_execnz .LBB4_6356
	s_branch .LBB4_6357
.LBB4_6771:                             ;   in Loop: Header=BB4_5816 Depth=2
	s_mov_b32 s10, -1
	s_mov_b32 s25, exec_lo
                                        ; implicit-def: $sgpr23
	v_cmpx_eq_u16_e32 0x80, v10
; %bb.6772:                             ;   in Loop: Header=BB4_5816 Depth=2
	s_mov_b32 s23, 0x7f800001
	s_xor_b32 s10, exec_lo, -1
; %bb.6773:                             ;   in Loop: Header=BB4_5816 Depth=2
	s_or_b32 exec_lo, exec_lo, s25
	s_delay_alu instid0(SALU_CYCLE_1)
	s_and_b32 s10, s10, exec_lo
	s_or_saveexec_b32 s24, s24
	v_mov_b32_e32 v11, s23
	s_xor_b32 exec_lo, exec_lo, s24
	s_cbranch_execz .LBB4_6367
.LBB4_6774:                             ;   in Loop: Header=BB4_5816 Depth=2
	v_cmp_ne_u16_e32 vcc_lo, 0, v10
	v_mov_b32_e32 v11, 0
	s_and_not1_b32 s10, s10, exec_lo
	s_and_b32 s23, vcc_lo, exec_lo
	s_delay_alu instid0(SALU_CYCLE_1)
	s_or_b32 s10, s10, s23
	s_or_b32 exec_lo, exec_lo, s24
	s_and_saveexec_b32 s23, s10
	s_cbranch_execnz .LBB4_6368
	s_branch .LBB4_6369
.LBB4_6775:                             ;   in Loop: Header=BB4_5816 Depth=2
	s_mov_b32 s10, -1
	s_mov_b32 s25, exec_lo
                                        ; implicit-def: $sgpr23
	v_cmpx_eq_u16_e32 0x80, v12
; %bb.6776:                             ;   in Loop: Header=BB4_5816 Depth=2
	s_mov_b32 s23, 0x7f800001
	s_xor_b32 s10, exec_lo, -1
; %bb.6777:                             ;   in Loop: Header=BB4_5816 Depth=2
	s_or_b32 exec_lo, exec_lo, s25
	s_delay_alu instid0(SALU_CYCLE_1)
	s_and_b32 s10, s10, exec_lo
                                        ; implicit-def: $vgpr12
	s_or_saveexec_b32 s24, s24
	v_mov_b32_e32 v11, s23
	s_xor_b32 exec_lo, exec_lo, s24
	s_cbranch_execz .LBB4_6379
.LBB4_6778:                             ;   in Loop: Header=BB4_5816 Depth=2
	v_cmp_ne_u16_e32 vcc_lo, 0, v12
	v_mov_b32_e32 v11, 0
	s_and_not1_b32 s10, s10, exec_lo
	s_and_b32 s23, vcc_lo, exec_lo
	s_delay_alu instid0(SALU_CYCLE_1)
	s_or_b32 s10, s10, s23
	s_or_b32 exec_lo, exec_lo, s24
	s_and_saveexec_b32 s23, s10
	s_cbranch_execnz .LBB4_6380
	s_branch .LBB4_6381
.LBB4_6779:                             ;   in Loop: Header=BB4_5816 Depth=2
	s_mov_b32 s10, -1
	s_mov_b32 s25, exec_lo
                                        ; implicit-def: $sgpr23
	v_cmpx_eq_u16_e32 0x80, v10
; %bb.6780:                             ;   in Loop: Header=BB4_5816 Depth=2
	s_mov_b32 s23, 0x7f800001
	s_xor_b32 s10, exec_lo, -1
; %bb.6781:                             ;   in Loop: Header=BB4_5816 Depth=2
	s_or_b32 exec_lo, exec_lo, s25
	s_delay_alu instid0(SALU_CYCLE_1)
	s_and_b32 s10, s10, exec_lo
	s_or_saveexec_b32 s24, s24
	v_mov_b32_e32 v11, s23
	s_xor_b32 exec_lo, exec_lo, s24
	s_cbranch_execz .LBB4_6391
.LBB4_6782:                             ;   in Loop: Header=BB4_5816 Depth=2
	v_cmp_ne_u16_e32 vcc_lo, 0, v10
	v_mov_b32_e32 v11, 0
	s_and_not1_b32 s10, s10, exec_lo
	s_and_b32 s23, vcc_lo, exec_lo
	s_delay_alu instid0(SALU_CYCLE_1)
	s_or_b32 s10, s10, s23
	s_or_b32 exec_lo, exec_lo, s24
	s_and_saveexec_b32 s23, s10
	s_cbranch_execnz .LBB4_6392
	s_branch .LBB4_6393
.LBB4_6783:                             ;   in Loop: Header=BB4_5816 Depth=2
	s_mov_b32 s10, -1
	s_mov_b32 s25, exec_lo
                                        ; implicit-def: $sgpr23
	v_cmpx_eq_u16_e32 0x80, v51
; %bb.6784:                             ;   in Loop: Header=BB4_5816 Depth=2
	s_mov_b32 s23, 0x7f800001
	s_xor_b32 s10, exec_lo, -1
; %bb.6785:                             ;   in Loop: Header=BB4_5816 Depth=2
	s_or_b32 exec_lo, exec_lo, s25
	s_delay_alu instid0(SALU_CYCLE_1)
	s_and_b32 s10, s10, exec_lo
                                        ; implicit-def: $vgpr51
	s_or_saveexec_b32 s24, s24
	v_mov_b32_e32 v50, s23
	s_xor_b32 exec_lo, exec_lo, s24
	s_cbranch_execz .LBB4_6403
.LBB4_6786:                             ;   in Loop: Header=BB4_5816 Depth=2
	v_cmp_ne_u16_e32 vcc_lo, 0, v51
	v_mov_b32_e32 v50, 0
	s_and_not1_b32 s10, s10, exec_lo
	s_and_b32 s23, vcc_lo, exec_lo
	s_delay_alu instid0(SALU_CYCLE_1)
	s_or_b32 s10, s10, s23
	s_or_b32 exec_lo, exec_lo, s24
	s_and_saveexec_b32 s23, s10
	s_cbranch_execnz .LBB4_6404
	s_branch .LBB4_6405
.LBB4_6787:                             ;   in Loop: Header=BB4_5816 Depth=2
	s_mov_b32 s10, -1
	s_mov_b32 s25, exec_lo
                                        ; implicit-def: $sgpr23
	v_cmpx_eq_u16_e32 0x80, v51
; %bb.6788:                             ;   in Loop: Header=BB4_5816 Depth=2
	s_mov_b32 s23, 0x7f800001
	s_xor_b32 s10, exec_lo, -1
; %bb.6789:                             ;   in Loop: Header=BB4_5816 Depth=2
	s_or_b32 exec_lo, exec_lo, s25
	s_delay_alu instid0(SALU_CYCLE_1)
	s_and_b32 s10, s10, exec_lo
	s_or_saveexec_b32 s24, s24
	v_mov_b32_e32 v181, s23
	s_xor_b32 exec_lo, exec_lo, s24
	s_cbranch_execz .LBB4_6415
.LBB4_6790:                             ;   in Loop: Header=BB4_5816 Depth=2
	v_cmp_ne_u16_e32 vcc_lo, 0, v51
	v_mov_b32_e32 v181, 0
	s_and_not1_b32 s10, s10, exec_lo
	s_and_b32 s23, vcc_lo, exec_lo
	s_delay_alu instid0(SALU_CYCLE_1)
	s_or_b32 s10, s10, s23
	s_or_b32 exec_lo, exec_lo, s24
	s_and_saveexec_b32 s23, s10
	s_cbranch_execnz .LBB4_6416
	s_branch .LBB4_6417
.LBB4_6791:                             ;   in Loop: Header=BB4_5816 Depth=2
	s_mov_b32 s10, -1
	s_mov_b32 s25, exec_lo
                                        ; implicit-def: $sgpr23
	v_cmpx_eq_u16_e64 0x80, v183
; %bb.6792:                             ;   in Loop: Header=BB4_5816 Depth=2
	s_mov_b32 s23, 0x7f800001
	s_xor_b32 s10, exec_lo, -1
; %bb.6793:                             ;   in Loop: Header=BB4_5816 Depth=2
	s_or_b32 exec_lo, exec_lo, s25
	s_delay_alu instid0(SALU_CYCLE_1)
	s_and_b32 s10, s10, exec_lo
                                        ; implicit-def: $vgpr183
	s_or_saveexec_b32 s24, s24
	v_mov_b32_e32 v182, s23
	s_xor_b32 exec_lo, exec_lo, s24
	s_cbranch_execz .LBB4_6427
.LBB4_6794:                             ;   in Loop: Header=BB4_5816 Depth=2
	v_cmp_ne_u16_e64 vcc_lo, 0, v183
	v_mov_b32_e32 v182, 0
	s_and_not1_b32 s10, s10, exec_lo
	s_delay_alu instid0(VALU_DEP_2) | instskip(NEXT) | instid1(SALU_CYCLE_1)
	s_and_b32 s23, vcc_lo, exec_lo
	s_or_b32 s10, s10, s23
	s_or_b32 exec_lo, exec_lo, s24
	s_and_saveexec_b32 s23, s10
	s_cbranch_execnz .LBB4_6428
	s_branch .LBB4_6429
.LBB4_6795:                             ;   in Loop: Header=BB4_5816 Depth=2
	s_mov_b32 s10, -1
	s_mov_b32 s25, exec_lo
                                        ; implicit-def: $sgpr23
	v_cmpx_eq_u16_e64 0x80, v182
; %bb.6796:                             ;   in Loop: Header=BB4_5816 Depth=2
	s_mov_b32 s23, 0x7f800001
	s_xor_b32 s10, exec_lo, -1
; %bb.6797:                             ;   in Loop: Header=BB4_5816 Depth=2
	s_or_b32 exec_lo, exec_lo, s25
	s_delay_alu instid0(SALU_CYCLE_1)
	s_and_b32 s10, s10, exec_lo
	s_or_saveexec_b32 s24, s24
	v_mov_b32_e32 v183, s23
	s_xor_b32 exec_lo, exec_lo, s24
	s_cbranch_execz .LBB4_6439
.LBB4_6798:                             ;   in Loop: Header=BB4_5816 Depth=2
	v_cmp_ne_u16_e64 vcc_lo, 0, v182
	v_mov_b32_e32 v183, 0
	s_and_not1_b32 s10, s10, exec_lo
	s_delay_alu instid0(VALU_DEP_2) | instskip(NEXT) | instid1(SALU_CYCLE_1)
	s_and_b32 s23, vcc_lo, exec_lo
	s_or_b32 s10, s10, s23
	s_or_b32 exec_lo, exec_lo, s24
	s_and_saveexec_b32 s23, s10
	s_cbranch_execnz .LBB4_6440
	s_branch .LBB4_6441
.LBB4_6799:                             ;   in Loop: Header=BB4_5816 Depth=2
	s_mov_b32 s10, -1
	s_mov_b32 s25, exec_lo
                                        ; implicit-def: $sgpr23
	v_cmpx_eq_u16_e64 0x80, v183
; %bb.6800:                             ;   in Loop: Header=BB4_5816 Depth=2
	s_mov_b32 s23, 0x7f800001
	s_xor_b32 s10, exec_lo, -1
; %bb.6801:                             ;   in Loop: Header=BB4_5816 Depth=2
	s_or_b32 exec_lo, exec_lo, s25
	s_delay_alu instid0(SALU_CYCLE_1)
	s_and_b32 s10, s10, exec_lo
                                        ; implicit-def: $vgpr183
	s_or_saveexec_b32 s24, s24
	v_mov_b32_e32 v182, s23
	s_xor_b32 exec_lo, exec_lo, s24
	s_cbranch_execz .LBB4_6451
.LBB4_6802:                             ;   in Loop: Header=BB4_5816 Depth=2
	v_cmp_ne_u16_e64 vcc_lo, 0, v183
	v_mov_b32_e32 v182, 0
	s_and_not1_b32 s10, s10, exec_lo
	s_delay_alu instid0(VALU_DEP_2) | instskip(NEXT) | instid1(SALU_CYCLE_1)
	s_and_b32 s23, vcc_lo, exec_lo
	s_or_b32 s10, s10, s23
	s_or_b32 exec_lo, exec_lo, s24
	s_and_saveexec_b32 s23, s10
	s_cbranch_execnz .LBB4_6452
	s_branch .LBB4_6453
.LBB4_6803:                             ;   in Loop: Header=BB4_5816 Depth=2
	s_mov_b32 s10, -1
	s_mov_b32 s25, exec_lo
                                        ; implicit-def: $sgpr23
	v_cmpx_eq_u16_e64 0x80, v183
; %bb.6804:                             ;   in Loop: Header=BB4_5816 Depth=2
	s_mov_b32 s23, 0x7f800001
	s_xor_b32 s10, exec_lo, -1
; %bb.6805:                             ;   in Loop: Header=BB4_5816 Depth=2
	s_or_b32 exec_lo, exec_lo, s25
	s_delay_alu instid0(SALU_CYCLE_1)
	s_and_b32 s10, s10, exec_lo
	s_or_saveexec_b32 s24, s24
	v_mov_b32_e32 v40, s23
	s_xor_b32 exec_lo, exec_lo, s24
	s_cbranch_execz .LBB4_6463
.LBB4_6806:                             ;   in Loop: Header=BB4_5816 Depth=2
	v_cmp_ne_u16_e64 vcc_lo, 0, v183
	v_mov_b32_e32 v40, 0
	s_and_not1_b32 s10, s10, exec_lo
	s_delay_alu instid0(VALU_DEP_2) | instskip(NEXT) | instid1(SALU_CYCLE_1)
	s_and_b32 s23, vcc_lo, exec_lo
	s_or_b32 s10, s10, s23
	s_or_b32 exec_lo, exec_lo, s24
	s_and_saveexec_b32 s23, s10
	s_cbranch_execnz .LBB4_6464
	s_branch .LBB4_6465
.LBB4_6807:                             ;   in Loop: Header=BB4_5816 Depth=2
	s_mov_b32 s10, -1
	s_mov_b32 s25, exec_lo
                                        ; implicit-def: $sgpr23
	v_cmpx_eq_u16_e32 0x80, v42
; %bb.6808:                             ;   in Loop: Header=BB4_5816 Depth=2
	s_mov_b32 s23, 0x7f800001
	s_xor_b32 s10, exec_lo, -1
; %bb.6809:                             ;   in Loop: Header=BB4_5816 Depth=2
	s_or_b32 exec_lo, exec_lo, s25
	s_delay_alu instid0(SALU_CYCLE_1)
	s_and_b32 s10, s10, exec_lo
                                        ; implicit-def: $vgpr42
	s_or_saveexec_b32 s24, s24
	v_mov_b32_e32 v41, s23
	s_xor_b32 exec_lo, exec_lo, s24
	s_cbranch_execz .LBB4_6475
.LBB4_6810:                             ;   in Loop: Header=BB4_5816 Depth=2
	v_cmp_ne_u16_e32 vcc_lo, 0, v42
	v_mov_b32_e32 v41, 0
	s_and_not1_b32 s10, s10, exec_lo
	s_and_b32 s23, vcc_lo, exec_lo
	s_delay_alu instid0(SALU_CYCLE_1)
	s_or_b32 s10, s10, s23
	s_or_b32 exec_lo, exec_lo, s24
	s_and_saveexec_b32 s23, s10
	s_cbranch_execnz .LBB4_6476
	s_branch .LBB4_6477
.LBB4_6811:                             ;   in Loop: Header=BB4_5816 Depth=2
	s_mov_b32 s10, -1
	s_mov_b32 s25, exec_lo
                                        ; implicit-def: $sgpr23
	v_cmpx_eq_u16_e32 0x80, v41
; %bb.6812:                             ;   in Loop: Header=BB4_5816 Depth=2
	s_mov_b32 s23, 0x7f800001
	s_xor_b32 s10, exec_lo, -1
; %bb.6813:                             ;   in Loop: Header=BB4_5816 Depth=2
	s_or_b32 exec_lo, exec_lo, s25
	s_delay_alu instid0(SALU_CYCLE_1)
	s_and_b32 s10, s10, exec_lo
	s_or_saveexec_b32 s24, s24
	v_mov_b32_e32 v42, s23
	s_xor_b32 exec_lo, exec_lo, s24
	s_cbranch_execz .LBB4_6487
.LBB4_6814:                             ;   in Loop: Header=BB4_5816 Depth=2
	v_cmp_ne_u16_e32 vcc_lo, 0, v41
	v_mov_b32_e32 v42, 0
	s_and_not1_b32 s10, s10, exec_lo
	s_and_b32 s23, vcc_lo, exec_lo
	s_delay_alu instid0(SALU_CYCLE_1)
	s_or_b32 s10, s10, s23
	s_or_b32 exec_lo, exec_lo, s24
	s_and_saveexec_b32 s23, s10
	s_cbranch_execnz .LBB4_6488
	s_branch .LBB4_6489
.LBB4_6815:                             ;   in Loop: Header=BB4_5816 Depth=2
	s_mov_b32 s10, -1
	s_mov_b32 s25, exec_lo
                                        ; implicit-def: $sgpr23
	v_cmpx_eq_u16_e32 0x80, v42
; %bb.6816:                             ;   in Loop: Header=BB4_5816 Depth=2
	s_mov_b32 s23, 0x7f800001
	s_xor_b32 s10, exec_lo, -1
; %bb.6817:                             ;   in Loop: Header=BB4_5816 Depth=2
	s_or_b32 exec_lo, exec_lo, s25
	s_delay_alu instid0(SALU_CYCLE_1)
	s_and_b32 s10, s10, exec_lo
                                        ; implicit-def: $vgpr42
	s_or_saveexec_b32 s24, s24
	v_mov_b32_e32 v41, s23
	s_xor_b32 exec_lo, exec_lo, s24
	s_cbranch_execz .LBB4_6499
.LBB4_6818:                             ;   in Loop: Header=BB4_5816 Depth=2
	v_cmp_ne_u16_e32 vcc_lo, 0, v42
	v_mov_b32_e32 v41, 0
	s_and_not1_b32 s10, s10, exec_lo
	s_and_b32 s23, vcc_lo, exec_lo
	s_delay_alu instid0(SALU_CYCLE_1)
	s_or_b32 s10, s10, s23
	s_or_b32 exec_lo, exec_lo, s24
	s_and_saveexec_b32 s23, s10
	s_cbranch_execnz .LBB4_6500
	s_branch .LBB4_6501
.LBB4_6819:                             ;   in Loop: Header=BB4_5816 Depth=2
	s_mov_b32 s10, -1
	s_mov_b32 s25, exec_lo
                                        ; implicit-def: $sgpr23
	v_cmpx_eq_u16_e32 0x80, v42
; %bb.6820:                             ;   in Loop: Header=BB4_5816 Depth=2
	s_mov_b32 s23, 0x7f800001
	s_xor_b32 s10, exec_lo, -1
; %bb.6821:                             ;   in Loop: Header=BB4_5816 Depth=2
	s_or_b32 exec_lo, exec_lo, s25
	s_delay_alu instid0(SALU_CYCLE_1)
	s_and_b32 s10, s10, exec_lo
	s_or_saveexec_b32 s24, s24
	v_mov_b32_e32 v43, s23
	s_xor_b32 exec_lo, exec_lo, s24
	s_cbranch_execz .LBB4_6511
.LBB4_6822:                             ;   in Loop: Header=BB4_5816 Depth=2
	v_cmp_ne_u16_e32 vcc_lo, 0, v42
	v_mov_b32_e32 v43, 0
	s_and_not1_b32 s10, s10, exec_lo
	s_and_b32 s23, vcc_lo, exec_lo
	s_delay_alu instid0(SALU_CYCLE_1)
	s_or_b32 s10, s10, s23
	s_or_b32 exec_lo, exec_lo, s24
	s_and_saveexec_b32 s23, s10
	s_cbranch_execnz .LBB4_6512
	s_branch .LBB4_6513
.LBB4_6823:                             ;   in Loop: Header=BB4_5816 Depth=2
	s_mov_b32 s10, -1
	s_mov_b32 s25, exec_lo
                                        ; implicit-def: $sgpr23
	v_cmpx_eq_u16_e32 0x80, v45
; %bb.6824:                             ;   in Loop: Header=BB4_5816 Depth=2
	s_mov_b32 s23, 0x7f800001
	s_xor_b32 s10, exec_lo, -1
; %bb.6825:                             ;   in Loop: Header=BB4_5816 Depth=2
	s_or_b32 exec_lo, exec_lo, s25
	s_delay_alu instid0(SALU_CYCLE_1)
	s_and_b32 s10, s10, exec_lo
                                        ; implicit-def: $vgpr45
	s_or_saveexec_b32 s24, s24
	v_mov_b32_e32 v44, s23
	s_xor_b32 exec_lo, exec_lo, s24
	s_cbranch_execz .LBB4_6523
.LBB4_6826:                             ;   in Loop: Header=BB4_5816 Depth=2
	v_cmp_ne_u16_e32 vcc_lo, 0, v45
	v_mov_b32_e32 v44, 0
	s_and_not1_b32 s10, s10, exec_lo
	s_and_b32 s23, vcc_lo, exec_lo
	s_delay_alu instid0(SALU_CYCLE_1)
	s_or_b32 s10, s10, s23
	s_or_b32 exec_lo, exec_lo, s24
	s_and_saveexec_b32 s23, s10
	s_cbranch_execnz .LBB4_6524
	s_branch .LBB4_6525
.LBB4_6827:                             ;   in Loop: Header=BB4_5816 Depth=2
	s_mov_b32 s10, -1
	s_mov_b32 s25, exec_lo
                                        ; implicit-def: $sgpr23
	v_cmpx_eq_u16_e32 0x80, v44
; %bb.6828:                             ;   in Loop: Header=BB4_5816 Depth=2
	s_mov_b32 s23, 0x7f800001
	s_xor_b32 s10, exec_lo, -1
; %bb.6829:                             ;   in Loop: Header=BB4_5816 Depth=2
	s_or_b32 exec_lo, exec_lo, s25
	s_delay_alu instid0(SALU_CYCLE_1)
	s_and_b32 s10, s10, exec_lo
	s_or_saveexec_b32 s24, s24
	v_mov_b32_e32 v45, s23
	s_xor_b32 exec_lo, exec_lo, s24
	s_cbranch_execz .LBB4_6535
.LBB4_6830:                             ;   in Loop: Header=BB4_5816 Depth=2
	v_cmp_ne_u16_e32 vcc_lo, 0, v44
	v_mov_b32_e32 v45, 0
	s_and_not1_b32 s10, s10, exec_lo
	s_and_b32 s23, vcc_lo, exec_lo
	s_delay_alu instid0(SALU_CYCLE_1)
	s_or_b32 s10, s10, s23
	s_or_b32 exec_lo, exec_lo, s24
	s_and_saveexec_b32 s23, s10
	s_cbranch_execnz .LBB4_6536
	s_branch .LBB4_6537
.LBB4_6831:                             ;   in Loop: Header=BB4_5816 Depth=2
	s_mov_b32 s10, -1
	s_mov_b32 s25, exec_lo
                                        ; implicit-def: $sgpr23
	v_cmpx_eq_u16_e32 0x80, v45
; %bb.6832:                             ;   in Loop: Header=BB4_5816 Depth=2
	s_mov_b32 s23, 0x7f800001
	s_xor_b32 s10, exec_lo, -1
; %bb.6833:                             ;   in Loop: Header=BB4_5816 Depth=2
	s_or_b32 exec_lo, exec_lo, s25
	s_delay_alu instid0(SALU_CYCLE_1)
	s_and_b32 s10, s10, exec_lo
                                        ; implicit-def: $vgpr45
	s_or_saveexec_b32 s24, s24
	v_mov_b32_e32 v44, s23
	s_xor_b32 exec_lo, exec_lo, s24
	s_cbranch_execz .LBB4_6547
.LBB4_6834:                             ;   in Loop: Header=BB4_5816 Depth=2
	v_cmp_ne_u16_e32 vcc_lo, 0, v45
	v_mov_b32_e32 v44, 0
	s_and_not1_b32 s10, s10, exec_lo
	s_and_b32 s23, vcc_lo, exec_lo
	s_delay_alu instid0(SALU_CYCLE_1)
	s_or_b32 s10, s10, s23
	s_or_b32 exec_lo, exec_lo, s24
	s_and_saveexec_b32 s23, s10
	s_cbranch_execnz .LBB4_6548
	s_branch .LBB4_6549
.LBB4_6835:                             ;   in Loop: Header=BB4_5816 Depth=2
	s_mov_b32 s10, -1
	s_mov_b32 s25, exec_lo
                                        ; implicit-def: $sgpr23
	v_cmpx_eq_u16_e32 0x80, v45
; %bb.6836:                             ;   in Loop: Header=BB4_5816 Depth=2
	s_mov_b32 s23, 0x7f800001
	s_xor_b32 s10, exec_lo, -1
; %bb.6837:                             ;   in Loop: Header=BB4_5816 Depth=2
	s_or_b32 exec_lo, exec_lo, s25
	s_delay_alu instid0(SALU_CYCLE_1)
	s_and_b32 s10, s10, exec_lo
	s_or_saveexec_b32 s24, s24
	v_mov_b32_e32 v46, s23
	s_xor_b32 exec_lo, exec_lo, s24
	s_cbranch_execz .LBB4_6559
.LBB4_6838:                             ;   in Loop: Header=BB4_5816 Depth=2
	v_cmp_ne_u16_e32 vcc_lo, 0, v45
	v_mov_b32_e32 v46, 0
	s_and_not1_b32 s10, s10, exec_lo
	s_and_b32 s23, vcc_lo, exec_lo
	s_delay_alu instid0(SALU_CYCLE_1)
	s_or_b32 s10, s10, s23
	s_or_b32 exec_lo, exec_lo, s24
	s_and_saveexec_b32 s23, s10
	s_cbranch_execnz .LBB4_6560
	s_branch .LBB4_6561
.LBB4_6839:                             ;   in Loop: Header=BB4_5816 Depth=2
	s_mov_b32 s10, -1
	s_mov_b32 s25, exec_lo
                                        ; implicit-def: $sgpr23
	v_cmpx_eq_u16_e32 0x80, v56
; %bb.6840:                             ;   in Loop: Header=BB4_5816 Depth=2
	s_mov_b32 s23, 0x7f800001
	s_xor_b32 s10, exec_lo, -1
; %bb.6841:                             ;   in Loop: Header=BB4_5816 Depth=2
	s_or_b32 exec_lo, exec_lo, s25
	s_delay_alu instid0(SALU_CYCLE_1)
	s_and_b32 s10, s10, exec_lo
                                        ; implicit-def: $vgpr56
	s_or_saveexec_b32 s24, s24
	v_mov_b32_e32 v47, s23
	s_xor_b32 exec_lo, exec_lo, s24
	s_cbranch_execz .LBB4_6571
.LBB4_6842:                             ;   in Loop: Header=BB4_5816 Depth=2
	v_cmp_ne_u16_e32 vcc_lo, 0, v56
	v_mov_b32_e32 v47, 0
	s_and_not1_b32 s10, s10, exec_lo
	s_and_b32 s23, vcc_lo, exec_lo
	s_delay_alu instid0(SALU_CYCLE_1)
	s_or_b32 s10, s10, s23
	s_or_b32 exec_lo, exec_lo, s24
	s_and_saveexec_b32 s23, s10
	s_cbranch_execnz .LBB4_6572
	s_branch .LBB4_6573
.LBB4_6843:                             ;   in Loop: Header=BB4_5816 Depth=2
	s_mov_b32 s10, -1
	s_mov_b32 s25, exec_lo
                                        ; implicit-def: $sgpr23
	v_cmpx_eq_u16_e32 0x80, v47
; %bb.6844:                             ;   in Loop: Header=BB4_5816 Depth=2
	s_mov_b32 s23, 0x7f800001
	s_xor_b32 s10, exec_lo, -1
; %bb.6845:                             ;   in Loop: Header=BB4_5816 Depth=2
	s_or_b32 exec_lo, exec_lo, s25
	s_delay_alu instid0(SALU_CYCLE_1)
	s_and_b32 s10, s10, exec_lo
	s_or_saveexec_b32 s24, s24
	v_mov_b32_e32 v56, s23
	s_xor_b32 exec_lo, exec_lo, s24
	s_cbranch_execz .LBB4_6583
.LBB4_6846:                             ;   in Loop: Header=BB4_5816 Depth=2
	v_cmp_ne_u16_e32 vcc_lo, 0, v47
	v_mov_b32_e32 v56, 0
	s_and_not1_b32 s10, s10, exec_lo
	s_and_b32 s23, vcc_lo, exec_lo
	s_delay_alu instid0(SALU_CYCLE_1)
	s_or_b32 s10, s10, s23
	s_or_b32 exec_lo, exec_lo, s24
	s_and_saveexec_b32 s23, s10
	s_cbranch_execnz .LBB4_6584
	s_branch .LBB4_6585
.LBB4_6847:                             ;   in Loop: Header=BB4_5730 Depth=1
	s_or_b32 exec_lo, exec_lo, s20
.LBB4_6848:                             ;   in Loop: Header=BB4_5730 Depth=1
	s_delay_alu instid0(SALU_CYCLE_1) | instskip(SKIP_3) | instid1(VALU_DEP_1)
	s_or_b32 exec_lo, exec_lo, s11
	v_dual_mov_b32 v49, 0 :: v_dual_and_b32 v10, 0x3ffff800, v82
	s_mov_b32 s10, 0
	s_mov_b32 s20, exec_lo
                                        ; implicit-def: $vgpr48
                                        ; implicit-def: $vgpr50
                                        ; implicit-def: $vgpr12
	v_cmpx_ne_u32_e64 v10, v82
	s_cbranch_execz .LBB4_7122
; %bb.6849:                             ;   in Loop: Header=BB4_5730 Depth=1
	v_lshlrev_b32_e32 v11, 5, v83
	v_bfe_u32 v38, v82, 9, 2
	s_mov_b32 s21, exec_lo
	s_delay_alu instid0(VALU_DEP_2) | instskip(NEXT) | instid1(VALU_DEP_1)
	v_sub_nc_u32_e32 v11, v55, v11
	v_ashrrev_i32_e32 v12, 31, v11
	s_delay_alu instid0(VALU_DEP_1) | instskip(NEXT) | instid1(VALU_DEP_1)
	v_lshrrev_b32_e32 v12, 27, v12
	v_add_nc_u32_e32 v12, v11, v12
	s_delay_alu instid0(VALU_DEP_1) | instskip(SKIP_1) | instid1(VALU_DEP_2)
	v_and_b32_e32 v13, 0xffffffe0, v12
	v_ashrrev_i32_e32 v12, 5, v12
	v_sub_nc_u32_e32 v51, v11, v13
	v_and_b32_e32 v13, 0x7ff, v82
	v_and_b32_e32 v11, 0x600, v82
	s_delay_alu instid0(VALU_DEP_3) | instskip(NEXT) | instid1(VALU_DEP_2)
	v_lshlrev_b32_e32 v37, 4, v51
	v_sub_nc_u32_e32 v83, v13, v11
	s_delay_alu instid0(VALU_DEP_2) | instskip(NEXT) | instid1(VALU_DEP_2)
	v_lshl_add_u32 v11, v12, 9, v37
	v_cmp_lt_i32_e64 s10, 15, v83
	s_delay_alu instid0(VALU_DEP_2) | instskip(NEXT) | instid1(VALU_DEP_2)
	v_sub_nc_u32_e32 v50, v13, v11
	v_add_co_ci_u32_e64 v37, vcc_lo, 0, v38, s10
	s_delay_alu instid0(VALU_DEP_1) | instskip(NEXT) | instid1(VALU_DEP_3)
	v_sub_nc_u32_e32 v84, v37, v12
	v_cmpx_lt_i32_e32 15, v50
	s_cbranch_execz .LBB4_7119
; %bb.6850:                             ;   in Loop: Header=BB4_5730 Depth=1
	s_cbranch_execnz .LBB4_7743
; %bb.6851:                             ;   in Loop: Header=BB4_5730 Depth=1
	ds_load_b64 v[37:38], v0
	v_add_nc_u32_e32 v85, v11, v10
	s_delay_alu instid0(VALU_DEP_1) | instskip(SKIP_3) | instid1(VALU_DEP_2)
	v_ashrrev_i32_e32 v86, 31, v85
	s_waitcnt lgkmcnt(0)
	v_readfirstlane_b32 s11, v37
	v_and_b32_e32 v87, 0xff, v37
	s_and_b32 s22, s11, 7
	s_bfe_u32 s25, s11, 0x40003
	s_clz_i32_u32 s23, s22
	s_delay_alu instid0(SALU_CYCLE_1) | instskip(NEXT) | instid1(SALU_CYCLE_1)
	s_min_u32 s23, s23, 32
	s_sub_i32 s24, s23, 28
	s_sub_i32 s23, 29, s23
	s_lshl_b32 s24, s11, s24
	s_delay_alu instid0(SALU_CYCLE_1)
	s_and_b32 s24, s24, 7
	s_cmp_eq_u32 s25, 0
	s_cselect_b32 s23, s23, s25
	s_cselect_b32 s22, s24, s22
	s_lshl_b32 s11, s11, 24
	s_lshl_b32 s24, s22, 20
	;; [unrolled: 1-line block ×3, first 2 shown]
	s_and_b32 s11, s11, 0x80000000
	s_add_i32 s22, s22, 0x3b800000
	s_delay_alu instid0(SALU_CYCLE_1)
	s_or_b32 s11, s11, s22
	s_mov_b32 s22, 0
	s_or_b32 s23, s11, s24
	s_branch .LBB4_6855
.LBB4_6852:                             ;   in Loop: Header=BB4_6855 Depth=2
	s_or_b32 exec_lo, exec_lo, s11
	s_delay_alu instid0(VALU_DEP_1) | instskip(NEXT) | instid1(VALU_DEP_2)
	v_lshrrev_b32_e32 v117, 20, v117
	v_min_i32_e32 v118, 15, v116
	v_cmp_gt_i32_e32 vcc_lo, 16, v116
	v_lshrrev_b32_e32 v13, 24, v13
	s_delay_alu instid0(VALU_DEP_3) | instskip(NEXT) | instid1(VALU_DEP_2)
	v_dual_cndmask_b32 v117, 7, v117 :: v_dual_lshlrev_b32 v118, 3, v118
	v_and_b32_e32 v13, 0x80, v13
	s_delay_alu instid0(VALU_DEP_2) | instskip(NEXT) | instid1(VALU_DEP_3)
	v_and_b32_e32 v118, 0xf8, v118
	v_and_b32_e32 v119, 7, v117
	v_or_b32_e32 v116, v116, v117
	s_delay_alu instid0(VALU_DEP_2) | instskip(NEXT) | instid1(VALU_DEP_2)
	v_or3_b32 v13, v13, v118, v119
	v_cmp_ne_u32_e32 vcc_lo, 0, v116
	s_delay_alu instid0(VALU_DEP_2) | instskip(NEXT) | instid1(VALU_DEP_1)
	v_lshlrev_b32_e32 v13, 8, v13
	v_cndmask_b32_e32 v116, 0, v13, vcc_lo
.LBB4_6853:                             ;   in Loop: Header=BB4_6855 Depth=2
	s_or_b32 exec_lo, exec_lo, s25
.LBB4_6854:                             ;   in Loop: Header=BB4_6855 Depth=2
	s_delay_alu instid0(SALU_CYCLE_1)
	s_or_b32 exec_lo, exec_lo, s24
	v_or_b32_e32 v11, v11, v101
	v_and_b32_e32 v13, 0xff, v98
	v_lshlrev_b32_e32 v97, 8, v97
	v_and_b32_e32 v98, 0xff, v112
	v_lshlrev_b32_e32 v101, 8, v103
	v_or_b32_e32 v103, v116, v115
	v_sub_nc_u32_e32 v50, v50, v54
	v_lshlrev_b32_e32 v10, 24, v10
	v_lshlrev_b32_e32 v11, 16, v11
	;; [unrolled: 1-line block ×3, first 2 shown]
	v_perm_b32 v96, v97, v96, 0xc0c0500
	v_lshlrev_b32_e32 v12, 24, v12
	v_lshlrev_b32_e32 v97, 16, v98
	v_perm_b32 v98, v101, v102, 0xc0c0500
	v_lshlrev_b32_e32 v101, 16, v103
	v_cmp_gt_i32_e32 vcc_lo, 16, v50
	v_add_co_u32 v85, s11, v85, v70
	v_or3_b32 v11, v100, v99, v11
	v_or3_b32 v10, v10, v13, v96
	;; [unrolled: 1-line block ×4, first 2 shown]
	v_sub_nc_u32_e32 v84, v84, v39
	v_add_co_ci_u32_e64 v86, s11, v86, v71, s11
	s_or_b32 s22, vcc_lo, s22
	global_store_b128 v[48:49], v[10:13], off glc slc dlc
	s_and_not1_b32 exec_lo, exec_lo, s22
	s_cbranch_execz .LBB4_7118
.LBB4_6855:                             ;   Parent Loop BB4_5730 Depth=1
                                        ; =>  This Inner Loop Header: Depth=2
	v_cmp_gt_i16_e32 vcc_lo, 0x80, v87
	s_cbranch_vccnz .LBB4_6859
; %bb.6856:                             ;   in Loop: Header=BB4_6855 Depth=2
	v_cmp_eq_u16_e32 vcc_lo, 0x80, v87
	s_mov_b32 s11, -1
                                        ; implicit-def: $sgpr24
	s_cbranch_vccz .LBB4_6858
; %bb.6857:                             ;   in Loop: Header=BB4_6855 Depth=2
	s_mov_b32 s11, 0
	s_mov_b32 s24, 0x7f800001
.LBB4_6858:                             ;   in Loop: Header=BB4_6855 Depth=2
	s_mov_b32 s25, 0
	s_branch .LBB4_6860
.LBB4_6859:                             ;   in Loop: Header=BB4_6855 Depth=2
	s_mov_b32 s25, -1
	s_mov_b32 s11, 0
                                        ; implicit-def: $sgpr24
.LBB4_6860:                             ;   in Loop: Header=BB4_6855 Depth=2
	s_and_b32 vcc_lo, exec_lo, s25
	s_cbranch_vccz .LBB4_6862
; %bb.6861:                             ;   in Loop: Header=BB4_6855 Depth=2
	v_cmp_ne_u16_e64 s11, 0, v87
	s_mov_b32 s24, 0
.LBB4_6862:                             ;   in Loop: Header=BB4_6855 Depth=2
	s_delay_alu instid0(VALU_DEP_1)
	s_and_not1_b32 vcc_lo, exec_lo, s11
	s_cbranch_vccnz .LBB4_6864
; %bb.6863:                             ;   in Loop: Header=BB4_6855 Depth=2
	s_mov_b32 s24, s23
.LBB4_6864:                             ;   in Loop: Header=BB4_6855 Depth=2
	v_add_co_u32 v48, vcc_lo, v37, v85
	v_add_co_ci_u32_e32 v49, vcc_lo, v38, v86, vcc_lo
	s_mov_b32 s11, 0
	s_mov_b32 s26, exec_lo
                                        ; implicit-def: $sgpr25
	global_load_b128 v[10:13], v[48:49], off slc dlc
	s_waitcnt vmcnt(0)
	v_and_b32_e32 v97, 0xff, v10
	s_delay_alu instid0(VALU_DEP_1)
	v_cmpx_lt_i16_e32 0x7f, v97
	s_xor_b32 s26, exec_lo, s26
	s_cbranch_execnz .LBB4_7054
; %bb.6865:                             ;   in Loop: Header=BB4_6855 Depth=2
	s_or_saveexec_b32 s26, s26
	v_mov_b32_e32 v96, s25
	s_xor_b32 exec_lo, exec_lo, s26
	s_cbranch_execnz .LBB4_7057
.LBB4_6866:                             ;   in Loop: Header=BB4_6855 Depth=2
	s_or_b32 exec_lo, exec_lo, s26
	s_and_saveexec_b32 s25, s11
	s_cbranch_execz .LBB4_6868
.LBB4_6867:                             ;   in Loop: Header=BB4_6855 Depth=2
	v_bfe_u32 v99, v10, 3, 4
	v_lshlrev_b32_e32 v100, 24, v10
	s_delay_alu instid0(VALU_DEP_2) | instskip(SKIP_1) | instid1(VALU_DEP_1)
	v_cmp_eq_u32_e32 vcc_lo, 0, v99
	v_and_b32_e32 v96, 7, v10
	v_clz_i32_u32_e32 v97, v96
	s_delay_alu instid0(VALU_DEP_1) | instskip(NEXT) | instid1(VALU_DEP_1)
	v_min_u32_e32 v97, 32, v97
	v_subrev_nc_u32_e32 v98, 28, v97
	v_sub_nc_u32_e32 v97, 29, v97
	s_delay_alu instid0(VALU_DEP_1) | instskip(NEXT) | instid1(VALU_DEP_1)
	v_dual_cndmask_b32 v97, v99, v97 :: v_dual_lshlrev_b32 v98, v98, v10
	v_and_b32_e32 v98, 7, v98
	s_delay_alu instid0(VALU_DEP_2) | instskip(NEXT) | instid1(VALU_DEP_2)
	v_lshl_add_u32 v97, v97, 23, 0x3b800000
	v_cndmask_b32_e32 v96, v96, v98, vcc_lo
	v_and_b32_e32 v98, 0x80000000, v100
	s_delay_alu instid0(VALU_DEP_2) | instskip(NEXT) | instid1(VALU_DEP_1)
	v_lshlrev_b32_e32 v96, 20, v96
	v_or3_b32 v96, v98, v97, v96
.LBB4_6868:                             ;   in Loop: Header=BB4_6855 Depth=2
	s_or_b32 exec_lo, exec_lo, s25
	s_delay_alu instid0(VALU_DEP_1) | instskip(NEXT) | instid1(VALU_DEP_1)
	v_mul_f32_e32 v97, s24, v96
	v_and_b32_e32 v96, 0x7f800000, v97
	s_delay_alu instid0(VALU_DEP_1)
	v_cmp_ne_u32_e32 vcc_lo, 0x7f800000, v96
	v_mov_b32_e32 v96, 0x80
	s_and_saveexec_b32 s25, vcc_lo
	s_cbranch_execz .LBB4_6876
; %bb.6869:                             ;   in Loop: Header=BB4_6855 Depth=2
	v_mov_b32_e32 v96, 0
	s_mov_b32 s26, exec_lo
	v_cmpx_ne_u32_e32 0, v97
	s_cbranch_execz .LBB4_6875
; %bb.6870:                             ;   in Loop: Header=BB4_6855 Depth=2
	v_bfe_u32 v96, v97, 23, 8
	s_delay_alu instid0(VALU_DEP_1) | instskip(SKIP_1) | instid1(VALU_DEP_2)
	v_sub_nc_u32_e32 v99, 0x78, v96
	v_cmp_gt_u32_e32 vcc_lo, 0x79, v96
	v_dual_cndmask_b32 v99, 0, v99 :: v_dual_and_b32 v98, 0x7fffff, v97
	s_delay_alu instid0(VALU_DEP_1) | instskip(SKIP_2) | instid1(VALU_DEP_4)
	v_or_b32_e32 v100, 0x800000, v98
	v_cmp_eq_u32_e32 vcc_lo, 0, v96
	v_add_nc_u32_e32 v96, 0xffffff89, v96
	v_cndmask_b32_e64 v99, v99, 0x77, vcc_lo
	s_delay_alu instid0(VALU_DEP_2) | instskip(SKIP_1) | instid1(VALU_DEP_3)
	v_cndmask_b32_e64 v96, v96, 0xffffff8a, vcc_lo
	v_cndmask_b32_e32 v98, v100, v98, vcc_lo
	v_lshl_add_u32 v100, 0x100000, v99, -1
	v_lshlrev_b32_e64 v103, v99, 0x80000
	s_delay_alu instid0(VALU_DEP_3) | instskip(SKIP_1) | instid1(VALU_DEP_4)
	v_lshrrev_b32_e32 v101, v99, v98
	v_add_nc_u32_e32 v99, v99, v96
	v_and_b32_e32 v98, v100, v98
	s_delay_alu instid0(VALU_DEP_3) | instskip(NEXT) | instid1(VALU_DEP_2)
	v_bfe_u32 v102, v101, 20, 1
	v_cmp_eq_u32_e64 s11, v98, v103
	s_delay_alu instid0(VALU_DEP_2) | instskip(NEXT) | instid1(VALU_DEP_1)
	v_add_nc_u32_e32 v100, -1, v102
	v_cndmask_b32_e64 v98, 0, v100, s11
	v_lshrrev_b32_e32 v100, 23, v101
	s_mov_b32 s11, exec_lo
	s_delay_alu instid0(VALU_DEP_2) | instskip(NEXT) | instid1(VALU_DEP_2)
	v_add_nc_u32_e32 v98, v98, v101
	v_xor_b32_e32 v100, 1, v100
	s_delay_alu instid0(VALU_DEP_2) | instskip(NEXT) | instid1(VALU_DEP_1)
	v_and_b32_e32 v96, 0xfffff, v98
	v_add_nc_u32_e32 v98, v96, v101
                                        ; implicit-def: $vgpr96
	s_delay_alu instid0(VALU_DEP_3)
	v_cmpx_ne_u32_e64 v99, v100
	s_xor_b32 s11, exec_lo, s11
; %bb.6871:                             ;   in Loop: Header=BB4_6855 Depth=2
	s_delay_alu instid0(VALU_DEP_2) | instskip(SKIP_2) | instid1(VALU_DEP_2)
	v_cmp_lt_u32_e32 vcc_lo, 0xffffff, v98
	v_sub_nc_u32_e32 v96, v99, v100
	v_cndmask_b32_e64 v99, 0, 1, vcc_lo
	v_add_co_ci_u32_e32 v96, vcc_lo, 0, v96, vcc_lo
	s_delay_alu instid0(VALU_DEP_2)
	v_lshrrev_b32_e32 v98, v99, v98
; %bb.6872:                             ;   in Loop: Header=BB4_6855 Depth=2
	s_and_not1_saveexec_b32 s11, s11
; %bb.6873:                             ;   in Loop: Header=BB4_6855 Depth=2
	s_delay_alu instid0(VALU_DEP_1)
	v_bfe_u32 v96, v98, 23, 1
; %bb.6874:                             ;   in Loop: Header=BB4_6855 Depth=2
	s_or_b32 exec_lo, exec_lo, s11
	v_lshrrev_b32_e32 v98, 20, v98
	s_delay_alu instid0(VALU_DEP_2) | instskip(SKIP_2) | instid1(VALU_DEP_2)
	v_cmp_gt_i32_e32 vcc_lo, 16, v96
	v_lshrrev_b32_e32 v97, 24, v97
	v_min_i32_e32 v99, 15, v96
	v_dual_cndmask_b32 v98, 7, v98 :: v_dual_and_b32 v97, 0x80, v97
	s_delay_alu instid0(VALU_DEP_1) | instskip(SKIP_1) | instid1(VALU_DEP_2)
	v_or_b32_e32 v96, v96, v98
	v_and_b32_e32 v100, 7, v98
	v_cmp_ne_u32_e32 vcc_lo, 0, v96
	v_lshlrev_b32_e32 v99, 3, v99
	s_delay_alu instid0(VALU_DEP_1) | instskip(NEXT) | instid1(VALU_DEP_1)
	v_or3_b32 v97, v99, v97, v100
	v_cndmask_b32_e32 v96, 0, v97, vcc_lo
.LBB4_6875:                             ;   in Loop: Header=BB4_6855 Depth=2
	s_or_b32 exec_lo, exec_lo, s26
.LBB4_6876:                             ;   in Loop: Header=BB4_6855 Depth=2
	s_delay_alu instid0(SALU_CYCLE_1) | instskip(SKIP_3) | instid1(VALU_DEP_1)
	s_or_b32 exec_lo, exec_lo, s25
	v_lshrrev_b16 v97, 8, v10
	s_mov_b32 s11, 0
	s_mov_b32 s26, exec_lo
                                        ; implicit-def: $sgpr25
	v_cmpx_lt_i16_e32 0x7f, v97
	s_xor_b32 s26, exec_lo, s26
	s_cbranch_execnz .LBB4_7058
; %bb.6877:                             ;   in Loop: Header=BB4_6855 Depth=2
	s_or_saveexec_b32 s26, s26
	v_mov_b32_e32 v98, s25
	s_xor_b32 exec_lo, exec_lo, s26
	s_cbranch_execnz .LBB4_7061
.LBB4_6878:                             ;   in Loop: Header=BB4_6855 Depth=2
	s_or_b32 exec_lo, exec_lo, s26
	s_and_saveexec_b32 s25, s11
	s_cbranch_execz .LBB4_6880
.LBB4_6879:                             ;   in Loop: Header=BB4_6855 Depth=2
	v_and_b32_e32 v98, 0xffff, v97
	v_lshlrev_b32_e32 v97, 24, v97
	s_delay_alu instid0(VALU_DEP_2) | instskip(NEXT) | instid1(VALU_DEP_2)
	v_and_b32_e32 v99, 7, v98
	v_and_b32_e32 v97, 0x80000000, v97
	s_delay_alu instid0(VALU_DEP_2) | instskip(NEXT) | instid1(VALU_DEP_1)
	v_clz_i32_u32_e32 v100, v99
	v_min_u32_e32 v100, 32, v100
	s_delay_alu instid0(VALU_DEP_1) | instskip(SKIP_1) | instid1(VALU_DEP_2)
	v_subrev_nc_u32_e32 v101, 28, v100
	v_sub_nc_u32_e32 v100, 29, v100
	v_lshlrev_b32_e32 v101, v101, v98
	v_bfe_u32 v98, v98, 3, 4
	s_delay_alu instid0(VALU_DEP_2) | instskip(NEXT) | instid1(VALU_DEP_2)
	v_and_b32_e32 v101, 7, v101
	v_cmp_eq_u32_e32 vcc_lo, 0, v98
	s_delay_alu instid0(VALU_DEP_2) | instskip(NEXT) | instid1(VALU_DEP_1)
	v_dual_cndmask_b32 v98, v98, v100 :: v_dual_cndmask_b32 v99, v99, v101
	v_lshl_add_u32 v98, v98, 23, 0x3b800000
	s_delay_alu instid0(VALU_DEP_2) | instskip(NEXT) | instid1(VALU_DEP_1)
	v_lshlrev_b32_e32 v99, 20, v99
	v_or3_b32 v98, v97, v98, v99
.LBB4_6880:                             ;   in Loop: Header=BB4_6855 Depth=2
	s_or_b32 exec_lo, exec_lo, s25
	s_delay_alu instid0(VALU_DEP_1) | instskip(NEXT) | instid1(VALU_DEP_1)
	v_mul_f32_e32 v98, s24, v98
	v_and_b32_e32 v97, 0x7f800000, v98
	s_delay_alu instid0(VALU_DEP_1)
	v_cmp_ne_u32_e32 vcc_lo, 0x7f800000, v97
	v_mov_b32_e32 v97, 0x80
	s_and_saveexec_b32 s25, vcc_lo
	s_cbranch_execz .LBB4_6888
; %bb.6881:                             ;   in Loop: Header=BB4_6855 Depth=2
	v_mov_b32_e32 v97, 0
	s_mov_b32 s26, exec_lo
	v_cmpx_ne_u32_e32 0, v98
	s_cbranch_execz .LBB4_6887
; %bb.6882:                             ;   in Loop: Header=BB4_6855 Depth=2
	v_bfe_u32 v97, v98, 23, 8
	s_delay_alu instid0(VALU_DEP_1) | instskip(SKIP_1) | instid1(VALU_DEP_2)
	v_sub_nc_u32_e32 v100, 0x78, v97
	v_cmp_gt_u32_e32 vcc_lo, 0x79, v97
	v_dual_cndmask_b32 v100, 0, v100 :: v_dual_and_b32 v99, 0x7fffff, v98
	s_delay_alu instid0(VALU_DEP_1) | instskip(SKIP_2) | instid1(VALU_DEP_4)
	v_or_b32_e32 v101, 0x800000, v99
	v_cmp_eq_u32_e32 vcc_lo, 0, v97
	v_add_nc_u32_e32 v97, 0xffffff89, v97
	v_cndmask_b32_e64 v100, v100, 0x77, vcc_lo
	s_delay_alu instid0(VALU_DEP_2) | instskip(SKIP_1) | instid1(VALU_DEP_3)
	v_cndmask_b32_e64 v97, v97, 0xffffff8a, vcc_lo
	v_cndmask_b32_e32 v99, v101, v99, vcc_lo
	v_lshl_add_u32 v101, 0x100000, v100, -1
	v_lshlrev_b32_e64 v112, v100, 0x80000
	s_delay_alu instid0(VALU_DEP_3) | instskip(SKIP_1) | instid1(VALU_DEP_4)
	v_lshrrev_b32_e32 v102, v100, v99
	v_add_nc_u32_e32 v100, v100, v97
	v_and_b32_e32 v99, v101, v99
	s_delay_alu instid0(VALU_DEP_3) | instskip(NEXT) | instid1(VALU_DEP_2)
	v_bfe_u32 v103, v102, 20, 1
	v_cmp_eq_u32_e64 s11, v99, v112
	s_delay_alu instid0(VALU_DEP_2) | instskip(NEXT) | instid1(VALU_DEP_1)
	v_add_nc_u32_e32 v101, -1, v103
	v_cndmask_b32_e64 v99, 0, v101, s11
	v_lshrrev_b32_e32 v101, 23, v102
	s_mov_b32 s11, exec_lo
	s_delay_alu instid0(VALU_DEP_2) | instskip(NEXT) | instid1(VALU_DEP_2)
	v_add_nc_u32_e32 v99, v99, v102
	v_xor_b32_e32 v101, 1, v101
	s_delay_alu instid0(VALU_DEP_2) | instskip(NEXT) | instid1(VALU_DEP_1)
	v_and_b32_e32 v97, 0xfffff, v99
	v_add_nc_u32_e32 v99, v97, v102
                                        ; implicit-def: $vgpr97
	s_delay_alu instid0(VALU_DEP_3)
	v_cmpx_ne_u32_e64 v100, v101
	s_xor_b32 s11, exec_lo, s11
; %bb.6883:                             ;   in Loop: Header=BB4_6855 Depth=2
	s_delay_alu instid0(VALU_DEP_2) | instskip(SKIP_2) | instid1(VALU_DEP_2)
	v_cmp_lt_u32_e32 vcc_lo, 0xffffff, v99
	v_sub_nc_u32_e32 v97, v100, v101
	v_cndmask_b32_e64 v100, 0, 1, vcc_lo
	v_add_co_ci_u32_e32 v97, vcc_lo, 0, v97, vcc_lo
	s_delay_alu instid0(VALU_DEP_2)
	v_lshrrev_b32_e32 v99, v100, v99
; %bb.6884:                             ;   in Loop: Header=BB4_6855 Depth=2
	s_and_not1_saveexec_b32 s11, s11
; %bb.6885:                             ;   in Loop: Header=BB4_6855 Depth=2
	s_delay_alu instid0(VALU_DEP_1)
	v_bfe_u32 v97, v99, 23, 1
; %bb.6886:                             ;   in Loop: Header=BB4_6855 Depth=2
	s_or_b32 exec_lo, exec_lo, s11
	v_lshrrev_b32_e32 v99, 20, v99
	s_delay_alu instid0(VALU_DEP_2) | instskip(SKIP_2) | instid1(VALU_DEP_2)
	v_cmp_gt_i32_e32 vcc_lo, 16, v97
	v_lshrrev_b32_e32 v98, 24, v98
	v_min_i32_e32 v100, 15, v97
	v_dual_cndmask_b32 v99, 7, v99 :: v_dual_and_b32 v98, 0x80, v98
	s_delay_alu instid0(VALU_DEP_1) | instskip(SKIP_1) | instid1(VALU_DEP_2)
	v_or_b32_e32 v97, v97, v99
	v_and_b32_e32 v101, 7, v99
	v_cmp_ne_u32_e32 vcc_lo, 0, v97
	v_lshlrev_b32_e32 v100, 3, v100
	s_delay_alu instid0(VALU_DEP_1) | instskip(NEXT) | instid1(VALU_DEP_1)
	v_or3_b32 v98, v100, v98, v101
	v_cndmask_b32_e32 v97, 0, v98, vcc_lo
.LBB4_6887:                             ;   in Loop: Header=BB4_6855 Depth=2
	s_or_b32 exec_lo, exec_lo, s26
.LBB4_6888:                             ;   in Loop: Header=BB4_6855 Depth=2
	s_delay_alu instid0(SALU_CYCLE_1) | instskip(SKIP_3) | instid1(VALU_DEP_1)
	s_or_b32 exec_lo, exec_lo, s25
	v_lshrrev_b32_e32 v98, 16, v10
	s_mov_b32 s11, 0
	s_mov_b32 s26, exec_lo
                                        ; implicit-def: $sgpr25
	v_and_b32_e32 v100, 0xff, v98
	s_delay_alu instid0(VALU_DEP_1)
	v_cmpx_lt_i16_e32 0x7f, v100
	s_xor_b32 s26, exec_lo, s26
	s_cbranch_execnz .LBB4_7062
; %bb.6889:                             ;   in Loop: Header=BB4_6855 Depth=2
	s_or_saveexec_b32 s26, s26
	v_mov_b32_e32 v99, s25
	s_xor_b32 exec_lo, exec_lo, s26
	s_cbranch_execnz .LBB4_7065
.LBB4_6890:                             ;   in Loop: Header=BB4_6855 Depth=2
	s_or_b32 exec_lo, exec_lo, s26
	s_and_saveexec_b32 s25, s11
	s_cbranch_execz .LBB4_6892
.LBB4_6891:                             ;   in Loop: Header=BB4_6855 Depth=2
	v_bfe_u32 v99, v10, 16, 3
	v_lshlrev_b32_e32 v102, 8, v10
	s_delay_alu instid0(VALU_DEP_2) | instskip(NEXT) | instid1(VALU_DEP_1)
	v_clz_i32_u32_e32 v100, v99
	v_min_u32_e32 v100, 32, v100
	s_delay_alu instid0(VALU_DEP_1) | instskip(SKIP_1) | instid1(VALU_DEP_2)
	v_subrev_nc_u32_e32 v101, 28, v100
	v_sub_nc_u32_e32 v100, 29, v100
	v_lshlrev_b32_e32 v98, v101, v98
	v_bfe_u32 v101, v10, 19, 4
	s_delay_alu instid0(VALU_DEP_2) | instskip(NEXT) | instid1(VALU_DEP_2)
	v_and_b32_e32 v98, 7, v98
	v_cmp_eq_u32_e32 vcc_lo, 0, v101
	v_cndmask_b32_e32 v100, v101, v100, vcc_lo
	s_delay_alu instid0(VALU_DEP_3) | instskip(SKIP_1) | instid1(VALU_DEP_3)
	v_cndmask_b32_e32 v98, v99, v98, vcc_lo
	v_and_b32_e32 v99, 0x80000000, v102
	v_lshl_add_u32 v100, v100, 23, 0x3b800000
	s_delay_alu instid0(VALU_DEP_3) | instskip(NEXT) | instid1(VALU_DEP_1)
	v_lshlrev_b32_e32 v98, 20, v98
	v_or3_b32 v99, v99, v100, v98
.LBB4_6892:                             ;   in Loop: Header=BB4_6855 Depth=2
	s_or_b32 exec_lo, exec_lo, s25
	s_delay_alu instid0(VALU_DEP_1) | instskip(NEXT) | instid1(VALU_DEP_1)
	v_mul_f32_e32 v99, s24, v99
	v_and_b32_e32 v98, 0x7f800000, v99
	s_delay_alu instid0(VALU_DEP_1)
	v_cmp_ne_u32_e32 vcc_lo, 0x7f800000, v98
	v_mov_b32_e32 v98, 0x80
	s_and_saveexec_b32 s25, vcc_lo
	s_cbranch_execz .LBB4_6900
; %bb.6893:                             ;   in Loop: Header=BB4_6855 Depth=2
	v_mov_b32_e32 v98, 0
	s_mov_b32 s26, exec_lo
	v_cmpx_ne_u32_e32 0, v99
	s_cbranch_execz .LBB4_6899
; %bb.6894:                             ;   in Loop: Header=BB4_6855 Depth=2
	v_bfe_u32 v98, v99, 23, 8
	s_delay_alu instid0(VALU_DEP_1) | instskip(SKIP_1) | instid1(VALU_DEP_2)
	v_sub_nc_u32_e32 v101, 0x78, v98
	v_cmp_gt_u32_e32 vcc_lo, 0x79, v98
	v_dual_cndmask_b32 v101, 0, v101 :: v_dual_and_b32 v100, 0x7fffff, v99
	s_delay_alu instid0(VALU_DEP_1) | instskip(SKIP_2) | instid1(VALU_DEP_4)
	v_or_b32_e32 v102, 0x800000, v100
	v_cmp_eq_u32_e32 vcc_lo, 0, v98
	v_add_nc_u32_e32 v98, 0xffffff89, v98
	v_cndmask_b32_e64 v101, v101, 0x77, vcc_lo
	s_delay_alu instid0(VALU_DEP_2) | instskip(SKIP_1) | instid1(VALU_DEP_3)
	v_cndmask_b32_e64 v98, v98, 0xffffff8a, vcc_lo
	v_cndmask_b32_e32 v100, v102, v100, vcc_lo
	v_lshl_add_u32 v102, 0x100000, v101, -1
	v_lshlrev_b32_e64 v113, v101, 0x80000
	s_delay_alu instid0(VALU_DEP_3) | instskip(SKIP_1) | instid1(VALU_DEP_4)
	v_lshrrev_b32_e32 v103, v101, v100
	v_add_nc_u32_e32 v101, v101, v98
	v_and_b32_e32 v100, v102, v100
	s_delay_alu instid0(VALU_DEP_3) | instskip(NEXT) | instid1(VALU_DEP_2)
	v_bfe_u32 v112, v103, 20, 1
	v_cmp_eq_u32_e64 s11, v100, v113
	s_delay_alu instid0(VALU_DEP_2) | instskip(NEXT) | instid1(VALU_DEP_1)
	v_add_nc_u32_e32 v102, -1, v112
	v_cndmask_b32_e64 v100, 0, v102, s11
	v_lshrrev_b32_e32 v102, 23, v103
	s_mov_b32 s11, exec_lo
	s_delay_alu instid0(VALU_DEP_2) | instskip(NEXT) | instid1(VALU_DEP_2)
	v_add_nc_u32_e32 v100, v100, v103
	v_xor_b32_e32 v102, 1, v102
	s_delay_alu instid0(VALU_DEP_2) | instskip(NEXT) | instid1(VALU_DEP_1)
	v_and_b32_e32 v98, 0xfffff, v100
	v_add_nc_u32_e32 v100, v98, v103
                                        ; implicit-def: $vgpr98
	s_delay_alu instid0(VALU_DEP_3)
	v_cmpx_ne_u32_e64 v101, v102
	s_xor_b32 s11, exec_lo, s11
; %bb.6895:                             ;   in Loop: Header=BB4_6855 Depth=2
	s_delay_alu instid0(VALU_DEP_2) | instskip(SKIP_2) | instid1(VALU_DEP_2)
	v_cmp_lt_u32_e32 vcc_lo, 0xffffff, v100
	v_sub_nc_u32_e32 v98, v101, v102
	v_cndmask_b32_e64 v101, 0, 1, vcc_lo
	v_add_co_ci_u32_e32 v98, vcc_lo, 0, v98, vcc_lo
	s_delay_alu instid0(VALU_DEP_2)
	v_lshrrev_b32_e32 v100, v101, v100
; %bb.6896:                             ;   in Loop: Header=BB4_6855 Depth=2
	s_and_not1_saveexec_b32 s11, s11
; %bb.6897:                             ;   in Loop: Header=BB4_6855 Depth=2
	s_delay_alu instid0(VALU_DEP_1)
	v_bfe_u32 v98, v100, 23, 1
; %bb.6898:                             ;   in Loop: Header=BB4_6855 Depth=2
	s_or_b32 exec_lo, exec_lo, s11
	v_lshrrev_b32_e32 v100, 20, v100
	s_delay_alu instid0(VALU_DEP_2) | instskip(SKIP_2) | instid1(VALU_DEP_2)
	v_cmp_gt_i32_e32 vcc_lo, 16, v98
	v_lshrrev_b32_e32 v99, 24, v99
	v_min_i32_e32 v101, 15, v98
	v_dual_cndmask_b32 v100, 7, v100 :: v_dual_and_b32 v99, 0x80, v99
	s_delay_alu instid0(VALU_DEP_1) | instskip(SKIP_1) | instid1(VALU_DEP_2)
	v_or_b32_e32 v98, v98, v100
	v_and_b32_e32 v102, 7, v100
	v_cmp_ne_u32_e32 vcc_lo, 0, v98
	v_lshlrev_b32_e32 v101, 3, v101
	s_delay_alu instid0(VALU_DEP_1) | instskip(NEXT) | instid1(VALU_DEP_1)
	v_or3_b32 v99, v101, v99, v102
	v_cndmask_b32_e32 v98, 0, v99, vcc_lo
.LBB4_6899:                             ;   in Loop: Header=BB4_6855 Depth=2
	s_or_b32 exec_lo, exec_lo, s26
.LBB4_6900:                             ;   in Loop: Header=BB4_6855 Depth=2
	s_delay_alu instid0(SALU_CYCLE_1) | instskip(SKIP_3) | instid1(VALU_DEP_1)
	s_or_b32 exec_lo, exec_lo, s25
	v_lshrrev_b32_e32 v99, 24, v10
	s_mov_b32 s11, 0
	s_mov_b32 s26, exec_lo
                                        ; implicit-def: $sgpr25
	v_cmpx_lt_i16_e32 0x7f, v99
	s_xor_b32 s26, exec_lo, s26
	s_cbranch_execnz .LBB4_7066
; %bb.6901:                             ;   in Loop: Header=BB4_6855 Depth=2
	s_or_saveexec_b32 s26, s26
	v_mov_b32_e32 v100, s25
	s_xor_b32 exec_lo, exec_lo, s26
	s_cbranch_execnz .LBB4_7069
.LBB4_6902:                             ;   in Loop: Header=BB4_6855 Depth=2
	s_or_b32 exec_lo, exec_lo, s26
	s_and_saveexec_b32 s25, s11
	s_cbranch_execz .LBB4_6904
.LBB4_6903:                             ;   in Loop: Header=BB4_6855 Depth=2
	v_bfe_u32 v100, v10, 24, 3
	s_delay_alu instid0(VALU_DEP_1) | instskip(NEXT) | instid1(VALU_DEP_1)
	v_clz_i32_u32_e32 v101, v100
	v_min_u32_e32 v101, 32, v101
	s_delay_alu instid0(VALU_DEP_1) | instskip(SKIP_1) | instid1(VALU_DEP_2)
	v_subrev_nc_u32_e32 v102, 28, v101
	v_sub_nc_u32_e32 v101, 29, v101
	v_lshlrev_b32_e32 v99, v102, v99
	v_bfe_u32 v102, v10, 27, 4
	v_and_b32_e32 v10, 0x80000000, v10
	s_delay_alu instid0(VALU_DEP_3) | instskip(NEXT) | instid1(VALU_DEP_3)
	v_and_b32_e32 v99, 7, v99
	v_cmp_eq_u32_e32 vcc_lo, 0, v102
	v_cndmask_b32_e32 v101, v102, v101, vcc_lo
	s_delay_alu instid0(VALU_DEP_3) | instskip(NEXT) | instid1(VALU_DEP_2)
	v_cndmask_b32_e32 v99, v100, v99, vcc_lo
	v_lshl_add_u32 v100, v101, 23, 0x3b800000
	s_delay_alu instid0(VALU_DEP_2) | instskip(NEXT) | instid1(VALU_DEP_1)
	v_lshlrev_b32_e32 v99, 20, v99
	v_or3_b32 v100, v10, v100, v99
.LBB4_6904:                             ;   in Loop: Header=BB4_6855 Depth=2
	s_or_b32 exec_lo, exec_lo, s25
	s_delay_alu instid0(VALU_DEP_1) | instskip(NEXT) | instid1(VALU_DEP_1)
	v_mul_f32_e32 v99, s24, v100
	v_and_b32_e32 v10, 0x7f800000, v99
	s_delay_alu instid0(VALU_DEP_1)
	v_cmp_ne_u32_e32 vcc_lo, 0x7f800000, v10
	v_mov_b32_e32 v10, 0x80
	s_and_saveexec_b32 s25, vcc_lo
	s_cbranch_execz .LBB4_6912
; %bb.6905:                             ;   in Loop: Header=BB4_6855 Depth=2
	v_mov_b32_e32 v10, 0
	s_mov_b32 s26, exec_lo
	v_cmpx_ne_u32_e32 0, v99
	s_cbranch_execz .LBB4_6911
; %bb.6906:                             ;   in Loop: Header=BB4_6855 Depth=2
	v_bfe_u32 v10, v99, 23, 8
	s_delay_alu instid0(VALU_DEP_1) | instskip(SKIP_1) | instid1(VALU_DEP_2)
	v_sub_nc_u32_e32 v101, 0x78, v10
	v_cmp_gt_u32_e32 vcc_lo, 0x79, v10
	v_dual_cndmask_b32 v101, 0, v101 :: v_dual_and_b32 v100, 0x7fffff, v99
	s_delay_alu instid0(VALU_DEP_1) | instskip(SKIP_2) | instid1(VALU_DEP_4)
	v_or_b32_e32 v102, 0x800000, v100
	v_cmp_eq_u32_e32 vcc_lo, 0, v10
	v_add_nc_u32_e32 v10, 0xffffff89, v10
	v_cndmask_b32_e64 v101, v101, 0x77, vcc_lo
	s_delay_alu instid0(VALU_DEP_2) | instskip(SKIP_1) | instid1(VALU_DEP_3)
	v_cndmask_b32_e64 v10, v10, 0xffffff8a, vcc_lo
	v_cndmask_b32_e32 v100, v102, v100, vcc_lo
	v_lshl_add_u32 v102, 0x100000, v101, -1
	v_lshlrev_b32_e64 v113, v101, 0x80000
	s_delay_alu instid0(VALU_DEP_3) | instskip(SKIP_1) | instid1(VALU_DEP_4)
	v_lshrrev_b32_e32 v103, v101, v100
	v_add_nc_u32_e32 v101, v101, v10
	v_and_b32_e32 v100, v102, v100
	s_delay_alu instid0(VALU_DEP_3) | instskip(NEXT) | instid1(VALU_DEP_2)
	v_bfe_u32 v112, v103, 20, 1
	v_cmp_eq_u32_e64 s11, v100, v113
	s_delay_alu instid0(VALU_DEP_2) | instskip(NEXT) | instid1(VALU_DEP_1)
	v_add_nc_u32_e32 v102, -1, v112
	v_cndmask_b32_e64 v100, 0, v102, s11
	v_lshrrev_b32_e32 v102, 23, v103
	s_mov_b32 s11, exec_lo
	s_delay_alu instid0(VALU_DEP_2) | instskip(NEXT) | instid1(VALU_DEP_2)
	v_add_nc_u32_e32 v100, v100, v103
	v_xor_b32_e32 v102, 1, v102
	s_delay_alu instid0(VALU_DEP_2) | instskip(NEXT) | instid1(VALU_DEP_1)
	v_and_b32_e32 v10, 0xfffff, v100
	v_add_nc_u32_e32 v100, v10, v103
                                        ; implicit-def: $vgpr10
	s_delay_alu instid0(VALU_DEP_3)
	v_cmpx_ne_u32_e64 v101, v102
	s_xor_b32 s11, exec_lo, s11
; %bb.6907:                             ;   in Loop: Header=BB4_6855 Depth=2
	s_delay_alu instid0(VALU_DEP_2) | instskip(SKIP_2) | instid1(VALU_DEP_2)
	v_cmp_lt_u32_e32 vcc_lo, 0xffffff, v100
	v_sub_nc_u32_e32 v10, v101, v102
	v_cndmask_b32_e64 v101, 0, 1, vcc_lo
	v_add_co_ci_u32_e32 v10, vcc_lo, 0, v10, vcc_lo
	s_delay_alu instid0(VALU_DEP_2)
	v_lshrrev_b32_e32 v100, v101, v100
; %bb.6908:                             ;   in Loop: Header=BB4_6855 Depth=2
	s_and_not1_saveexec_b32 s11, s11
; %bb.6909:                             ;   in Loop: Header=BB4_6855 Depth=2
	s_delay_alu instid0(VALU_DEP_1)
	v_bfe_u32 v10, v100, 23, 1
; %bb.6910:                             ;   in Loop: Header=BB4_6855 Depth=2
	s_or_b32 exec_lo, exec_lo, s11
	v_lshrrev_b32_e32 v100, 20, v100
	s_delay_alu instid0(VALU_DEP_2) | instskip(SKIP_2) | instid1(VALU_DEP_2)
	v_cmp_gt_i32_e32 vcc_lo, 16, v10
	v_lshrrev_b32_e32 v99, 24, v99
	v_min_i32_e32 v101, 15, v10
	v_dual_cndmask_b32 v100, 7, v100 :: v_dual_and_b32 v99, 0x80, v99
	s_delay_alu instid0(VALU_DEP_1) | instskip(SKIP_1) | instid1(VALU_DEP_2)
	v_or_b32_e32 v10, v10, v100
	v_and_b32_e32 v102, 7, v100
	v_cmp_ne_u32_e32 vcc_lo, 0, v10
	v_lshlrev_b32_e32 v101, 3, v101
	s_delay_alu instid0(VALU_DEP_1) | instskip(NEXT) | instid1(VALU_DEP_1)
	v_or3_b32 v99, v101, v99, v102
	v_cndmask_b32_e32 v10, 0, v99, vcc_lo
.LBB4_6911:                             ;   in Loop: Header=BB4_6855 Depth=2
	s_or_b32 exec_lo, exec_lo, s26
.LBB4_6912:                             ;   in Loop: Header=BB4_6855 Depth=2
	s_delay_alu instid0(SALU_CYCLE_1) | instskip(SKIP_3) | instid1(VALU_DEP_1)
	s_or_b32 exec_lo, exec_lo, s25
	v_and_b32_e32 v100, 0xff, v11
	s_mov_b32 s11, 0
	s_mov_b32 s26, exec_lo
                                        ; implicit-def: $sgpr25
	v_cmpx_lt_i16_e32 0x7f, v100
	s_xor_b32 s26, exec_lo, s26
	s_cbranch_execnz .LBB4_7070
; %bb.6913:                             ;   in Loop: Header=BB4_6855 Depth=2
	s_or_saveexec_b32 s26, s26
	v_mov_b32_e32 v99, s25
	s_xor_b32 exec_lo, exec_lo, s26
	s_cbranch_execnz .LBB4_7073
.LBB4_6914:                             ;   in Loop: Header=BB4_6855 Depth=2
	s_or_b32 exec_lo, exec_lo, s26
	s_and_saveexec_b32 s25, s11
	s_cbranch_execz .LBB4_6916
.LBB4_6915:                             ;   in Loop: Header=BB4_6855 Depth=2
	v_bfe_u32 v102, v11, 3, 4
	v_lshlrev_b32_e32 v103, 24, v11
	s_delay_alu instid0(VALU_DEP_2) | instskip(SKIP_1) | instid1(VALU_DEP_1)
	v_cmp_eq_u32_e32 vcc_lo, 0, v102
	v_and_b32_e32 v99, 7, v11
	v_clz_i32_u32_e32 v100, v99
	s_delay_alu instid0(VALU_DEP_1) | instskip(NEXT) | instid1(VALU_DEP_1)
	v_min_u32_e32 v100, 32, v100
	v_subrev_nc_u32_e32 v101, 28, v100
	v_sub_nc_u32_e32 v100, 29, v100
	s_delay_alu instid0(VALU_DEP_1) | instskip(NEXT) | instid1(VALU_DEP_1)
	v_dual_cndmask_b32 v100, v102, v100 :: v_dual_lshlrev_b32 v101, v101, v11
	v_and_b32_e32 v101, 7, v101
	s_delay_alu instid0(VALU_DEP_2) | instskip(NEXT) | instid1(VALU_DEP_2)
	v_lshl_add_u32 v100, v100, 23, 0x3b800000
	v_cndmask_b32_e32 v99, v99, v101, vcc_lo
	v_and_b32_e32 v101, 0x80000000, v103
	s_delay_alu instid0(VALU_DEP_2) | instskip(NEXT) | instid1(VALU_DEP_1)
	v_lshlrev_b32_e32 v99, 20, v99
	v_or3_b32 v99, v101, v100, v99
.LBB4_6916:                             ;   in Loop: Header=BB4_6855 Depth=2
	s_or_b32 exec_lo, exec_lo, s25
	s_delay_alu instid0(VALU_DEP_1) | instskip(NEXT) | instid1(VALU_DEP_1)
	v_mul_f32_e32 v100, s24, v99
	v_and_b32_e32 v99, 0x7f800000, v100
	s_delay_alu instid0(VALU_DEP_1)
	v_cmp_ne_u32_e32 vcc_lo, 0x7f800000, v99
	v_mov_b32_e32 v99, 0x80
	s_and_saveexec_b32 s25, vcc_lo
	s_cbranch_execz .LBB4_6924
; %bb.6917:                             ;   in Loop: Header=BB4_6855 Depth=2
	v_mov_b32_e32 v99, 0
	s_mov_b32 s26, exec_lo
	v_cmpx_ne_u32_e32 0, v100
	s_cbranch_execz .LBB4_6923
; %bb.6918:                             ;   in Loop: Header=BB4_6855 Depth=2
	v_bfe_u32 v99, v100, 23, 8
	s_delay_alu instid0(VALU_DEP_1) | instskip(SKIP_1) | instid1(VALU_DEP_2)
	v_sub_nc_u32_e32 v102, 0x78, v99
	v_cmp_gt_u32_e32 vcc_lo, 0x79, v99
	v_dual_cndmask_b32 v102, 0, v102 :: v_dual_and_b32 v101, 0x7fffff, v100
	s_delay_alu instid0(VALU_DEP_1) | instskip(SKIP_2) | instid1(VALU_DEP_4)
	v_or_b32_e32 v103, 0x800000, v101
	v_cmp_eq_u32_e32 vcc_lo, 0, v99
	v_add_nc_u32_e32 v99, 0xffffff89, v99
	v_cndmask_b32_e64 v102, v102, 0x77, vcc_lo
	s_delay_alu instid0(VALU_DEP_2) | instskip(SKIP_1) | instid1(VALU_DEP_3)
	v_cndmask_b32_e64 v99, v99, 0xffffff8a, vcc_lo
	v_cndmask_b32_e32 v101, v103, v101, vcc_lo
	v_lshl_add_u32 v103, 0x100000, v102, -1
	v_lshlrev_b32_e64 v114, v102, 0x80000
	s_delay_alu instid0(VALU_DEP_3) | instskip(SKIP_1) | instid1(VALU_DEP_4)
	v_lshrrev_b32_e32 v112, v102, v101
	v_add_nc_u32_e32 v102, v102, v99
	v_and_b32_e32 v101, v103, v101
	s_delay_alu instid0(VALU_DEP_3) | instskip(NEXT) | instid1(VALU_DEP_2)
	v_bfe_u32 v113, v112, 20, 1
	v_cmp_eq_u32_e64 s11, v101, v114
	s_delay_alu instid0(VALU_DEP_2) | instskip(NEXT) | instid1(VALU_DEP_1)
	v_add_nc_u32_e32 v103, -1, v113
	v_cndmask_b32_e64 v101, 0, v103, s11
	v_lshrrev_b32_e32 v103, 23, v112
	s_mov_b32 s11, exec_lo
	s_delay_alu instid0(VALU_DEP_2) | instskip(NEXT) | instid1(VALU_DEP_2)
	v_add_nc_u32_e32 v101, v101, v112
	v_xor_b32_e32 v103, 1, v103
	s_delay_alu instid0(VALU_DEP_2) | instskip(NEXT) | instid1(VALU_DEP_1)
	v_and_b32_e32 v99, 0xfffff, v101
	v_add_nc_u32_e32 v101, v99, v112
                                        ; implicit-def: $vgpr99
	s_delay_alu instid0(VALU_DEP_3)
	v_cmpx_ne_u32_e64 v102, v103
	s_xor_b32 s11, exec_lo, s11
; %bb.6919:                             ;   in Loop: Header=BB4_6855 Depth=2
	s_delay_alu instid0(VALU_DEP_2) | instskip(SKIP_2) | instid1(VALU_DEP_2)
	v_cmp_lt_u32_e32 vcc_lo, 0xffffff, v101
	v_sub_nc_u32_e32 v99, v102, v103
	v_cndmask_b32_e64 v102, 0, 1, vcc_lo
	v_add_co_ci_u32_e32 v99, vcc_lo, 0, v99, vcc_lo
	s_delay_alu instid0(VALU_DEP_2)
	v_lshrrev_b32_e32 v101, v102, v101
; %bb.6920:                             ;   in Loop: Header=BB4_6855 Depth=2
	s_and_not1_saveexec_b32 s11, s11
; %bb.6921:                             ;   in Loop: Header=BB4_6855 Depth=2
	s_delay_alu instid0(VALU_DEP_1)
	v_bfe_u32 v99, v101, 23, 1
; %bb.6922:                             ;   in Loop: Header=BB4_6855 Depth=2
	s_or_b32 exec_lo, exec_lo, s11
	v_lshrrev_b32_e32 v101, 20, v101
	s_delay_alu instid0(VALU_DEP_2) | instskip(SKIP_2) | instid1(VALU_DEP_2)
	v_cmp_gt_i32_e32 vcc_lo, 16, v99
	v_min_i32_e32 v102, 15, v99
	v_lshrrev_b32_e32 v100, 24, v100
	v_dual_cndmask_b32 v101, 7, v101 :: v_dual_lshlrev_b32 v102, 3, v102
	s_delay_alu instid0(VALU_DEP_2) | instskip(NEXT) | instid1(VALU_DEP_2)
	v_and_b32_e32 v100, 0x80, v100
	v_or_b32_e32 v99, v99, v101
	v_and_b32_e32 v103, 7, v101
	s_delay_alu instid0(VALU_DEP_2) | instskip(SKIP_1) | instid1(VALU_DEP_1)
	v_cmp_ne_u32_e32 vcc_lo, 0, v99
	v_and_b32_e32 v102, 0xf8, v102
	v_or3_b32 v100, v102, v100, v103
	s_delay_alu instid0(VALU_DEP_1)
	v_cndmask_b32_e32 v99, 0, v100, vcc_lo
.LBB4_6923:                             ;   in Loop: Header=BB4_6855 Depth=2
	s_or_b32 exec_lo, exec_lo, s26
.LBB4_6924:                             ;   in Loop: Header=BB4_6855 Depth=2
	s_delay_alu instid0(SALU_CYCLE_1) | instskip(SKIP_3) | instid1(VALU_DEP_1)
	s_or_b32 exec_lo, exec_lo, s25
	v_lshrrev_b16 v100, 8, v11
	s_mov_b32 s11, 0
	s_mov_b32 s26, exec_lo
                                        ; implicit-def: $sgpr25
	v_cmpx_lt_i16_e32 0x7f, v100
	s_xor_b32 s26, exec_lo, s26
	s_cbranch_execnz .LBB4_7074
; %bb.6925:                             ;   in Loop: Header=BB4_6855 Depth=2
	s_or_saveexec_b32 s26, s26
	v_mov_b32_e32 v101, s25
	s_xor_b32 exec_lo, exec_lo, s26
	s_cbranch_execnz .LBB4_7077
.LBB4_6926:                             ;   in Loop: Header=BB4_6855 Depth=2
	s_or_b32 exec_lo, exec_lo, s26
	s_and_saveexec_b32 s25, s11
	s_cbranch_execz .LBB4_6928
.LBB4_6927:                             ;   in Loop: Header=BB4_6855 Depth=2
	v_and_b32_e32 v101, 0xffff, v100
	v_lshlrev_b32_e32 v100, 24, v100
	s_delay_alu instid0(VALU_DEP_2) | instskip(NEXT) | instid1(VALU_DEP_2)
	v_and_b32_e32 v102, 7, v101
	v_and_b32_e32 v100, 0x80000000, v100
	s_delay_alu instid0(VALU_DEP_2) | instskip(NEXT) | instid1(VALU_DEP_1)
	v_clz_i32_u32_e32 v103, v102
	v_min_u32_e32 v103, 32, v103
	s_delay_alu instid0(VALU_DEP_1) | instskip(SKIP_1) | instid1(VALU_DEP_2)
	v_subrev_nc_u32_e32 v112, 28, v103
	v_sub_nc_u32_e32 v103, 29, v103
	v_lshlrev_b32_e32 v112, v112, v101
	v_bfe_u32 v101, v101, 3, 4
	s_delay_alu instid0(VALU_DEP_2) | instskip(NEXT) | instid1(VALU_DEP_2)
	v_and_b32_e32 v112, 7, v112
	v_cmp_eq_u32_e32 vcc_lo, 0, v101
	s_delay_alu instid0(VALU_DEP_2) | instskip(NEXT) | instid1(VALU_DEP_1)
	v_dual_cndmask_b32 v101, v101, v103 :: v_dual_cndmask_b32 v102, v102, v112
	v_lshl_add_u32 v101, v101, 23, 0x3b800000
	s_delay_alu instid0(VALU_DEP_2) | instskip(NEXT) | instid1(VALU_DEP_1)
	v_lshlrev_b32_e32 v102, 20, v102
	v_or3_b32 v101, v100, v101, v102
.LBB4_6928:                             ;   in Loop: Header=BB4_6855 Depth=2
	s_or_b32 exec_lo, exec_lo, s25
	s_delay_alu instid0(VALU_DEP_1) | instskip(NEXT) | instid1(VALU_DEP_1)
	v_mul_f32_e32 v101, s24, v101
	v_and_b32_e32 v100, 0x7f800000, v101
	s_delay_alu instid0(VALU_DEP_1)
	v_cmp_ne_u32_e32 vcc_lo, 0x7f800000, v100
	v_mov_b32_e32 v100, 0x8000
	s_and_saveexec_b32 s25, vcc_lo
	s_cbranch_execz .LBB4_6936
; %bb.6929:                             ;   in Loop: Header=BB4_6855 Depth=2
	v_mov_b32_e32 v100, 0
	s_mov_b32 s26, exec_lo
	v_cmpx_ne_u32_e32 0, v101
	s_cbranch_execz .LBB4_6935
; %bb.6930:                             ;   in Loop: Header=BB4_6855 Depth=2
	v_bfe_u32 v100, v101, 23, 8
	s_delay_alu instid0(VALU_DEP_1) | instskip(SKIP_1) | instid1(VALU_DEP_2)
	v_sub_nc_u32_e32 v103, 0x78, v100
	v_cmp_gt_u32_e32 vcc_lo, 0x79, v100
	v_dual_cndmask_b32 v103, 0, v103 :: v_dual_and_b32 v102, 0x7fffff, v101
	s_delay_alu instid0(VALU_DEP_1) | instskip(SKIP_2) | instid1(VALU_DEP_4)
	v_or_b32_e32 v112, 0x800000, v102
	v_cmp_eq_u32_e32 vcc_lo, 0, v100
	v_add_nc_u32_e32 v100, 0xffffff89, v100
	v_cndmask_b32_e64 v103, v103, 0x77, vcc_lo
	s_delay_alu instid0(VALU_DEP_2) | instskip(SKIP_1) | instid1(VALU_DEP_3)
	v_cndmask_b32_e64 v100, v100, 0xffffff8a, vcc_lo
	v_cndmask_b32_e32 v102, v112, v102, vcc_lo
	v_lshl_add_u32 v112, 0x100000, v103, -1
	v_lshlrev_b32_e64 v115, v103, 0x80000
	s_delay_alu instid0(VALU_DEP_3) | instskip(SKIP_1) | instid1(VALU_DEP_4)
	v_lshrrev_b32_e32 v113, v103, v102
	v_add_nc_u32_e32 v103, v103, v100
	v_and_b32_e32 v102, v112, v102
	s_delay_alu instid0(VALU_DEP_3) | instskip(NEXT) | instid1(VALU_DEP_2)
	v_bfe_u32 v114, v113, 20, 1
	v_cmp_eq_u32_e64 s11, v102, v115
	s_delay_alu instid0(VALU_DEP_2) | instskip(NEXT) | instid1(VALU_DEP_1)
	v_add_nc_u32_e32 v112, -1, v114
	v_cndmask_b32_e64 v102, 0, v112, s11
	v_lshrrev_b32_e32 v112, 23, v113
	s_mov_b32 s11, exec_lo
	s_delay_alu instid0(VALU_DEP_2) | instskip(NEXT) | instid1(VALU_DEP_2)
	v_add_nc_u32_e32 v102, v102, v113
	v_xor_b32_e32 v112, 1, v112
	s_delay_alu instid0(VALU_DEP_2) | instskip(NEXT) | instid1(VALU_DEP_1)
	v_and_b32_e32 v100, 0xfffff, v102
	v_add_nc_u32_e32 v102, v100, v113
                                        ; implicit-def: $vgpr100
	s_delay_alu instid0(VALU_DEP_3)
	v_cmpx_ne_u32_e64 v103, v112
	s_xor_b32 s11, exec_lo, s11
; %bb.6931:                             ;   in Loop: Header=BB4_6855 Depth=2
	s_delay_alu instid0(VALU_DEP_2) | instskip(SKIP_2) | instid1(VALU_DEP_2)
	v_cmp_lt_u32_e32 vcc_lo, 0xffffff, v102
	v_sub_nc_u32_e32 v100, v103, v112
	v_cndmask_b32_e64 v103, 0, 1, vcc_lo
	v_add_co_ci_u32_e32 v100, vcc_lo, 0, v100, vcc_lo
	s_delay_alu instid0(VALU_DEP_2)
	v_lshrrev_b32_e32 v102, v103, v102
; %bb.6932:                             ;   in Loop: Header=BB4_6855 Depth=2
	s_and_not1_saveexec_b32 s11, s11
; %bb.6933:                             ;   in Loop: Header=BB4_6855 Depth=2
	s_delay_alu instid0(VALU_DEP_1)
	v_bfe_u32 v100, v102, 23, 1
; %bb.6934:                             ;   in Loop: Header=BB4_6855 Depth=2
	s_or_b32 exec_lo, exec_lo, s11
	v_lshrrev_b32_e32 v102, 20, v102
	s_delay_alu instid0(VALU_DEP_2) | instskip(SKIP_2) | instid1(VALU_DEP_2)
	v_cmp_gt_i32_e32 vcc_lo, 16, v100
	v_min_i32_e32 v103, 15, v100
	v_lshrrev_b32_e32 v101, 24, v101
	v_dual_cndmask_b32 v102, 7, v102 :: v_dual_lshlrev_b32 v103, 3, v103
	s_delay_alu instid0(VALU_DEP_2) | instskip(NEXT) | instid1(VALU_DEP_2)
	v_and_b32_e32 v101, 0x80, v101
	v_or_b32_e32 v100, v100, v102
	v_and_b32_e32 v112, 7, v102
	s_delay_alu instid0(VALU_DEP_2) | instskip(SKIP_1) | instid1(VALU_DEP_1)
	v_cmp_ne_u32_e32 vcc_lo, 0, v100
	v_and_b32_e32 v103, 0xf8, v103
	v_or3_b32 v101, v101, v103, v112
	s_delay_alu instid0(VALU_DEP_1) | instskip(NEXT) | instid1(VALU_DEP_1)
	v_lshlrev_b32_e32 v101, 8, v101
	v_cndmask_b32_e32 v100, 0, v101, vcc_lo
.LBB4_6935:                             ;   in Loop: Header=BB4_6855 Depth=2
	s_or_b32 exec_lo, exec_lo, s26
.LBB4_6936:                             ;   in Loop: Header=BB4_6855 Depth=2
	s_delay_alu instid0(SALU_CYCLE_1) | instskip(SKIP_3) | instid1(VALU_DEP_1)
	s_or_b32 exec_lo, exec_lo, s25
	v_lshrrev_b32_e32 v101, 16, v11
	s_mov_b32 s11, 0
	s_mov_b32 s26, exec_lo
                                        ; implicit-def: $sgpr25
	v_and_b32_e32 v103, 0xff, v101
	s_delay_alu instid0(VALU_DEP_1)
	v_cmpx_lt_i16_e32 0x7f, v103
	s_xor_b32 s26, exec_lo, s26
	s_cbranch_execnz .LBB4_7078
; %bb.6937:                             ;   in Loop: Header=BB4_6855 Depth=2
	s_or_saveexec_b32 s26, s26
	v_mov_b32_e32 v102, s25
	s_xor_b32 exec_lo, exec_lo, s26
	s_cbranch_execnz .LBB4_7081
.LBB4_6938:                             ;   in Loop: Header=BB4_6855 Depth=2
	s_or_b32 exec_lo, exec_lo, s26
	s_and_saveexec_b32 s25, s11
	s_cbranch_execz .LBB4_6940
.LBB4_6939:                             ;   in Loop: Header=BB4_6855 Depth=2
	v_bfe_u32 v102, v11, 16, 3
	v_lshlrev_b32_e32 v113, 8, v11
	s_delay_alu instid0(VALU_DEP_2) | instskip(NEXT) | instid1(VALU_DEP_1)
	v_clz_i32_u32_e32 v103, v102
	v_min_u32_e32 v103, 32, v103
	s_delay_alu instid0(VALU_DEP_1) | instskip(SKIP_1) | instid1(VALU_DEP_2)
	v_subrev_nc_u32_e32 v112, 28, v103
	v_sub_nc_u32_e32 v103, 29, v103
	v_lshlrev_b32_e32 v101, v112, v101
	v_bfe_u32 v112, v11, 19, 4
	s_delay_alu instid0(VALU_DEP_2) | instskip(NEXT) | instid1(VALU_DEP_2)
	v_and_b32_e32 v101, 7, v101
	v_cmp_eq_u32_e32 vcc_lo, 0, v112
	v_cndmask_b32_e32 v103, v112, v103, vcc_lo
	s_delay_alu instid0(VALU_DEP_3) | instskip(SKIP_1) | instid1(VALU_DEP_3)
	v_cndmask_b32_e32 v101, v102, v101, vcc_lo
	v_and_b32_e32 v102, 0x80000000, v113
	v_lshl_add_u32 v103, v103, 23, 0x3b800000
	s_delay_alu instid0(VALU_DEP_3) | instskip(NEXT) | instid1(VALU_DEP_1)
	v_lshlrev_b32_e32 v101, 20, v101
	v_or3_b32 v102, v102, v103, v101
.LBB4_6940:                             ;   in Loop: Header=BB4_6855 Depth=2
	s_or_b32 exec_lo, exec_lo, s25
	s_delay_alu instid0(VALU_DEP_1) | instskip(NEXT) | instid1(VALU_DEP_1)
	v_mul_f32_e32 v102, s24, v102
	v_and_b32_e32 v101, 0x7f800000, v102
	s_delay_alu instid0(VALU_DEP_1)
	v_cmp_ne_u32_e32 vcc_lo, 0x7f800000, v101
	v_mov_b32_e32 v101, 0x80
	s_and_saveexec_b32 s25, vcc_lo
	s_cbranch_execz .LBB4_6948
; %bb.6941:                             ;   in Loop: Header=BB4_6855 Depth=2
	v_mov_b32_e32 v101, 0
	s_mov_b32 s26, exec_lo
	v_cmpx_ne_u32_e32 0, v102
	s_cbranch_execz .LBB4_6947
; %bb.6942:                             ;   in Loop: Header=BB4_6855 Depth=2
	v_bfe_u32 v101, v102, 23, 8
	s_delay_alu instid0(VALU_DEP_1) | instskip(SKIP_1) | instid1(VALU_DEP_2)
	v_sub_nc_u32_e32 v112, 0x78, v101
	v_cmp_gt_u32_e32 vcc_lo, 0x79, v101
	v_dual_cndmask_b32 v112, 0, v112 :: v_dual_and_b32 v103, 0x7fffff, v102
	s_delay_alu instid0(VALU_DEP_1) | instskip(SKIP_2) | instid1(VALU_DEP_4)
	v_or_b32_e32 v113, 0x800000, v103
	v_cmp_eq_u32_e32 vcc_lo, 0, v101
	v_add_nc_u32_e32 v101, 0xffffff89, v101
	v_cndmask_b32_e64 v112, v112, 0x77, vcc_lo
	s_delay_alu instid0(VALU_DEP_2) | instskip(SKIP_1) | instid1(VALU_DEP_3)
	v_cndmask_b32_e64 v101, v101, 0xffffff8a, vcc_lo
	v_cndmask_b32_e32 v103, v113, v103, vcc_lo
	v_lshl_add_u32 v113, 0x100000, v112, -1
	v_lshlrev_b32_e64 v116, v112, 0x80000
	s_delay_alu instid0(VALU_DEP_3) | instskip(SKIP_1) | instid1(VALU_DEP_4)
	v_lshrrev_b32_e32 v114, v112, v103
	v_add_nc_u32_e32 v112, v112, v101
	v_and_b32_e32 v103, v113, v103
	s_delay_alu instid0(VALU_DEP_3) | instskip(NEXT) | instid1(VALU_DEP_2)
	v_bfe_u32 v115, v114, 20, 1
	v_cmp_eq_u32_e64 s11, v103, v116
	s_delay_alu instid0(VALU_DEP_2) | instskip(NEXT) | instid1(VALU_DEP_1)
	v_add_nc_u32_e32 v113, -1, v115
	v_cndmask_b32_e64 v103, 0, v113, s11
	v_lshrrev_b32_e32 v113, 23, v114
	s_mov_b32 s11, exec_lo
	s_delay_alu instid0(VALU_DEP_2) | instskip(NEXT) | instid1(VALU_DEP_2)
	v_add_nc_u32_e32 v103, v103, v114
	v_xor_b32_e32 v113, 1, v113
	s_delay_alu instid0(VALU_DEP_2) | instskip(NEXT) | instid1(VALU_DEP_1)
	v_and_b32_e32 v101, 0xfffff, v103
	v_add_nc_u32_e32 v103, v101, v114
                                        ; implicit-def: $vgpr101
	s_delay_alu instid0(VALU_DEP_3)
	v_cmpx_ne_u32_e64 v112, v113
	s_xor_b32 s11, exec_lo, s11
; %bb.6943:                             ;   in Loop: Header=BB4_6855 Depth=2
	s_delay_alu instid0(VALU_DEP_2) | instskip(SKIP_2) | instid1(VALU_DEP_2)
	v_cmp_lt_u32_e32 vcc_lo, 0xffffff, v103
	v_sub_nc_u32_e32 v101, v112, v113
	v_cndmask_b32_e64 v112, 0, 1, vcc_lo
	v_add_co_ci_u32_e32 v101, vcc_lo, 0, v101, vcc_lo
	s_delay_alu instid0(VALU_DEP_2)
	v_lshrrev_b32_e32 v103, v112, v103
; %bb.6944:                             ;   in Loop: Header=BB4_6855 Depth=2
	s_and_not1_saveexec_b32 s11, s11
; %bb.6945:                             ;   in Loop: Header=BB4_6855 Depth=2
	s_delay_alu instid0(VALU_DEP_1)
	v_bfe_u32 v101, v103, 23, 1
; %bb.6946:                             ;   in Loop: Header=BB4_6855 Depth=2
	s_or_b32 exec_lo, exec_lo, s11
	v_lshrrev_b32_e32 v103, 20, v103
	s_delay_alu instid0(VALU_DEP_2) | instskip(SKIP_2) | instid1(VALU_DEP_2)
	v_cmp_gt_i32_e32 vcc_lo, 16, v101
	v_min_i32_e32 v112, 15, v101
	v_lshrrev_b32_e32 v102, 24, v102
	v_dual_cndmask_b32 v103, 7, v103 :: v_dual_lshlrev_b32 v112, 3, v112
	s_delay_alu instid0(VALU_DEP_2) | instskip(NEXT) | instid1(VALU_DEP_2)
	v_and_b32_e32 v102, 0x80, v102
	v_or_b32_e32 v101, v101, v103
	v_and_b32_e32 v113, 7, v103
	s_delay_alu instid0(VALU_DEP_2) | instskip(SKIP_1) | instid1(VALU_DEP_1)
	v_cmp_ne_u32_e32 vcc_lo, 0, v101
	v_and_b32_e32 v112, 0xf8, v112
	v_or3_b32 v102, v112, v102, v113
	s_delay_alu instid0(VALU_DEP_1)
	v_cndmask_b32_e32 v101, 0, v102, vcc_lo
.LBB4_6947:                             ;   in Loop: Header=BB4_6855 Depth=2
	s_or_b32 exec_lo, exec_lo, s26
.LBB4_6948:                             ;   in Loop: Header=BB4_6855 Depth=2
	s_delay_alu instid0(SALU_CYCLE_1) | instskip(SKIP_3) | instid1(VALU_DEP_1)
	s_or_b32 exec_lo, exec_lo, s25
	v_lshrrev_b32_e32 v102, 24, v11
	s_mov_b32 s11, 0
	s_mov_b32 s26, exec_lo
                                        ; implicit-def: $sgpr25
	v_cmpx_lt_i16_e32 0x7f, v102
	s_xor_b32 s26, exec_lo, s26
	s_cbranch_execnz .LBB4_7082
; %bb.6949:                             ;   in Loop: Header=BB4_6855 Depth=2
	s_or_saveexec_b32 s26, s26
	v_mov_b32_e32 v103, s25
	s_xor_b32 exec_lo, exec_lo, s26
	s_cbranch_execnz .LBB4_7085
.LBB4_6950:                             ;   in Loop: Header=BB4_6855 Depth=2
	s_or_b32 exec_lo, exec_lo, s26
	s_and_saveexec_b32 s25, s11
	s_cbranch_execz .LBB4_6952
.LBB4_6951:                             ;   in Loop: Header=BB4_6855 Depth=2
	v_bfe_u32 v103, v11, 24, 3
	s_delay_alu instid0(VALU_DEP_1) | instskip(NEXT) | instid1(VALU_DEP_1)
	v_clz_i32_u32_e32 v112, v103
	v_min_u32_e32 v112, 32, v112
	s_delay_alu instid0(VALU_DEP_1) | instskip(SKIP_1) | instid1(VALU_DEP_2)
	v_subrev_nc_u32_e32 v113, 28, v112
	v_sub_nc_u32_e32 v112, 29, v112
	v_lshlrev_b32_e32 v102, v113, v102
	v_bfe_u32 v113, v11, 27, 4
	v_and_b32_e32 v11, 0x80000000, v11
	s_delay_alu instid0(VALU_DEP_3) | instskip(NEXT) | instid1(VALU_DEP_3)
	v_and_b32_e32 v102, 7, v102
	v_cmp_eq_u32_e32 vcc_lo, 0, v113
	v_cndmask_b32_e32 v112, v113, v112, vcc_lo
	s_delay_alu instid0(VALU_DEP_3) | instskip(NEXT) | instid1(VALU_DEP_2)
	v_cndmask_b32_e32 v102, v103, v102, vcc_lo
	v_lshl_add_u32 v103, v112, 23, 0x3b800000
	s_delay_alu instid0(VALU_DEP_2) | instskip(NEXT) | instid1(VALU_DEP_1)
	v_lshlrev_b32_e32 v102, 20, v102
	v_or3_b32 v103, v11, v103, v102
.LBB4_6952:                             ;   in Loop: Header=BB4_6855 Depth=2
	s_or_b32 exec_lo, exec_lo, s25
	s_delay_alu instid0(VALU_DEP_1) | instskip(NEXT) | instid1(VALU_DEP_1)
	v_mul_f32_e32 v102, s24, v103
	v_and_b32_e32 v11, 0x7f800000, v102
	s_delay_alu instid0(VALU_DEP_1)
	v_cmp_ne_u32_e32 vcc_lo, 0x7f800000, v11
	v_mov_b32_e32 v11, 0x8000
	s_and_saveexec_b32 s25, vcc_lo
	s_cbranch_execz .LBB4_6960
; %bb.6953:                             ;   in Loop: Header=BB4_6855 Depth=2
	v_mov_b32_e32 v11, 0
	s_mov_b32 s26, exec_lo
	v_cmpx_ne_u32_e32 0, v102
	s_cbranch_execz .LBB4_6959
; %bb.6954:                             ;   in Loop: Header=BB4_6855 Depth=2
	v_bfe_u32 v11, v102, 23, 8
	s_delay_alu instid0(VALU_DEP_1) | instskip(SKIP_1) | instid1(VALU_DEP_2)
	v_sub_nc_u32_e32 v112, 0x78, v11
	v_cmp_gt_u32_e32 vcc_lo, 0x79, v11
	v_dual_cndmask_b32 v112, 0, v112 :: v_dual_and_b32 v103, 0x7fffff, v102
	s_delay_alu instid0(VALU_DEP_1) | instskip(SKIP_2) | instid1(VALU_DEP_4)
	v_or_b32_e32 v113, 0x800000, v103
	v_cmp_eq_u32_e32 vcc_lo, 0, v11
	v_add_nc_u32_e32 v11, 0xffffff89, v11
	v_cndmask_b32_e64 v112, v112, 0x77, vcc_lo
	s_delay_alu instid0(VALU_DEP_4) | instskip(NEXT) | instid1(VALU_DEP_3)
	v_cndmask_b32_e32 v103, v113, v103, vcc_lo
	v_cndmask_b32_e64 v11, v11, 0xffffff8a, vcc_lo
	s_delay_alu instid0(VALU_DEP_3) | instskip(NEXT) | instid1(VALU_DEP_3)
	v_lshl_add_u32 v113, 0x100000, v112, -1
	v_lshrrev_b32_e32 v114, v112, v103
	v_lshlrev_b32_e64 v116, v112, 0x80000
	s_delay_alu instid0(VALU_DEP_4) | instskip(NEXT) | instid1(VALU_DEP_4)
	v_add_nc_u32_e32 v112, v112, v11
	v_and_b32_e32 v103, v113, v103
	s_delay_alu instid0(VALU_DEP_4) | instskip(NEXT) | instid1(VALU_DEP_2)
	v_bfe_u32 v115, v114, 20, 1
	v_cmp_eq_u32_e64 s11, v103, v116
	s_delay_alu instid0(VALU_DEP_2) | instskip(NEXT) | instid1(VALU_DEP_1)
	v_add_nc_u32_e32 v113, -1, v115
	v_cndmask_b32_e64 v103, 0, v113, s11
	v_lshrrev_b32_e32 v113, 23, v114
	s_mov_b32 s11, exec_lo
	s_delay_alu instid0(VALU_DEP_2) | instskip(NEXT) | instid1(VALU_DEP_2)
	v_add_nc_u32_e32 v103, v103, v114
	v_xor_b32_e32 v113, 1, v113
	s_delay_alu instid0(VALU_DEP_2) | instskip(NEXT) | instid1(VALU_DEP_1)
	v_and_b32_e32 v11, 0xfffff, v103
	v_add_nc_u32_e32 v103, v11, v114
                                        ; implicit-def: $vgpr11
	s_delay_alu instid0(VALU_DEP_3)
	v_cmpx_ne_u32_e64 v112, v113
	s_xor_b32 s11, exec_lo, s11
; %bb.6955:                             ;   in Loop: Header=BB4_6855 Depth=2
	s_delay_alu instid0(VALU_DEP_2) | instskip(SKIP_2) | instid1(VALU_DEP_2)
	v_cmp_lt_u32_e32 vcc_lo, 0xffffff, v103
	v_sub_nc_u32_e32 v11, v112, v113
	v_cndmask_b32_e64 v112, 0, 1, vcc_lo
	v_add_co_ci_u32_e32 v11, vcc_lo, 0, v11, vcc_lo
	s_delay_alu instid0(VALU_DEP_2)
	v_lshrrev_b32_e32 v103, v112, v103
; %bb.6956:                             ;   in Loop: Header=BB4_6855 Depth=2
	s_and_not1_saveexec_b32 s11, s11
; %bb.6957:                             ;   in Loop: Header=BB4_6855 Depth=2
	s_delay_alu instid0(VALU_DEP_1)
	v_bfe_u32 v11, v103, 23, 1
; %bb.6958:                             ;   in Loop: Header=BB4_6855 Depth=2
	s_or_b32 exec_lo, exec_lo, s11
	v_lshrrev_b32_e32 v103, 20, v103
	s_delay_alu instid0(VALU_DEP_2) | instskip(SKIP_2) | instid1(VALU_DEP_2)
	v_cmp_gt_i32_e32 vcc_lo, 16, v11
	v_min_i32_e32 v112, 15, v11
	v_lshrrev_b32_e32 v102, 24, v102
	v_dual_cndmask_b32 v103, 7, v103 :: v_dual_lshlrev_b32 v112, 3, v112
	s_delay_alu instid0(VALU_DEP_2) | instskip(NEXT) | instid1(VALU_DEP_2)
	v_and_b32_e32 v102, 0x80, v102
	v_or_b32_e32 v11, v11, v103
	v_and_b32_e32 v113, 7, v103
	s_delay_alu instid0(VALU_DEP_2) | instskip(SKIP_1) | instid1(VALU_DEP_1)
	v_cmp_ne_u32_e32 vcc_lo, 0, v11
	v_and_b32_e32 v112, 0xf8, v112
	v_or3_b32 v102, v102, v112, v113
	s_delay_alu instid0(VALU_DEP_1) | instskip(NEXT) | instid1(VALU_DEP_1)
	v_lshlrev_b32_e32 v102, 8, v102
	v_cndmask_b32_e32 v11, 0, v102, vcc_lo
.LBB4_6959:                             ;   in Loop: Header=BB4_6855 Depth=2
	s_or_b32 exec_lo, exec_lo, s26
.LBB4_6960:                             ;   in Loop: Header=BB4_6855 Depth=2
	s_delay_alu instid0(SALU_CYCLE_1) | instskip(SKIP_3) | instid1(VALU_DEP_1)
	s_or_b32 exec_lo, exec_lo, s25
	v_and_b32_e32 v103, 0xff, v12
	s_mov_b32 s11, 0
	s_mov_b32 s26, exec_lo
                                        ; implicit-def: $sgpr25
	v_cmpx_lt_i16_e32 0x7f, v103
	s_xor_b32 s26, exec_lo, s26
	s_cbranch_execnz .LBB4_7086
; %bb.6961:                             ;   in Loop: Header=BB4_6855 Depth=2
	s_or_saveexec_b32 s26, s26
	v_mov_b32_e32 v102, s25
	s_xor_b32 exec_lo, exec_lo, s26
	s_cbranch_execnz .LBB4_7089
.LBB4_6962:                             ;   in Loop: Header=BB4_6855 Depth=2
	s_or_b32 exec_lo, exec_lo, s26
	s_and_saveexec_b32 s25, s11
	s_cbranch_execz .LBB4_6964
.LBB4_6963:                             ;   in Loop: Header=BB4_6855 Depth=2
	v_bfe_u32 v113, v12, 3, 4
	v_lshlrev_b32_e32 v114, 24, v12
	s_delay_alu instid0(VALU_DEP_2) | instskip(SKIP_1) | instid1(VALU_DEP_1)
	v_cmp_eq_u32_e32 vcc_lo, 0, v113
	v_and_b32_e32 v102, 7, v12
	v_clz_i32_u32_e32 v103, v102
	s_delay_alu instid0(VALU_DEP_1) | instskip(NEXT) | instid1(VALU_DEP_1)
	v_min_u32_e32 v103, 32, v103
	v_subrev_nc_u32_e32 v112, 28, v103
	v_sub_nc_u32_e32 v103, 29, v103
	s_delay_alu instid0(VALU_DEP_1) | instskip(NEXT) | instid1(VALU_DEP_1)
	v_dual_cndmask_b32 v103, v113, v103 :: v_dual_lshlrev_b32 v112, v112, v12
	v_and_b32_e32 v112, 7, v112
	s_delay_alu instid0(VALU_DEP_2) | instskip(NEXT) | instid1(VALU_DEP_2)
	v_lshl_add_u32 v103, v103, 23, 0x3b800000
	v_cndmask_b32_e32 v102, v102, v112, vcc_lo
	v_and_b32_e32 v112, 0x80000000, v114
	s_delay_alu instid0(VALU_DEP_2) | instskip(NEXT) | instid1(VALU_DEP_1)
	v_lshlrev_b32_e32 v102, 20, v102
	v_or3_b32 v102, v112, v103, v102
.LBB4_6964:                             ;   in Loop: Header=BB4_6855 Depth=2
	s_or_b32 exec_lo, exec_lo, s25
	s_delay_alu instid0(VALU_DEP_1) | instskip(NEXT) | instid1(VALU_DEP_1)
	v_mul_f32_e32 v103, s24, v102
	v_and_b32_e32 v102, 0x7f800000, v103
	s_delay_alu instid0(VALU_DEP_1)
	v_cmp_ne_u32_e32 vcc_lo, 0x7f800000, v102
	v_mov_b32_e32 v102, 0x80
	s_and_saveexec_b32 s25, vcc_lo
	s_cbranch_execz .LBB4_6972
; %bb.6965:                             ;   in Loop: Header=BB4_6855 Depth=2
	v_mov_b32_e32 v102, 0
	s_mov_b32 s26, exec_lo
	v_cmpx_ne_u32_e32 0, v103
	s_cbranch_execz .LBB4_6971
; %bb.6966:                             ;   in Loop: Header=BB4_6855 Depth=2
	v_bfe_u32 v102, v103, 23, 8
	s_delay_alu instid0(VALU_DEP_1) | instskip(SKIP_1) | instid1(VALU_DEP_2)
	v_sub_nc_u32_e32 v113, 0x78, v102
	v_cmp_gt_u32_e32 vcc_lo, 0x79, v102
	v_dual_cndmask_b32 v113, 0, v113 :: v_dual_and_b32 v112, 0x7fffff, v103
	s_delay_alu instid0(VALU_DEP_1) | instskip(SKIP_2) | instid1(VALU_DEP_4)
	v_or_b32_e32 v114, 0x800000, v112
	v_cmp_eq_u32_e32 vcc_lo, 0, v102
	v_add_nc_u32_e32 v102, 0xffffff89, v102
	v_cndmask_b32_e64 v113, v113, 0x77, vcc_lo
	s_delay_alu instid0(VALU_DEP_2) | instskip(SKIP_1) | instid1(VALU_DEP_3)
	v_cndmask_b32_e64 v102, v102, 0xffffff8a, vcc_lo
	v_cndmask_b32_e32 v112, v114, v112, vcc_lo
	v_lshl_add_u32 v114, 0x100000, v113, -1
	v_lshlrev_b32_e64 v117, v113, 0x80000
	s_delay_alu instid0(VALU_DEP_3) | instskip(SKIP_1) | instid1(VALU_DEP_4)
	v_lshrrev_b32_e32 v115, v113, v112
	v_add_nc_u32_e32 v113, v113, v102
	v_and_b32_e32 v112, v114, v112
	s_delay_alu instid0(VALU_DEP_3) | instskip(NEXT) | instid1(VALU_DEP_2)
	v_bfe_u32 v116, v115, 20, 1
	v_cmp_eq_u32_e64 s11, v112, v117
	s_delay_alu instid0(VALU_DEP_2) | instskip(NEXT) | instid1(VALU_DEP_1)
	v_add_nc_u32_e32 v114, -1, v116
	v_cndmask_b32_e64 v112, 0, v114, s11
	v_lshrrev_b32_e32 v114, 23, v115
	s_mov_b32 s11, exec_lo
	s_delay_alu instid0(VALU_DEP_2) | instskip(NEXT) | instid1(VALU_DEP_2)
	v_add_nc_u32_e32 v112, v112, v115
	v_xor_b32_e32 v114, 1, v114
	s_delay_alu instid0(VALU_DEP_2) | instskip(NEXT) | instid1(VALU_DEP_1)
	v_and_b32_e32 v102, 0xfffff, v112
	v_add_nc_u32_e32 v112, v102, v115
                                        ; implicit-def: $vgpr102
	s_delay_alu instid0(VALU_DEP_3)
	v_cmpx_ne_u32_e64 v113, v114
	s_xor_b32 s11, exec_lo, s11
; %bb.6967:                             ;   in Loop: Header=BB4_6855 Depth=2
	s_delay_alu instid0(VALU_DEP_2) | instskip(SKIP_2) | instid1(VALU_DEP_2)
	v_cmp_lt_u32_e32 vcc_lo, 0xffffff, v112
	v_sub_nc_u32_e32 v102, v113, v114
	v_cndmask_b32_e64 v113, 0, 1, vcc_lo
	v_add_co_ci_u32_e32 v102, vcc_lo, 0, v102, vcc_lo
	s_delay_alu instid0(VALU_DEP_2)
	v_lshrrev_b32_e32 v112, v113, v112
; %bb.6968:                             ;   in Loop: Header=BB4_6855 Depth=2
	s_and_not1_saveexec_b32 s11, s11
; %bb.6969:                             ;   in Loop: Header=BB4_6855 Depth=2
	s_delay_alu instid0(VALU_DEP_1)
	v_bfe_u32 v102, v112, 23, 1
; %bb.6970:                             ;   in Loop: Header=BB4_6855 Depth=2
	s_or_b32 exec_lo, exec_lo, s11
	v_lshrrev_b32_e32 v112, 20, v112
	s_delay_alu instid0(VALU_DEP_2) | instskip(SKIP_2) | instid1(VALU_DEP_2)
	v_cmp_gt_i32_e32 vcc_lo, 16, v102
	v_lshrrev_b32_e32 v103, 24, v103
	v_min_i32_e32 v113, 15, v102
	v_dual_cndmask_b32 v112, 7, v112 :: v_dual_and_b32 v103, 0x80, v103
	s_delay_alu instid0(VALU_DEP_1) | instskip(SKIP_1) | instid1(VALU_DEP_2)
	v_or_b32_e32 v102, v102, v112
	v_and_b32_e32 v114, 7, v112
	v_cmp_ne_u32_e32 vcc_lo, 0, v102
	v_lshlrev_b32_e32 v113, 3, v113
	s_delay_alu instid0(VALU_DEP_1) | instskip(NEXT) | instid1(VALU_DEP_1)
	v_or3_b32 v103, v113, v103, v114
	v_cndmask_b32_e32 v102, 0, v103, vcc_lo
.LBB4_6971:                             ;   in Loop: Header=BB4_6855 Depth=2
	s_or_b32 exec_lo, exec_lo, s26
.LBB4_6972:                             ;   in Loop: Header=BB4_6855 Depth=2
	s_delay_alu instid0(SALU_CYCLE_1) | instskip(SKIP_3) | instid1(VALU_DEP_1)
	s_or_b32 exec_lo, exec_lo, s25
	v_lshrrev_b16 v103, 8, v12
	s_mov_b32 s11, 0
	s_mov_b32 s26, exec_lo
                                        ; implicit-def: $sgpr25
	v_cmpx_lt_i16_e32 0x7f, v103
	s_xor_b32 s26, exec_lo, s26
	s_cbranch_execnz .LBB4_7090
; %bb.6973:                             ;   in Loop: Header=BB4_6855 Depth=2
	s_or_saveexec_b32 s26, s26
	v_mov_b32_e32 v112, s25
	s_xor_b32 exec_lo, exec_lo, s26
	s_cbranch_execnz .LBB4_7093
.LBB4_6974:                             ;   in Loop: Header=BB4_6855 Depth=2
	s_or_b32 exec_lo, exec_lo, s26
	s_and_saveexec_b32 s25, s11
	s_cbranch_execz .LBB4_6976
.LBB4_6975:                             ;   in Loop: Header=BB4_6855 Depth=2
	v_and_b32_e32 v112, 0xffff, v103
	v_lshlrev_b32_e32 v103, 24, v103
	s_delay_alu instid0(VALU_DEP_2) | instskip(NEXT) | instid1(VALU_DEP_2)
	v_and_b32_e32 v113, 7, v112
	v_and_b32_e32 v103, 0x80000000, v103
	s_delay_alu instid0(VALU_DEP_2) | instskip(NEXT) | instid1(VALU_DEP_1)
	v_clz_i32_u32_e32 v114, v113
	v_min_u32_e32 v114, 32, v114
	s_delay_alu instid0(VALU_DEP_1) | instskip(SKIP_1) | instid1(VALU_DEP_2)
	v_subrev_nc_u32_e32 v115, 28, v114
	v_sub_nc_u32_e32 v114, 29, v114
	v_lshlrev_b32_e32 v115, v115, v112
	v_bfe_u32 v112, v112, 3, 4
	s_delay_alu instid0(VALU_DEP_2) | instskip(NEXT) | instid1(VALU_DEP_2)
	v_and_b32_e32 v115, 7, v115
	v_cmp_eq_u32_e32 vcc_lo, 0, v112
	s_delay_alu instid0(VALU_DEP_2) | instskip(NEXT) | instid1(VALU_DEP_1)
	v_dual_cndmask_b32 v112, v112, v114 :: v_dual_cndmask_b32 v113, v113, v115
	v_lshl_add_u32 v112, v112, 23, 0x3b800000
	s_delay_alu instid0(VALU_DEP_2) | instskip(NEXT) | instid1(VALU_DEP_1)
	v_lshlrev_b32_e32 v113, 20, v113
	v_or3_b32 v112, v103, v112, v113
.LBB4_6976:                             ;   in Loop: Header=BB4_6855 Depth=2
	s_or_b32 exec_lo, exec_lo, s25
	s_delay_alu instid0(VALU_DEP_1) | instskip(NEXT) | instid1(VALU_DEP_1)
	v_mul_f32_e32 v112, s24, v112
	v_and_b32_e32 v103, 0x7f800000, v112
	s_delay_alu instid0(VALU_DEP_1)
	v_cmp_ne_u32_e32 vcc_lo, 0x7f800000, v103
	v_mov_b32_e32 v103, 0x80
	s_and_saveexec_b32 s25, vcc_lo
	s_cbranch_execz .LBB4_6984
; %bb.6977:                             ;   in Loop: Header=BB4_6855 Depth=2
	v_mov_b32_e32 v103, 0
	s_mov_b32 s26, exec_lo
	v_cmpx_ne_u32_e32 0, v112
	s_cbranch_execz .LBB4_6983
; %bb.6978:                             ;   in Loop: Header=BB4_6855 Depth=2
	v_bfe_u32 v103, v112, 23, 8
	s_delay_alu instid0(VALU_DEP_1) | instskip(SKIP_1) | instid1(VALU_DEP_2)
	v_sub_nc_u32_e32 v114, 0x78, v103
	v_cmp_gt_u32_e32 vcc_lo, 0x79, v103
	v_dual_cndmask_b32 v114, 0, v114 :: v_dual_and_b32 v113, 0x7fffff, v112
	s_delay_alu instid0(VALU_DEP_1) | instskip(SKIP_2) | instid1(VALU_DEP_4)
	v_or_b32_e32 v115, 0x800000, v113
	v_cmp_eq_u32_e32 vcc_lo, 0, v103
	v_add_nc_u32_e32 v103, 0xffffff89, v103
	v_cndmask_b32_e64 v114, v114, 0x77, vcc_lo
	s_delay_alu instid0(VALU_DEP_2) | instskip(SKIP_1) | instid1(VALU_DEP_3)
	v_cndmask_b32_e64 v103, v103, 0xffffff8a, vcc_lo
	v_cndmask_b32_e32 v113, v115, v113, vcc_lo
	v_lshl_add_u32 v115, 0x100000, v114, -1
	v_lshlrev_b32_e64 v118, v114, 0x80000
	s_delay_alu instid0(VALU_DEP_3) | instskip(SKIP_1) | instid1(VALU_DEP_4)
	v_lshrrev_b32_e32 v116, v114, v113
	v_add_nc_u32_e32 v114, v114, v103
	v_and_b32_e32 v113, v115, v113
	s_delay_alu instid0(VALU_DEP_3) | instskip(NEXT) | instid1(VALU_DEP_2)
	v_bfe_u32 v117, v116, 20, 1
	v_cmp_eq_u32_e64 s11, v113, v118
	s_delay_alu instid0(VALU_DEP_2) | instskip(NEXT) | instid1(VALU_DEP_1)
	v_add_nc_u32_e32 v115, -1, v117
	v_cndmask_b32_e64 v113, 0, v115, s11
	v_lshrrev_b32_e32 v115, 23, v116
	s_mov_b32 s11, exec_lo
	s_delay_alu instid0(VALU_DEP_2) | instskip(NEXT) | instid1(VALU_DEP_2)
	v_add_nc_u32_e32 v113, v113, v116
	v_xor_b32_e32 v115, 1, v115
	s_delay_alu instid0(VALU_DEP_2) | instskip(NEXT) | instid1(VALU_DEP_1)
	v_and_b32_e32 v103, 0xfffff, v113
	v_add_nc_u32_e32 v113, v103, v116
                                        ; implicit-def: $vgpr103
	s_delay_alu instid0(VALU_DEP_3)
	v_cmpx_ne_u32_e64 v114, v115
	s_xor_b32 s11, exec_lo, s11
; %bb.6979:                             ;   in Loop: Header=BB4_6855 Depth=2
	s_delay_alu instid0(VALU_DEP_2) | instskip(SKIP_2) | instid1(VALU_DEP_2)
	v_cmp_lt_u32_e32 vcc_lo, 0xffffff, v113
	v_sub_nc_u32_e32 v103, v114, v115
	v_cndmask_b32_e64 v114, 0, 1, vcc_lo
	v_add_co_ci_u32_e32 v103, vcc_lo, 0, v103, vcc_lo
	s_delay_alu instid0(VALU_DEP_2)
	v_lshrrev_b32_e32 v113, v114, v113
; %bb.6980:                             ;   in Loop: Header=BB4_6855 Depth=2
	s_and_not1_saveexec_b32 s11, s11
; %bb.6981:                             ;   in Loop: Header=BB4_6855 Depth=2
	s_delay_alu instid0(VALU_DEP_1)
	v_bfe_u32 v103, v113, 23, 1
; %bb.6982:                             ;   in Loop: Header=BB4_6855 Depth=2
	s_or_b32 exec_lo, exec_lo, s11
	v_lshrrev_b32_e32 v113, 20, v113
	s_delay_alu instid0(VALU_DEP_2) | instskip(SKIP_2) | instid1(VALU_DEP_2)
	v_cmp_gt_i32_e32 vcc_lo, 16, v103
	v_lshrrev_b32_e32 v112, 24, v112
	v_min_i32_e32 v114, 15, v103
	v_dual_cndmask_b32 v113, 7, v113 :: v_dual_and_b32 v112, 0x80, v112
	s_delay_alu instid0(VALU_DEP_1) | instskip(SKIP_1) | instid1(VALU_DEP_2)
	v_or_b32_e32 v103, v103, v113
	v_and_b32_e32 v115, 7, v113
	v_cmp_ne_u32_e32 vcc_lo, 0, v103
	v_lshlrev_b32_e32 v114, 3, v114
	s_delay_alu instid0(VALU_DEP_1) | instskip(NEXT) | instid1(VALU_DEP_1)
	v_or3_b32 v112, v114, v112, v115
	v_cndmask_b32_e32 v103, 0, v112, vcc_lo
.LBB4_6983:                             ;   in Loop: Header=BB4_6855 Depth=2
	s_or_b32 exec_lo, exec_lo, s26
.LBB4_6984:                             ;   in Loop: Header=BB4_6855 Depth=2
	s_delay_alu instid0(SALU_CYCLE_1) | instskip(SKIP_3) | instid1(VALU_DEP_1)
	s_or_b32 exec_lo, exec_lo, s25
	v_lshrrev_b32_e32 v112, 16, v12
	s_mov_b32 s11, 0
	s_mov_b32 s26, exec_lo
                                        ; implicit-def: $sgpr25
	v_and_b32_e32 v114, 0xff, v112
	s_delay_alu instid0(VALU_DEP_1)
	v_cmpx_lt_i16_e32 0x7f, v114
	s_xor_b32 s26, exec_lo, s26
	s_cbranch_execnz .LBB4_7094
; %bb.6985:                             ;   in Loop: Header=BB4_6855 Depth=2
	s_or_saveexec_b32 s26, s26
	v_mov_b32_e32 v113, s25
	s_xor_b32 exec_lo, exec_lo, s26
	s_cbranch_execnz .LBB4_7097
.LBB4_6986:                             ;   in Loop: Header=BB4_6855 Depth=2
	s_or_b32 exec_lo, exec_lo, s26
	s_and_saveexec_b32 s25, s11
	s_cbranch_execz .LBB4_6988
.LBB4_6987:                             ;   in Loop: Header=BB4_6855 Depth=2
	v_bfe_u32 v113, v12, 16, 3
	v_lshlrev_b32_e32 v116, 8, v12
	s_delay_alu instid0(VALU_DEP_2) | instskip(NEXT) | instid1(VALU_DEP_1)
	v_clz_i32_u32_e32 v114, v113
	v_min_u32_e32 v114, 32, v114
	s_delay_alu instid0(VALU_DEP_1) | instskip(SKIP_1) | instid1(VALU_DEP_2)
	v_subrev_nc_u32_e32 v115, 28, v114
	v_sub_nc_u32_e32 v114, 29, v114
	v_lshlrev_b32_e32 v112, v115, v112
	v_bfe_u32 v115, v12, 19, 4
	s_delay_alu instid0(VALU_DEP_2) | instskip(NEXT) | instid1(VALU_DEP_2)
	v_and_b32_e32 v112, 7, v112
	v_cmp_eq_u32_e32 vcc_lo, 0, v115
	v_cndmask_b32_e32 v114, v115, v114, vcc_lo
	s_delay_alu instid0(VALU_DEP_3) | instskip(SKIP_1) | instid1(VALU_DEP_3)
	v_cndmask_b32_e32 v112, v113, v112, vcc_lo
	v_and_b32_e32 v113, 0x80000000, v116
	v_lshl_add_u32 v114, v114, 23, 0x3b800000
	s_delay_alu instid0(VALU_DEP_3) | instskip(NEXT) | instid1(VALU_DEP_1)
	v_lshlrev_b32_e32 v112, 20, v112
	v_or3_b32 v113, v113, v114, v112
.LBB4_6988:                             ;   in Loop: Header=BB4_6855 Depth=2
	s_or_b32 exec_lo, exec_lo, s25
	s_delay_alu instid0(VALU_DEP_1) | instskip(NEXT) | instid1(VALU_DEP_1)
	v_mul_f32_e32 v113, s24, v113
	v_and_b32_e32 v112, 0x7f800000, v113
	s_delay_alu instid0(VALU_DEP_1)
	v_cmp_ne_u32_e32 vcc_lo, 0x7f800000, v112
	v_mov_b32_e32 v112, 0x80
	s_and_saveexec_b32 s25, vcc_lo
	s_cbranch_execz .LBB4_6996
; %bb.6989:                             ;   in Loop: Header=BB4_6855 Depth=2
	v_mov_b32_e32 v112, 0
	s_mov_b32 s26, exec_lo
	v_cmpx_ne_u32_e32 0, v113
	s_cbranch_execz .LBB4_6995
; %bb.6990:                             ;   in Loop: Header=BB4_6855 Depth=2
	v_bfe_u32 v112, v113, 23, 8
	s_delay_alu instid0(VALU_DEP_1) | instskip(SKIP_1) | instid1(VALU_DEP_2)
	v_sub_nc_u32_e32 v115, 0x78, v112
	v_cmp_gt_u32_e32 vcc_lo, 0x79, v112
	v_dual_cndmask_b32 v115, 0, v115 :: v_dual_and_b32 v114, 0x7fffff, v113
	s_delay_alu instid0(VALU_DEP_1) | instskip(SKIP_2) | instid1(VALU_DEP_4)
	v_or_b32_e32 v116, 0x800000, v114
	v_cmp_eq_u32_e32 vcc_lo, 0, v112
	v_add_nc_u32_e32 v112, 0xffffff89, v112
	v_cndmask_b32_e64 v115, v115, 0x77, vcc_lo
	s_delay_alu instid0(VALU_DEP_2) | instskip(SKIP_1) | instid1(VALU_DEP_3)
	v_cndmask_b32_e64 v112, v112, 0xffffff8a, vcc_lo
	v_cndmask_b32_e32 v114, v116, v114, vcc_lo
	v_lshl_add_u32 v116, 0x100000, v115, -1
	v_lshlrev_b32_e64 v119, v115, 0x80000
	s_delay_alu instid0(VALU_DEP_3) | instskip(SKIP_1) | instid1(VALU_DEP_4)
	v_lshrrev_b32_e32 v117, v115, v114
	v_add_nc_u32_e32 v115, v115, v112
	v_and_b32_e32 v114, v116, v114
	s_delay_alu instid0(VALU_DEP_3) | instskip(NEXT) | instid1(VALU_DEP_2)
	v_bfe_u32 v118, v117, 20, 1
	v_cmp_eq_u32_e64 s11, v114, v119
	s_delay_alu instid0(VALU_DEP_2) | instskip(NEXT) | instid1(VALU_DEP_1)
	v_add_nc_u32_e32 v116, -1, v118
	v_cndmask_b32_e64 v114, 0, v116, s11
	v_lshrrev_b32_e32 v116, 23, v117
	s_mov_b32 s11, exec_lo
	s_delay_alu instid0(VALU_DEP_2) | instskip(NEXT) | instid1(VALU_DEP_2)
	v_add_nc_u32_e32 v114, v114, v117
	v_xor_b32_e32 v116, 1, v116
	s_delay_alu instid0(VALU_DEP_2) | instskip(NEXT) | instid1(VALU_DEP_1)
	v_and_b32_e32 v112, 0xfffff, v114
	v_add_nc_u32_e32 v114, v112, v117
                                        ; implicit-def: $vgpr112
	s_delay_alu instid0(VALU_DEP_3)
	v_cmpx_ne_u32_e64 v115, v116
	s_xor_b32 s11, exec_lo, s11
; %bb.6991:                             ;   in Loop: Header=BB4_6855 Depth=2
	s_delay_alu instid0(VALU_DEP_2) | instskip(SKIP_2) | instid1(VALU_DEP_2)
	v_cmp_lt_u32_e32 vcc_lo, 0xffffff, v114
	v_sub_nc_u32_e32 v112, v115, v116
	v_cndmask_b32_e64 v115, 0, 1, vcc_lo
	v_add_co_ci_u32_e32 v112, vcc_lo, 0, v112, vcc_lo
	s_delay_alu instid0(VALU_DEP_2)
	v_lshrrev_b32_e32 v114, v115, v114
; %bb.6992:                             ;   in Loop: Header=BB4_6855 Depth=2
	s_and_not1_saveexec_b32 s11, s11
; %bb.6993:                             ;   in Loop: Header=BB4_6855 Depth=2
	s_delay_alu instid0(VALU_DEP_1)
	v_bfe_u32 v112, v114, 23, 1
; %bb.6994:                             ;   in Loop: Header=BB4_6855 Depth=2
	s_or_b32 exec_lo, exec_lo, s11
	v_lshrrev_b32_e32 v114, 20, v114
	s_delay_alu instid0(VALU_DEP_2) | instskip(SKIP_2) | instid1(VALU_DEP_2)
	v_cmp_gt_i32_e32 vcc_lo, 16, v112
	v_lshrrev_b32_e32 v113, 24, v113
	v_min_i32_e32 v115, 15, v112
	v_dual_cndmask_b32 v114, 7, v114 :: v_dual_and_b32 v113, 0x80, v113
	s_delay_alu instid0(VALU_DEP_1) | instskip(SKIP_1) | instid1(VALU_DEP_2)
	v_or_b32_e32 v112, v112, v114
	v_and_b32_e32 v116, 7, v114
	v_cmp_ne_u32_e32 vcc_lo, 0, v112
	v_lshlrev_b32_e32 v115, 3, v115
	s_delay_alu instid0(VALU_DEP_1) | instskip(NEXT) | instid1(VALU_DEP_1)
	v_or3_b32 v113, v115, v113, v116
	v_cndmask_b32_e32 v112, 0, v113, vcc_lo
.LBB4_6995:                             ;   in Loop: Header=BB4_6855 Depth=2
	s_or_b32 exec_lo, exec_lo, s26
.LBB4_6996:                             ;   in Loop: Header=BB4_6855 Depth=2
	s_delay_alu instid0(SALU_CYCLE_1) | instskip(SKIP_3) | instid1(VALU_DEP_1)
	s_or_b32 exec_lo, exec_lo, s25
	v_lshrrev_b32_e32 v113, 24, v12
	s_mov_b32 s11, 0
	s_mov_b32 s26, exec_lo
                                        ; implicit-def: $sgpr25
	v_cmpx_lt_i16_e32 0x7f, v113
	s_xor_b32 s26, exec_lo, s26
	s_cbranch_execnz .LBB4_7098
; %bb.6997:                             ;   in Loop: Header=BB4_6855 Depth=2
	s_or_saveexec_b32 s26, s26
	v_mov_b32_e32 v114, s25
	s_xor_b32 exec_lo, exec_lo, s26
	s_cbranch_execnz .LBB4_7101
.LBB4_6998:                             ;   in Loop: Header=BB4_6855 Depth=2
	s_or_b32 exec_lo, exec_lo, s26
	s_and_saveexec_b32 s25, s11
	s_cbranch_execz .LBB4_7000
.LBB4_6999:                             ;   in Loop: Header=BB4_6855 Depth=2
	v_bfe_u32 v114, v12, 24, 3
	s_delay_alu instid0(VALU_DEP_1) | instskip(NEXT) | instid1(VALU_DEP_1)
	v_clz_i32_u32_e32 v115, v114
	v_min_u32_e32 v115, 32, v115
	s_delay_alu instid0(VALU_DEP_1) | instskip(SKIP_1) | instid1(VALU_DEP_2)
	v_subrev_nc_u32_e32 v116, 28, v115
	v_sub_nc_u32_e32 v115, 29, v115
	v_lshlrev_b32_e32 v113, v116, v113
	v_bfe_u32 v116, v12, 27, 4
	v_and_b32_e32 v12, 0x80000000, v12
	s_delay_alu instid0(VALU_DEP_3) | instskip(NEXT) | instid1(VALU_DEP_3)
	v_and_b32_e32 v113, 7, v113
	v_cmp_eq_u32_e32 vcc_lo, 0, v116
	v_cndmask_b32_e32 v115, v116, v115, vcc_lo
	s_delay_alu instid0(VALU_DEP_3) | instskip(NEXT) | instid1(VALU_DEP_2)
	v_cndmask_b32_e32 v113, v114, v113, vcc_lo
	v_lshl_add_u32 v114, v115, 23, 0x3b800000
	s_delay_alu instid0(VALU_DEP_2) | instskip(NEXT) | instid1(VALU_DEP_1)
	v_lshlrev_b32_e32 v113, 20, v113
	v_or3_b32 v114, v12, v114, v113
.LBB4_7000:                             ;   in Loop: Header=BB4_6855 Depth=2
	s_or_b32 exec_lo, exec_lo, s25
	s_delay_alu instid0(VALU_DEP_1) | instskip(NEXT) | instid1(VALU_DEP_1)
	v_mul_f32_e32 v113, s24, v114
	v_and_b32_e32 v12, 0x7f800000, v113
	s_delay_alu instid0(VALU_DEP_1)
	v_cmp_ne_u32_e32 vcc_lo, 0x7f800000, v12
	v_mov_b32_e32 v12, 0x80
	s_and_saveexec_b32 s25, vcc_lo
	s_cbranch_execz .LBB4_7008
; %bb.7001:                             ;   in Loop: Header=BB4_6855 Depth=2
	v_mov_b32_e32 v12, 0
	s_mov_b32 s26, exec_lo
	v_cmpx_ne_u32_e32 0, v113
	s_cbranch_execz .LBB4_7007
; %bb.7002:                             ;   in Loop: Header=BB4_6855 Depth=2
	v_bfe_u32 v12, v113, 23, 8
	s_delay_alu instid0(VALU_DEP_1) | instskip(SKIP_1) | instid1(VALU_DEP_2)
	v_sub_nc_u32_e32 v115, 0x78, v12
	v_cmp_gt_u32_e32 vcc_lo, 0x79, v12
	v_dual_cndmask_b32 v115, 0, v115 :: v_dual_and_b32 v114, 0x7fffff, v113
	s_delay_alu instid0(VALU_DEP_1) | instskip(SKIP_2) | instid1(VALU_DEP_4)
	v_or_b32_e32 v116, 0x800000, v114
	v_cmp_eq_u32_e32 vcc_lo, 0, v12
	v_add_nc_u32_e32 v12, 0xffffff89, v12
	v_cndmask_b32_e64 v115, v115, 0x77, vcc_lo
	s_delay_alu instid0(VALU_DEP_2) | instskip(SKIP_1) | instid1(VALU_DEP_3)
	v_cndmask_b32_e64 v12, v12, 0xffffff8a, vcc_lo
	v_cndmask_b32_e32 v114, v116, v114, vcc_lo
	v_lshl_add_u32 v116, 0x100000, v115, -1
	v_lshlrev_b32_e64 v119, v115, 0x80000
	s_delay_alu instid0(VALU_DEP_3) | instskip(SKIP_1) | instid1(VALU_DEP_4)
	v_lshrrev_b32_e32 v117, v115, v114
	v_add_nc_u32_e32 v115, v115, v12
	v_and_b32_e32 v114, v116, v114
	s_delay_alu instid0(VALU_DEP_3) | instskip(NEXT) | instid1(VALU_DEP_2)
	v_bfe_u32 v118, v117, 20, 1
	v_cmp_eq_u32_e64 s11, v114, v119
	s_delay_alu instid0(VALU_DEP_2) | instskip(NEXT) | instid1(VALU_DEP_1)
	v_add_nc_u32_e32 v116, -1, v118
	v_cndmask_b32_e64 v114, 0, v116, s11
	v_lshrrev_b32_e32 v116, 23, v117
	s_mov_b32 s11, exec_lo
	s_delay_alu instid0(VALU_DEP_2) | instskip(NEXT) | instid1(VALU_DEP_2)
	v_add_nc_u32_e32 v114, v114, v117
	v_xor_b32_e32 v116, 1, v116
	s_delay_alu instid0(VALU_DEP_2) | instskip(NEXT) | instid1(VALU_DEP_1)
	v_and_b32_e32 v12, 0xfffff, v114
	v_add_nc_u32_e32 v114, v12, v117
                                        ; implicit-def: $vgpr12
	s_delay_alu instid0(VALU_DEP_3)
	v_cmpx_ne_u32_e64 v115, v116
	s_xor_b32 s11, exec_lo, s11
; %bb.7003:                             ;   in Loop: Header=BB4_6855 Depth=2
	s_delay_alu instid0(VALU_DEP_2) | instskip(SKIP_2) | instid1(VALU_DEP_2)
	v_cmp_lt_u32_e32 vcc_lo, 0xffffff, v114
	v_sub_nc_u32_e32 v12, v115, v116
	v_cndmask_b32_e64 v115, 0, 1, vcc_lo
	v_add_co_ci_u32_e32 v12, vcc_lo, 0, v12, vcc_lo
	s_delay_alu instid0(VALU_DEP_2)
	v_lshrrev_b32_e32 v114, v115, v114
; %bb.7004:                             ;   in Loop: Header=BB4_6855 Depth=2
	s_and_not1_saveexec_b32 s11, s11
; %bb.7005:                             ;   in Loop: Header=BB4_6855 Depth=2
	s_delay_alu instid0(VALU_DEP_1)
	v_bfe_u32 v12, v114, 23, 1
; %bb.7006:                             ;   in Loop: Header=BB4_6855 Depth=2
	s_or_b32 exec_lo, exec_lo, s11
	v_lshrrev_b32_e32 v114, 20, v114
	s_delay_alu instid0(VALU_DEP_2) | instskip(SKIP_2) | instid1(VALU_DEP_2)
	v_cmp_gt_i32_e32 vcc_lo, 16, v12
	v_lshrrev_b32_e32 v113, 24, v113
	v_min_i32_e32 v115, 15, v12
	v_dual_cndmask_b32 v114, 7, v114 :: v_dual_and_b32 v113, 0x80, v113
	s_delay_alu instid0(VALU_DEP_1) | instskip(SKIP_1) | instid1(VALU_DEP_2)
	v_or_b32_e32 v12, v12, v114
	v_and_b32_e32 v116, 7, v114
	v_cmp_ne_u32_e32 vcc_lo, 0, v12
	v_lshlrev_b32_e32 v115, 3, v115
	s_delay_alu instid0(VALU_DEP_1) | instskip(NEXT) | instid1(VALU_DEP_1)
	v_or3_b32 v113, v115, v113, v116
	v_cndmask_b32_e32 v12, 0, v113, vcc_lo
.LBB4_7007:                             ;   in Loop: Header=BB4_6855 Depth=2
	s_or_b32 exec_lo, exec_lo, s26
.LBB4_7008:                             ;   in Loop: Header=BB4_6855 Depth=2
	s_delay_alu instid0(SALU_CYCLE_1) | instskip(SKIP_3) | instid1(VALU_DEP_1)
	s_or_b32 exec_lo, exec_lo, s25
	v_and_b32_e32 v114, 0xff, v13
	s_mov_b32 s11, 0
	s_mov_b32 s26, exec_lo
                                        ; implicit-def: $sgpr25
	v_cmpx_lt_i16_e32 0x7f, v114
	s_xor_b32 s26, exec_lo, s26
	s_cbranch_execnz .LBB4_7102
; %bb.7009:                             ;   in Loop: Header=BB4_6855 Depth=2
	s_or_saveexec_b32 s26, s26
	v_mov_b32_e32 v113, s25
	s_xor_b32 exec_lo, exec_lo, s26
	s_cbranch_execnz .LBB4_7105
.LBB4_7010:                             ;   in Loop: Header=BB4_6855 Depth=2
	s_or_b32 exec_lo, exec_lo, s26
	s_and_saveexec_b32 s25, s11
	s_cbranch_execz .LBB4_7012
.LBB4_7011:                             ;   in Loop: Header=BB4_6855 Depth=2
	v_bfe_u32 v116, v13, 3, 4
	v_lshlrev_b32_e32 v117, 24, v13
	s_delay_alu instid0(VALU_DEP_2) | instskip(SKIP_1) | instid1(VALU_DEP_1)
	v_cmp_eq_u32_e32 vcc_lo, 0, v116
	v_and_b32_e32 v113, 7, v13
	v_clz_i32_u32_e32 v114, v113
	s_delay_alu instid0(VALU_DEP_1) | instskip(NEXT) | instid1(VALU_DEP_1)
	v_min_u32_e32 v114, 32, v114
	v_subrev_nc_u32_e32 v115, 28, v114
	v_sub_nc_u32_e32 v114, 29, v114
	s_delay_alu instid0(VALU_DEP_1) | instskip(NEXT) | instid1(VALU_DEP_1)
	v_dual_cndmask_b32 v114, v116, v114 :: v_dual_lshlrev_b32 v115, v115, v13
	v_and_b32_e32 v115, 7, v115
	s_delay_alu instid0(VALU_DEP_2) | instskip(NEXT) | instid1(VALU_DEP_2)
	v_lshl_add_u32 v114, v114, 23, 0x3b800000
	v_cndmask_b32_e32 v113, v113, v115, vcc_lo
	v_and_b32_e32 v115, 0x80000000, v117
	s_delay_alu instid0(VALU_DEP_2) | instskip(NEXT) | instid1(VALU_DEP_1)
	v_lshlrev_b32_e32 v113, 20, v113
	v_or3_b32 v113, v115, v114, v113
.LBB4_7012:                             ;   in Loop: Header=BB4_6855 Depth=2
	s_or_b32 exec_lo, exec_lo, s25
	s_delay_alu instid0(VALU_DEP_1) | instskip(NEXT) | instid1(VALU_DEP_1)
	v_mul_f32_e32 v114, s24, v113
	v_and_b32_e32 v113, 0x7f800000, v114
	s_delay_alu instid0(VALU_DEP_1)
	v_cmp_ne_u32_e32 vcc_lo, 0x7f800000, v113
	v_mov_b32_e32 v113, 0x80
	s_and_saveexec_b32 s25, vcc_lo
	s_cbranch_execz .LBB4_7020
; %bb.7013:                             ;   in Loop: Header=BB4_6855 Depth=2
	v_mov_b32_e32 v113, 0
	s_mov_b32 s26, exec_lo
	v_cmpx_ne_u32_e32 0, v114
	s_cbranch_execz .LBB4_7019
; %bb.7014:                             ;   in Loop: Header=BB4_6855 Depth=2
	v_bfe_u32 v113, v114, 23, 8
	s_delay_alu instid0(VALU_DEP_1) | instskip(SKIP_1) | instid1(VALU_DEP_2)
	v_sub_nc_u32_e32 v116, 0x78, v113
	v_cmp_gt_u32_e32 vcc_lo, 0x79, v113
	v_dual_cndmask_b32 v116, 0, v116 :: v_dual_and_b32 v115, 0x7fffff, v114
	s_delay_alu instid0(VALU_DEP_1) | instskip(SKIP_2) | instid1(VALU_DEP_4)
	v_or_b32_e32 v117, 0x800000, v115
	v_cmp_eq_u32_e32 vcc_lo, 0, v113
	v_add_nc_u32_e32 v113, 0xffffff89, v113
	v_cndmask_b32_e64 v116, v116, 0x77, vcc_lo
	s_delay_alu instid0(VALU_DEP_2) | instskip(SKIP_1) | instid1(VALU_DEP_3)
	v_cndmask_b32_e64 v113, v113, 0xffffff8a, vcc_lo
	v_cndmask_b32_e32 v115, v117, v115, vcc_lo
	v_lshl_add_u32 v117, 0x100000, v116, -1
	v_lshlrev_b32_e64 v128, v116, 0x80000
	s_delay_alu instid0(VALU_DEP_3) | instskip(SKIP_1) | instid1(VALU_DEP_4)
	v_lshrrev_b32_e32 v118, v116, v115
	v_add_nc_u32_e32 v116, v116, v113
	v_and_b32_e32 v115, v117, v115
	s_delay_alu instid0(VALU_DEP_3) | instskip(NEXT) | instid1(VALU_DEP_2)
	v_bfe_u32 v119, v118, 20, 1
	v_cmp_eq_u32_e64 s11, v115, v128
	s_delay_alu instid0(VALU_DEP_2) | instskip(NEXT) | instid1(VALU_DEP_1)
	v_add_nc_u32_e32 v117, -1, v119
	v_cndmask_b32_e64 v115, 0, v117, s11
	v_lshrrev_b32_e32 v117, 23, v118
	s_mov_b32 s11, exec_lo
	s_delay_alu instid0(VALU_DEP_2) | instskip(NEXT) | instid1(VALU_DEP_2)
	v_add_nc_u32_e32 v115, v115, v118
	v_xor_b32_e32 v117, 1, v117
	s_delay_alu instid0(VALU_DEP_2) | instskip(NEXT) | instid1(VALU_DEP_1)
	v_and_b32_e32 v113, 0xfffff, v115
	v_add_nc_u32_e32 v115, v113, v118
                                        ; implicit-def: $vgpr113
	s_delay_alu instid0(VALU_DEP_3)
	v_cmpx_ne_u32_e64 v116, v117
	s_xor_b32 s11, exec_lo, s11
; %bb.7015:                             ;   in Loop: Header=BB4_6855 Depth=2
	s_delay_alu instid0(VALU_DEP_2) | instskip(SKIP_2) | instid1(VALU_DEP_2)
	v_cmp_lt_u32_e32 vcc_lo, 0xffffff, v115
	v_sub_nc_u32_e32 v113, v116, v117
	v_cndmask_b32_e64 v116, 0, 1, vcc_lo
	v_add_co_ci_u32_e32 v113, vcc_lo, 0, v113, vcc_lo
	s_delay_alu instid0(VALU_DEP_2)
	v_lshrrev_b32_e32 v115, v116, v115
; %bb.7016:                             ;   in Loop: Header=BB4_6855 Depth=2
	s_and_not1_saveexec_b32 s11, s11
; %bb.7017:                             ;   in Loop: Header=BB4_6855 Depth=2
	s_delay_alu instid0(VALU_DEP_1)
	v_bfe_u32 v113, v115, 23, 1
; %bb.7018:                             ;   in Loop: Header=BB4_6855 Depth=2
	s_or_b32 exec_lo, exec_lo, s11
	v_lshrrev_b32_e32 v115, 20, v115
	s_delay_alu instid0(VALU_DEP_2) | instskip(SKIP_2) | instid1(VALU_DEP_2)
	v_cmp_gt_i32_e32 vcc_lo, 16, v113
	v_min_i32_e32 v116, 15, v113
	v_lshrrev_b32_e32 v114, 24, v114
	v_dual_cndmask_b32 v115, 7, v115 :: v_dual_lshlrev_b32 v116, 3, v116
	s_delay_alu instid0(VALU_DEP_2) | instskip(NEXT) | instid1(VALU_DEP_2)
	v_and_b32_e32 v114, 0x80, v114
	v_or_b32_e32 v113, v113, v115
	v_and_b32_e32 v117, 7, v115
	s_delay_alu instid0(VALU_DEP_2) | instskip(SKIP_1) | instid1(VALU_DEP_1)
	v_cmp_ne_u32_e32 vcc_lo, 0, v113
	v_and_b32_e32 v116, 0xf8, v116
	v_or3_b32 v114, v116, v114, v117
	s_delay_alu instid0(VALU_DEP_1)
	v_cndmask_b32_e32 v113, 0, v114, vcc_lo
.LBB4_7019:                             ;   in Loop: Header=BB4_6855 Depth=2
	s_or_b32 exec_lo, exec_lo, s26
.LBB4_7020:                             ;   in Loop: Header=BB4_6855 Depth=2
	s_delay_alu instid0(SALU_CYCLE_1) | instskip(SKIP_3) | instid1(VALU_DEP_1)
	s_or_b32 exec_lo, exec_lo, s25
	v_lshrrev_b16 v114, 8, v13
	s_mov_b32 s11, 0
	s_mov_b32 s26, exec_lo
                                        ; implicit-def: $sgpr25
	v_cmpx_lt_i16_e32 0x7f, v114
	s_xor_b32 s26, exec_lo, s26
	s_cbranch_execnz .LBB4_7106
; %bb.7021:                             ;   in Loop: Header=BB4_6855 Depth=2
	s_or_saveexec_b32 s26, s26
	v_mov_b32_e32 v115, s25
	s_xor_b32 exec_lo, exec_lo, s26
	s_cbranch_execnz .LBB4_7109
.LBB4_7022:                             ;   in Loop: Header=BB4_6855 Depth=2
	s_or_b32 exec_lo, exec_lo, s26
	s_and_saveexec_b32 s25, s11
	s_cbranch_execz .LBB4_7024
.LBB4_7023:                             ;   in Loop: Header=BB4_6855 Depth=2
	v_and_b32_e32 v115, 0xffff, v114
	v_lshlrev_b32_e32 v114, 24, v114
	s_delay_alu instid0(VALU_DEP_2) | instskip(NEXT) | instid1(VALU_DEP_2)
	v_and_b32_e32 v116, 7, v115
	v_and_b32_e32 v114, 0x80000000, v114
	s_delay_alu instid0(VALU_DEP_2) | instskip(NEXT) | instid1(VALU_DEP_1)
	v_clz_i32_u32_e32 v117, v116
	v_min_u32_e32 v117, 32, v117
	s_delay_alu instid0(VALU_DEP_1) | instskip(SKIP_1) | instid1(VALU_DEP_2)
	v_subrev_nc_u32_e32 v118, 28, v117
	v_sub_nc_u32_e32 v117, 29, v117
	v_lshlrev_b32_e32 v118, v118, v115
	v_bfe_u32 v115, v115, 3, 4
	s_delay_alu instid0(VALU_DEP_2) | instskip(NEXT) | instid1(VALU_DEP_2)
	v_and_b32_e32 v118, 7, v118
	v_cmp_eq_u32_e32 vcc_lo, 0, v115
	s_delay_alu instid0(VALU_DEP_2) | instskip(NEXT) | instid1(VALU_DEP_1)
	v_dual_cndmask_b32 v115, v115, v117 :: v_dual_cndmask_b32 v116, v116, v118
	v_lshl_add_u32 v115, v115, 23, 0x3b800000
	s_delay_alu instid0(VALU_DEP_2) | instskip(NEXT) | instid1(VALU_DEP_1)
	v_lshlrev_b32_e32 v116, 20, v116
	v_or3_b32 v115, v114, v115, v116
.LBB4_7024:                             ;   in Loop: Header=BB4_6855 Depth=2
	s_or_b32 exec_lo, exec_lo, s25
	s_delay_alu instid0(VALU_DEP_1) | instskip(NEXT) | instid1(VALU_DEP_1)
	v_mul_f32_e32 v115, s24, v115
	v_and_b32_e32 v114, 0x7f800000, v115
	s_delay_alu instid0(VALU_DEP_1)
	v_cmp_ne_u32_e32 vcc_lo, 0x7f800000, v114
	v_mov_b32_e32 v114, 0x8000
	s_and_saveexec_b32 s25, vcc_lo
	s_cbranch_execz .LBB4_7032
; %bb.7025:                             ;   in Loop: Header=BB4_6855 Depth=2
	v_mov_b32_e32 v114, 0
	s_mov_b32 s26, exec_lo
	v_cmpx_ne_u32_e32 0, v115
	s_cbranch_execz .LBB4_7031
; %bb.7026:                             ;   in Loop: Header=BB4_6855 Depth=2
	v_bfe_u32 v114, v115, 23, 8
	s_delay_alu instid0(VALU_DEP_1) | instskip(SKIP_1) | instid1(VALU_DEP_2)
	v_sub_nc_u32_e32 v117, 0x78, v114
	v_cmp_gt_u32_e32 vcc_lo, 0x79, v114
	v_dual_cndmask_b32 v117, 0, v117 :: v_dual_and_b32 v116, 0x7fffff, v115
	s_delay_alu instid0(VALU_DEP_1) | instskip(SKIP_2) | instid1(VALU_DEP_4)
	v_or_b32_e32 v118, 0x800000, v116
	v_cmp_eq_u32_e32 vcc_lo, 0, v114
	v_add_nc_u32_e32 v114, 0xffffff89, v114
	v_cndmask_b32_e64 v117, v117, 0x77, vcc_lo
	s_delay_alu instid0(VALU_DEP_2) | instskip(SKIP_1) | instid1(VALU_DEP_3)
	v_cndmask_b32_e64 v114, v114, 0xffffff8a, vcc_lo
	v_cndmask_b32_e32 v116, v118, v116, vcc_lo
	v_lshl_add_u32 v118, 0x100000, v117, -1
	v_lshlrev_b32_e64 v129, v117, 0x80000
	s_delay_alu instid0(VALU_DEP_3) | instskip(SKIP_1) | instid1(VALU_DEP_4)
	v_lshrrev_b32_e32 v119, v117, v116
	v_add_nc_u32_e32 v117, v117, v114
	v_and_b32_e32 v116, v118, v116
	s_delay_alu instid0(VALU_DEP_3) | instskip(NEXT) | instid1(VALU_DEP_2)
	v_bfe_u32 v128, v119, 20, 1
	v_cmp_eq_u32_e64 s11, v116, v129
	s_delay_alu instid0(VALU_DEP_2) | instskip(NEXT) | instid1(VALU_DEP_1)
	v_add_nc_u32_e32 v118, -1, v128
	v_cndmask_b32_e64 v116, 0, v118, s11
	v_lshrrev_b32_e32 v118, 23, v119
	s_mov_b32 s11, exec_lo
	s_delay_alu instid0(VALU_DEP_2) | instskip(NEXT) | instid1(VALU_DEP_2)
	v_add_nc_u32_e32 v116, v116, v119
	v_xor_b32_e32 v118, 1, v118
	s_delay_alu instid0(VALU_DEP_2) | instskip(NEXT) | instid1(VALU_DEP_1)
	v_and_b32_e32 v114, 0xfffff, v116
	v_add_nc_u32_e32 v116, v114, v119
                                        ; implicit-def: $vgpr114
	s_delay_alu instid0(VALU_DEP_3)
	v_cmpx_ne_u32_e64 v117, v118
	s_xor_b32 s11, exec_lo, s11
; %bb.7027:                             ;   in Loop: Header=BB4_6855 Depth=2
	s_delay_alu instid0(VALU_DEP_2) | instskip(SKIP_2) | instid1(VALU_DEP_2)
	v_cmp_lt_u32_e32 vcc_lo, 0xffffff, v116
	v_sub_nc_u32_e32 v114, v117, v118
	v_cndmask_b32_e64 v117, 0, 1, vcc_lo
	v_add_co_ci_u32_e32 v114, vcc_lo, 0, v114, vcc_lo
	s_delay_alu instid0(VALU_DEP_2)
	v_lshrrev_b32_e32 v116, v117, v116
; %bb.7028:                             ;   in Loop: Header=BB4_6855 Depth=2
	s_and_not1_saveexec_b32 s11, s11
; %bb.7029:                             ;   in Loop: Header=BB4_6855 Depth=2
	s_delay_alu instid0(VALU_DEP_1)
	v_bfe_u32 v114, v116, 23, 1
; %bb.7030:                             ;   in Loop: Header=BB4_6855 Depth=2
	s_or_b32 exec_lo, exec_lo, s11
	v_lshrrev_b32_e32 v116, 20, v116
	s_delay_alu instid0(VALU_DEP_2) | instskip(SKIP_2) | instid1(VALU_DEP_2)
	v_cmp_gt_i32_e32 vcc_lo, 16, v114
	v_min_i32_e32 v117, 15, v114
	v_lshrrev_b32_e32 v115, 24, v115
	v_dual_cndmask_b32 v116, 7, v116 :: v_dual_lshlrev_b32 v117, 3, v117
	s_delay_alu instid0(VALU_DEP_2) | instskip(NEXT) | instid1(VALU_DEP_2)
	v_and_b32_e32 v115, 0x80, v115
	v_or_b32_e32 v114, v114, v116
	v_and_b32_e32 v118, 7, v116
	s_delay_alu instid0(VALU_DEP_2) | instskip(SKIP_1) | instid1(VALU_DEP_1)
	v_cmp_ne_u32_e32 vcc_lo, 0, v114
	v_and_b32_e32 v117, 0xf8, v117
	v_or3_b32 v115, v115, v117, v118
	s_delay_alu instid0(VALU_DEP_1) | instskip(NEXT) | instid1(VALU_DEP_1)
	v_lshlrev_b32_e32 v115, 8, v115
	v_cndmask_b32_e32 v114, 0, v115, vcc_lo
.LBB4_7031:                             ;   in Loop: Header=BB4_6855 Depth=2
	s_or_b32 exec_lo, exec_lo, s26
.LBB4_7032:                             ;   in Loop: Header=BB4_6855 Depth=2
	s_delay_alu instid0(SALU_CYCLE_1) | instskip(SKIP_3) | instid1(VALU_DEP_1)
	s_or_b32 exec_lo, exec_lo, s25
	v_lshrrev_b32_e32 v115, 16, v13
	s_mov_b32 s11, 0
	s_mov_b32 s26, exec_lo
                                        ; implicit-def: $sgpr25
	v_and_b32_e32 v117, 0xff, v115
	s_delay_alu instid0(VALU_DEP_1)
	v_cmpx_lt_i16_e32 0x7f, v117
	s_xor_b32 s26, exec_lo, s26
	s_cbranch_execnz .LBB4_7110
; %bb.7033:                             ;   in Loop: Header=BB4_6855 Depth=2
	s_or_saveexec_b32 s26, s26
	v_mov_b32_e32 v116, s25
	s_xor_b32 exec_lo, exec_lo, s26
	s_cbranch_execnz .LBB4_7113
.LBB4_7034:                             ;   in Loop: Header=BB4_6855 Depth=2
	s_or_b32 exec_lo, exec_lo, s26
	s_and_saveexec_b32 s25, s11
	s_cbranch_execz .LBB4_7036
.LBB4_7035:                             ;   in Loop: Header=BB4_6855 Depth=2
	v_bfe_u32 v116, v13, 16, 3
	v_lshlrev_b32_e32 v119, 8, v13
	s_delay_alu instid0(VALU_DEP_2) | instskip(NEXT) | instid1(VALU_DEP_1)
	v_clz_i32_u32_e32 v117, v116
	v_min_u32_e32 v117, 32, v117
	s_delay_alu instid0(VALU_DEP_1) | instskip(SKIP_1) | instid1(VALU_DEP_2)
	v_subrev_nc_u32_e32 v118, 28, v117
	v_sub_nc_u32_e32 v117, 29, v117
	v_lshlrev_b32_e32 v115, v118, v115
	v_bfe_u32 v118, v13, 19, 4
	s_delay_alu instid0(VALU_DEP_2) | instskip(NEXT) | instid1(VALU_DEP_2)
	v_and_b32_e32 v115, 7, v115
	v_cmp_eq_u32_e32 vcc_lo, 0, v118
	v_cndmask_b32_e32 v117, v118, v117, vcc_lo
	s_delay_alu instid0(VALU_DEP_3) | instskip(SKIP_1) | instid1(VALU_DEP_3)
	v_cndmask_b32_e32 v115, v116, v115, vcc_lo
	v_and_b32_e32 v116, 0x80000000, v119
	v_lshl_add_u32 v117, v117, 23, 0x3b800000
	s_delay_alu instid0(VALU_DEP_3) | instskip(NEXT) | instid1(VALU_DEP_1)
	v_lshlrev_b32_e32 v115, 20, v115
	v_or3_b32 v116, v116, v117, v115
.LBB4_7036:                             ;   in Loop: Header=BB4_6855 Depth=2
	s_or_b32 exec_lo, exec_lo, s25
	s_delay_alu instid0(VALU_DEP_1) | instskip(NEXT) | instid1(VALU_DEP_1)
	v_mul_f32_e32 v116, s24, v116
	v_and_b32_e32 v115, 0x7f800000, v116
	s_delay_alu instid0(VALU_DEP_1)
	v_cmp_ne_u32_e32 vcc_lo, 0x7f800000, v115
	v_mov_b32_e32 v115, 0x80
	s_and_saveexec_b32 s25, vcc_lo
	s_cbranch_execz .LBB4_7044
; %bb.7037:                             ;   in Loop: Header=BB4_6855 Depth=2
	v_mov_b32_e32 v115, 0
	s_mov_b32 s26, exec_lo
	v_cmpx_ne_u32_e32 0, v116
	s_cbranch_execz .LBB4_7043
; %bb.7038:                             ;   in Loop: Header=BB4_6855 Depth=2
	v_bfe_u32 v115, v116, 23, 8
	s_delay_alu instid0(VALU_DEP_1) | instskip(SKIP_1) | instid1(VALU_DEP_2)
	v_sub_nc_u32_e32 v118, 0x78, v115
	v_cmp_gt_u32_e32 vcc_lo, 0x79, v115
	v_dual_cndmask_b32 v118, 0, v118 :: v_dual_and_b32 v117, 0x7fffff, v116
	s_delay_alu instid0(VALU_DEP_1) | instskip(SKIP_2) | instid1(VALU_DEP_4)
	v_or_b32_e32 v119, 0x800000, v117
	v_cmp_eq_u32_e32 vcc_lo, 0, v115
	v_add_nc_u32_e32 v115, 0xffffff89, v115
	v_cndmask_b32_e64 v118, v118, 0x77, vcc_lo
	s_delay_alu instid0(VALU_DEP_2) | instskip(SKIP_1) | instid1(VALU_DEP_3)
	v_cndmask_b32_e64 v115, v115, 0xffffff8a, vcc_lo
	v_cndmask_b32_e32 v117, v119, v117, vcc_lo
	v_lshl_add_u32 v119, 0x100000, v118, -1
	v_lshlrev_b32_e64 v130, v118, 0x80000
	s_delay_alu instid0(VALU_DEP_3) | instskip(SKIP_1) | instid1(VALU_DEP_4)
	v_lshrrev_b32_e32 v128, v118, v117
	v_add_nc_u32_e32 v118, v118, v115
	v_and_b32_e32 v117, v119, v117
	s_delay_alu instid0(VALU_DEP_3) | instskip(NEXT) | instid1(VALU_DEP_2)
	v_bfe_u32 v129, v128, 20, 1
	v_cmp_eq_u32_e64 s11, v117, v130
	s_delay_alu instid0(VALU_DEP_2) | instskip(NEXT) | instid1(VALU_DEP_1)
	v_add_nc_u32_e32 v119, -1, v129
	v_cndmask_b32_e64 v117, 0, v119, s11
	v_lshrrev_b32_e32 v119, 23, v128
	s_mov_b32 s11, exec_lo
	s_delay_alu instid0(VALU_DEP_2) | instskip(NEXT) | instid1(VALU_DEP_2)
	v_add_nc_u32_e32 v117, v117, v128
	v_xor_b32_e32 v119, 1, v119
	s_delay_alu instid0(VALU_DEP_2) | instskip(NEXT) | instid1(VALU_DEP_1)
	v_and_b32_e32 v115, 0xfffff, v117
	v_add_nc_u32_e32 v117, v115, v128
                                        ; implicit-def: $vgpr115
	s_delay_alu instid0(VALU_DEP_3)
	v_cmpx_ne_u32_e64 v118, v119
	s_xor_b32 s11, exec_lo, s11
; %bb.7039:                             ;   in Loop: Header=BB4_6855 Depth=2
	s_delay_alu instid0(VALU_DEP_2) | instskip(SKIP_2) | instid1(VALU_DEP_2)
	v_cmp_lt_u32_e32 vcc_lo, 0xffffff, v117
	v_sub_nc_u32_e32 v115, v118, v119
	v_cndmask_b32_e64 v118, 0, 1, vcc_lo
	v_add_co_ci_u32_e32 v115, vcc_lo, 0, v115, vcc_lo
	s_delay_alu instid0(VALU_DEP_2)
	v_lshrrev_b32_e32 v117, v118, v117
; %bb.7040:                             ;   in Loop: Header=BB4_6855 Depth=2
	s_and_not1_saveexec_b32 s11, s11
; %bb.7041:                             ;   in Loop: Header=BB4_6855 Depth=2
	s_delay_alu instid0(VALU_DEP_1)
	v_bfe_u32 v115, v117, 23, 1
; %bb.7042:                             ;   in Loop: Header=BB4_6855 Depth=2
	s_or_b32 exec_lo, exec_lo, s11
	v_lshrrev_b32_e32 v117, 20, v117
	s_delay_alu instid0(VALU_DEP_2) | instskip(SKIP_2) | instid1(VALU_DEP_2)
	v_cmp_gt_i32_e32 vcc_lo, 16, v115
	v_min_i32_e32 v118, 15, v115
	v_lshrrev_b32_e32 v116, 24, v116
	v_dual_cndmask_b32 v117, 7, v117 :: v_dual_lshlrev_b32 v118, 3, v118
	s_delay_alu instid0(VALU_DEP_2) | instskip(NEXT) | instid1(VALU_DEP_2)
	v_and_b32_e32 v116, 0x80, v116
	v_or_b32_e32 v115, v115, v117
	v_and_b32_e32 v119, 7, v117
	s_delay_alu instid0(VALU_DEP_2) | instskip(SKIP_1) | instid1(VALU_DEP_1)
	v_cmp_ne_u32_e32 vcc_lo, 0, v115
	v_and_b32_e32 v118, 0xf8, v118
	v_or3_b32 v116, v118, v116, v119
	s_delay_alu instid0(VALU_DEP_1)
	v_cndmask_b32_e32 v115, 0, v116, vcc_lo
.LBB4_7043:                             ;   in Loop: Header=BB4_6855 Depth=2
	s_or_b32 exec_lo, exec_lo, s26
.LBB4_7044:                             ;   in Loop: Header=BB4_6855 Depth=2
	s_delay_alu instid0(SALU_CYCLE_1) | instskip(SKIP_3) | instid1(VALU_DEP_1)
	s_or_b32 exec_lo, exec_lo, s25
	v_lshrrev_b32_e32 v116, 24, v13
	s_mov_b32 s11, 0
	s_mov_b32 s26, exec_lo
                                        ; implicit-def: $sgpr25
	v_cmpx_lt_i16_e32 0x7f, v116
	s_xor_b32 s26, exec_lo, s26
	s_cbranch_execnz .LBB4_7114
; %bb.7045:                             ;   in Loop: Header=BB4_6855 Depth=2
	s_or_saveexec_b32 s26, s26
	v_mov_b32_e32 v117, s25
	s_xor_b32 exec_lo, exec_lo, s26
	s_cbranch_execnz .LBB4_7117
.LBB4_7046:                             ;   in Loop: Header=BB4_6855 Depth=2
	s_or_b32 exec_lo, exec_lo, s26
	s_and_saveexec_b32 s25, s11
	s_cbranch_execz .LBB4_7048
.LBB4_7047:                             ;   in Loop: Header=BB4_6855 Depth=2
	v_bfe_u32 v117, v13, 24, 3
	s_delay_alu instid0(VALU_DEP_1) | instskip(NEXT) | instid1(VALU_DEP_1)
	v_clz_i32_u32_e32 v118, v117
	v_min_u32_e32 v118, 32, v118
	s_delay_alu instid0(VALU_DEP_1) | instskip(SKIP_1) | instid1(VALU_DEP_2)
	v_subrev_nc_u32_e32 v119, 28, v118
	v_sub_nc_u32_e32 v118, 29, v118
	v_lshlrev_b32_e32 v116, v119, v116
	v_bfe_u32 v119, v13, 27, 4
	v_and_b32_e32 v13, 0x80000000, v13
	s_delay_alu instid0(VALU_DEP_3) | instskip(NEXT) | instid1(VALU_DEP_3)
	v_and_b32_e32 v116, 7, v116
	v_cmp_eq_u32_e32 vcc_lo, 0, v119
	v_cndmask_b32_e32 v118, v119, v118, vcc_lo
	s_delay_alu instid0(VALU_DEP_3) | instskip(NEXT) | instid1(VALU_DEP_2)
	v_cndmask_b32_e32 v116, v117, v116, vcc_lo
	v_lshl_add_u32 v117, v118, 23, 0x3b800000
	s_delay_alu instid0(VALU_DEP_2) | instskip(NEXT) | instid1(VALU_DEP_1)
	v_lshlrev_b32_e32 v116, 20, v116
	v_or3_b32 v117, v13, v117, v116
.LBB4_7048:                             ;   in Loop: Header=BB4_6855 Depth=2
	s_or_b32 exec_lo, exec_lo, s25
	s_delay_alu instid0(VALU_DEP_1) | instskip(NEXT) | instid1(VALU_DEP_1)
	v_mul_f32_e32 v13, s24, v117
	v_and_b32_e32 v116, 0x7f800000, v13
	s_delay_alu instid0(VALU_DEP_1)
	v_cmp_ne_u32_e32 vcc_lo, 0x7f800000, v116
	v_mov_b32_e32 v116, 0x8000
	s_and_saveexec_b32 s24, vcc_lo
	s_cbranch_execz .LBB4_6854
; %bb.7049:                             ;   in Loop: Header=BB4_6855 Depth=2
	v_mov_b32_e32 v116, 0
	s_mov_b32 s25, exec_lo
	v_cmpx_ne_u32_e32 0, v13
	s_cbranch_execz .LBB4_6853
; %bb.7050:                             ;   in Loop: Header=BB4_6855 Depth=2
	v_bfe_u32 v116, v13, 23, 8
	s_delay_alu instid0(VALU_DEP_1) | instskip(SKIP_1) | instid1(VALU_DEP_2)
	v_sub_nc_u32_e32 v118, 0x78, v116
	v_cmp_gt_u32_e32 vcc_lo, 0x79, v116
	v_dual_cndmask_b32 v118, 0, v118 :: v_dual_and_b32 v117, 0x7fffff, v13
	s_delay_alu instid0(VALU_DEP_1) | instskip(SKIP_2) | instid1(VALU_DEP_4)
	v_or_b32_e32 v119, 0x800000, v117
	v_cmp_eq_u32_e32 vcc_lo, 0, v116
	v_add_nc_u32_e32 v116, 0xffffff89, v116
	v_cndmask_b32_e64 v118, v118, 0x77, vcc_lo
	s_delay_alu instid0(VALU_DEP_4) | instskip(NEXT) | instid1(VALU_DEP_3)
	v_cndmask_b32_e32 v117, v119, v117, vcc_lo
	v_cndmask_b32_e64 v116, v116, 0xffffff8a, vcc_lo
	s_delay_alu instid0(VALU_DEP_3) | instskip(NEXT) | instid1(VALU_DEP_3)
	v_lshl_add_u32 v119, 0x100000, v118, -1
	v_lshrrev_b32_e32 v128, v118, v117
	v_lshlrev_b32_e64 v130, v118, 0x80000
	s_delay_alu instid0(VALU_DEP_4) | instskip(NEXT) | instid1(VALU_DEP_4)
	v_add_nc_u32_e32 v118, v118, v116
	v_and_b32_e32 v117, v119, v117
	s_delay_alu instid0(VALU_DEP_4) | instskip(NEXT) | instid1(VALU_DEP_2)
	v_bfe_u32 v129, v128, 20, 1
	v_cmp_eq_u32_e64 s11, v117, v130
	s_delay_alu instid0(VALU_DEP_2) | instskip(NEXT) | instid1(VALU_DEP_1)
	v_add_nc_u32_e32 v119, -1, v129
	v_cndmask_b32_e64 v117, 0, v119, s11
	v_lshrrev_b32_e32 v119, 23, v128
	s_mov_b32 s11, exec_lo
	s_delay_alu instid0(VALU_DEP_2) | instskip(NEXT) | instid1(VALU_DEP_2)
	v_add_nc_u32_e32 v117, v117, v128
	v_xor_b32_e32 v119, 1, v119
	s_delay_alu instid0(VALU_DEP_2) | instskip(NEXT) | instid1(VALU_DEP_1)
	v_and_b32_e32 v116, 0xfffff, v117
	v_add_nc_u32_e32 v117, v116, v128
                                        ; implicit-def: $vgpr116
	s_delay_alu instid0(VALU_DEP_3)
	v_cmpx_ne_u32_e64 v118, v119
	s_xor_b32 s11, exec_lo, s11
; %bb.7051:                             ;   in Loop: Header=BB4_6855 Depth=2
	s_delay_alu instid0(VALU_DEP_2) | instskip(SKIP_2) | instid1(VALU_DEP_2)
	v_cmp_lt_u32_e32 vcc_lo, 0xffffff, v117
	v_sub_nc_u32_e32 v116, v118, v119
	v_cndmask_b32_e64 v118, 0, 1, vcc_lo
	v_add_co_ci_u32_e32 v116, vcc_lo, 0, v116, vcc_lo
	s_delay_alu instid0(VALU_DEP_2)
	v_lshrrev_b32_e32 v117, v118, v117
; %bb.7052:                             ;   in Loop: Header=BB4_6855 Depth=2
	s_and_not1_saveexec_b32 s11, s11
	s_cbranch_execz .LBB4_6852
; %bb.7053:                             ;   in Loop: Header=BB4_6855 Depth=2
	s_delay_alu instid0(VALU_DEP_1)
	v_bfe_u32 v116, v117, 23, 1
	s_branch .LBB4_6852
.LBB4_7054:                             ;   in Loop: Header=BB4_6855 Depth=2
	s_mov_b32 s11, -1
	s_mov_b32 s27, exec_lo
                                        ; implicit-def: $sgpr25
	v_cmpx_eq_u16_e32 0x80, v97
; %bb.7055:                             ;   in Loop: Header=BB4_6855 Depth=2
	s_mov_b32 s25, 0x7f800001
	s_xor_b32 s11, exec_lo, -1
; %bb.7056:                             ;   in Loop: Header=BB4_6855 Depth=2
	s_or_b32 exec_lo, exec_lo, s27
	s_delay_alu instid0(SALU_CYCLE_1)
	s_and_b32 s11, s11, exec_lo
                                        ; implicit-def: $vgpr97
	s_or_saveexec_b32 s26, s26
	v_mov_b32_e32 v96, s25
	s_xor_b32 exec_lo, exec_lo, s26
	s_cbranch_execz .LBB4_6866
.LBB4_7057:                             ;   in Loop: Header=BB4_6855 Depth=2
	v_cmp_ne_u16_e32 vcc_lo, 0, v97
	v_mov_b32_e32 v96, 0
	s_and_not1_b32 s11, s11, exec_lo
	s_and_b32 s25, vcc_lo, exec_lo
	s_delay_alu instid0(SALU_CYCLE_1)
	s_or_b32 s11, s11, s25
	s_or_b32 exec_lo, exec_lo, s26
	s_and_saveexec_b32 s25, s11
	s_cbranch_execnz .LBB4_6867
	s_branch .LBB4_6868
.LBB4_7058:                             ;   in Loop: Header=BB4_6855 Depth=2
	s_mov_b32 s11, -1
	s_mov_b32 s27, exec_lo
                                        ; implicit-def: $sgpr25
	v_cmpx_eq_u16_e32 0x80, v97
; %bb.7059:                             ;   in Loop: Header=BB4_6855 Depth=2
	s_mov_b32 s25, 0x7f800001
	s_xor_b32 s11, exec_lo, -1
; %bb.7060:                             ;   in Loop: Header=BB4_6855 Depth=2
	s_or_b32 exec_lo, exec_lo, s27
	s_delay_alu instid0(SALU_CYCLE_1)
	s_and_b32 s11, s11, exec_lo
	s_or_saveexec_b32 s26, s26
	v_mov_b32_e32 v98, s25
	s_xor_b32 exec_lo, exec_lo, s26
	s_cbranch_execz .LBB4_6878
.LBB4_7061:                             ;   in Loop: Header=BB4_6855 Depth=2
	v_cmp_ne_u16_e32 vcc_lo, 0, v97
	v_mov_b32_e32 v98, 0
	s_and_not1_b32 s11, s11, exec_lo
	s_and_b32 s25, vcc_lo, exec_lo
	s_delay_alu instid0(SALU_CYCLE_1)
	s_or_b32 s11, s11, s25
	s_or_b32 exec_lo, exec_lo, s26
	s_and_saveexec_b32 s25, s11
	s_cbranch_execnz .LBB4_6879
	s_branch .LBB4_6880
.LBB4_7062:                             ;   in Loop: Header=BB4_6855 Depth=2
	s_mov_b32 s11, -1
	s_mov_b32 s27, exec_lo
                                        ; implicit-def: $sgpr25
	v_cmpx_eq_u16_e32 0x80, v100
; %bb.7063:                             ;   in Loop: Header=BB4_6855 Depth=2
	s_mov_b32 s25, 0x7f800001
	s_xor_b32 s11, exec_lo, -1
; %bb.7064:                             ;   in Loop: Header=BB4_6855 Depth=2
	s_or_b32 exec_lo, exec_lo, s27
	s_delay_alu instid0(SALU_CYCLE_1)
	s_and_b32 s11, s11, exec_lo
                                        ; implicit-def: $vgpr100
	s_or_saveexec_b32 s26, s26
	v_mov_b32_e32 v99, s25
	s_xor_b32 exec_lo, exec_lo, s26
	s_cbranch_execz .LBB4_6890
.LBB4_7065:                             ;   in Loop: Header=BB4_6855 Depth=2
	v_cmp_ne_u16_e32 vcc_lo, 0, v100
	v_mov_b32_e32 v99, 0
	s_and_not1_b32 s11, s11, exec_lo
	s_and_b32 s25, vcc_lo, exec_lo
	s_delay_alu instid0(SALU_CYCLE_1)
	s_or_b32 s11, s11, s25
	s_or_b32 exec_lo, exec_lo, s26
	s_and_saveexec_b32 s25, s11
	s_cbranch_execnz .LBB4_6891
	s_branch .LBB4_6892
.LBB4_7066:                             ;   in Loop: Header=BB4_6855 Depth=2
	s_mov_b32 s11, -1
	s_mov_b32 s27, exec_lo
                                        ; implicit-def: $sgpr25
	v_cmpx_eq_u16_e32 0x80, v99
; %bb.7067:                             ;   in Loop: Header=BB4_6855 Depth=2
	s_mov_b32 s25, 0x7f800001
	s_xor_b32 s11, exec_lo, -1
; %bb.7068:                             ;   in Loop: Header=BB4_6855 Depth=2
	s_or_b32 exec_lo, exec_lo, s27
	s_delay_alu instid0(SALU_CYCLE_1)
	s_and_b32 s11, s11, exec_lo
	s_or_saveexec_b32 s26, s26
	v_mov_b32_e32 v100, s25
	s_xor_b32 exec_lo, exec_lo, s26
	s_cbranch_execz .LBB4_6902
.LBB4_7069:                             ;   in Loop: Header=BB4_6855 Depth=2
	v_cmp_ne_u16_e32 vcc_lo, 0, v99
	v_mov_b32_e32 v100, 0
	s_and_not1_b32 s11, s11, exec_lo
	s_and_b32 s25, vcc_lo, exec_lo
	s_delay_alu instid0(SALU_CYCLE_1)
	s_or_b32 s11, s11, s25
	s_or_b32 exec_lo, exec_lo, s26
	s_and_saveexec_b32 s25, s11
	s_cbranch_execnz .LBB4_6903
	s_branch .LBB4_6904
.LBB4_7070:                             ;   in Loop: Header=BB4_6855 Depth=2
	s_mov_b32 s11, -1
	s_mov_b32 s27, exec_lo
                                        ; implicit-def: $sgpr25
	v_cmpx_eq_u16_e32 0x80, v100
; %bb.7071:                             ;   in Loop: Header=BB4_6855 Depth=2
	s_mov_b32 s25, 0x7f800001
	s_xor_b32 s11, exec_lo, -1
; %bb.7072:                             ;   in Loop: Header=BB4_6855 Depth=2
	s_or_b32 exec_lo, exec_lo, s27
	s_delay_alu instid0(SALU_CYCLE_1)
	s_and_b32 s11, s11, exec_lo
                                        ; implicit-def: $vgpr100
	s_or_saveexec_b32 s26, s26
	v_mov_b32_e32 v99, s25
	s_xor_b32 exec_lo, exec_lo, s26
	s_cbranch_execz .LBB4_6914
.LBB4_7073:                             ;   in Loop: Header=BB4_6855 Depth=2
	v_cmp_ne_u16_e32 vcc_lo, 0, v100
	v_mov_b32_e32 v99, 0
	s_and_not1_b32 s11, s11, exec_lo
	s_and_b32 s25, vcc_lo, exec_lo
	s_delay_alu instid0(SALU_CYCLE_1)
	s_or_b32 s11, s11, s25
	s_or_b32 exec_lo, exec_lo, s26
	s_and_saveexec_b32 s25, s11
	s_cbranch_execnz .LBB4_6915
	s_branch .LBB4_6916
.LBB4_7074:                             ;   in Loop: Header=BB4_6855 Depth=2
	s_mov_b32 s11, -1
	s_mov_b32 s27, exec_lo
                                        ; implicit-def: $sgpr25
	v_cmpx_eq_u16_e32 0x80, v100
; %bb.7075:                             ;   in Loop: Header=BB4_6855 Depth=2
	s_mov_b32 s25, 0x7f800001
	s_xor_b32 s11, exec_lo, -1
; %bb.7076:                             ;   in Loop: Header=BB4_6855 Depth=2
	s_or_b32 exec_lo, exec_lo, s27
	s_delay_alu instid0(SALU_CYCLE_1)
	s_and_b32 s11, s11, exec_lo
	s_or_saveexec_b32 s26, s26
	v_mov_b32_e32 v101, s25
	s_xor_b32 exec_lo, exec_lo, s26
	s_cbranch_execz .LBB4_6926
.LBB4_7077:                             ;   in Loop: Header=BB4_6855 Depth=2
	v_cmp_ne_u16_e32 vcc_lo, 0, v100
	v_mov_b32_e32 v101, 0
	s_and_not1_b32 s11, s11, exec_lo
	s_and_b32 s25, vcc_lo, exec_lo
	s_delay_alu instid0(SALU_CYCLE_1)
	s_or_b32 s11, s11, s25
	s_or_b32 exec_lo, exec_lo, s26
	s_and_saveexec_b32 s25, s11
	s_cbranch_execnz .LBB4_6927
	s_branch .LBB4_6928
.LBB4_7078:                             ;   in Loop: Header=BB4_6855 Depth=2
	s_mov_b32 s11, -1
	s_mov_b32 s27, exec_lo
                                        ; implicit-def: $sgpr25
	v_cmpx_eq_u16_e32 0x80, v103
; %bb.7079:                             ;   in Loop: Header=BB4_6855 Depth=2
	s_mov_b32 s25, 0x7f800001
	s_xor_b32 s11, exec_lo, -1
; %bb.7080:                             ;   in Loop: Header=BB4_6855 Depth=2
	s_or_b32 exec_lo, exec_lo, s27
	s_delay_alu instid0(SALU_CYCLE_1)
	s_and_b32 s11, s11, exec_lo
                                        ; implicit-def: $vgpr103
	s_or_saveexec_b32 s26, s26
	v_mov_b32_e32 v102, s25
	s_xor_b32 exec_lo, exec_lo, s26
	s_cbranch_execz .LBB4_6938
.LBB4_7081:                             ;   in Loop: Header=BB4_6855 Depth=2
	v_cmp_ne_u16_e32 vcc_lo, 0, v103
	v_mov_b32_e32 v102, 0
	s_and_not1_b32 s11, s11, exec_lo
	s_and_b32 s25, vcc_lo, exec_lo
	s_delay_alu instid0(SALU_CYCLE_1)
	s_or_b32 s11, s11, s25
	s_or_b32 exec_lo, exec_lo, s26
	s_and_saveexec_b32 s25, s11
	s_cbranch_execnz .LBB4_6939
	s_branch .LBB4_6940
.LBB4_7082:                             ;   in Loop: Header=BB4_6855 Depth=2
	s_mov_b32 s11, -1
	s_mov_b32 s27, exec_lo
                                        ; implicit-def: $sgpr25
	v_cmpx_eq_u16_e32 0x80, v102
; %bb.7083:                             ;   in Loop: Header=BB4_6855 Depth=2
	s_mov_b32 s25, 0x7f800001
	s_xor_b32 s11, exec_lo, -1
; %bb.7084:                             ;   in Loop: Header=BB4_6855 Depth=2
	s_or_b32 exec_lo, exec_lo, s27
	s_delay_alu instid0(SALU_CYCLE_1)
	s_and_b32 s11, s11, exec_lo
	s_or_saveexec_b32 s26, s26
	v_mov_b32_e32 v103, s25
	s_xor_b32 exec_lo, exec_lo, s26
	s_cbranch_execz .LBB4_6950
.LBB4_7085:                             ;   in Loop: Header=BB4_6855 Depth=2
	v_cmp_ne_u16_e32 vcc_lo, 0, v102
	v_mov_b32_e32 v103, 0
	s_and_not1_b32 s11, s11, exec_lo
	s_and_b32 s25, vcc_lo, exec_lo
	s_delay_alu instid0(SALU_CYCLE_1)
	s_or_b32 s11, s11, s25
	s_or_b32 exec_lo, exec_lo, s26
	s_and_saveexec_b32 s25, s11
	s_cbranch_execnz .LBB4_6951
	s_branch .LBB4_6952
.LBB4_7086:                             ;   in Loop: Header=BB4_6855 Depth=2
	s_mov_b32 s11, -1
	s_mov_b32 s27, exec_lo
                                        ; implicit-def: $sgpr25
	v_cmpx_eq_u16_e32 0x80, v103
; %bb.7087:                             ;   in Loop: Header=BB4_6855 Depth=2
	s_mov_b32 s25, 0x7f800001
	s_xor_b32 s11, exec_lo, -1
; %bb.7088:                             ;   in Loop: Header=BB4_6855 Depth=2
	s_or_b32 exec_lo, exec_lo, s27
	s_delay_alu instid0(SALU_CYCLE_1)
	s_and_b32 s11, s11, exec_lo
                                        ; implicit-def: $vgpr103
	s_or_saveexec_b32 s26, s26
	v_mov_b32_e32 v102, s25
	s_xor_b32 exec_lo, exec_lo, s26
	s_cbranch_execz .LBB4_6962
.LBB4_7089:                             ;   in Loop: Header=BB4_6855 Depth=2
	v_cmp_ne_u16_e32 vcc_lo, 0, v103
	v_mov_b32_e32 v102, 0
	s_and_not1_b32 s11, s11, exec_lo
	s_and_b32 s25, vcc_lo, exec_lo
	s_delay_alu instid0(SALU_CYCLE_1)
	s_or_b32 s11, s11, s25
	s_or_b32 exec_lo, exec_lo, s26
	s_and_saveexec_b32 s25, s11
	s_cbranch_execnz .LBB4_6963
	s_branch .LBB4_6964
.LBB4_7090:                             ;   in Loop: Header=BB4_6855 Depth=2
	s_mov_b32 s11, -1
	s_mov_b32 s27, exec_lo
                                        ; implicit-def: $sgpr25
	v_cmpx_eq_u16_e32 0x80, v103
; %bb.7091:                             ;   in Loop: Header=BB4_6855 Depth=2
	s_mov_b32 s25, 0x7f800001
	s_xor_b32 s11, exec_lo, -1
; %bb.7092:                             ;   in Loop: Header=BB4_6855 Depth=2
	s_or_b32 exec_lo, exec_lo, s27
	s_delay_alu instid0(SALU_CYCLE_1)
	s_and_b32 s11, s11, exec_lo
	s_or_saveexec_b32 s26, s26
	v_mov_b32_e32 v112, s25
	s_xor_b32 exec_lo, exec_lo, s26
	s_cbranch_execz .LBB4_6974
.LBB4_7093:                             ;   in Loop: Header=BB4_6855 Depth=2
	v_cmp_ne_u16_e32 vcc_lo, 0, v103
	v_mov_b32_e32 v112, 0
	s_and_not1_b32 s11, s11, exec_lo
	s_and_b32 s25, vcc_lo, exec_lo
	s_delay_alu instid0(SALU_CYCLE_1)
	s_or_b32 s11, s11, s25
	s_or_b32 exec_lo, exec_lo, s26
	s_and_saveexec_b32 s25, s11
	s_cbranch_execnz .LBB4_6975
	s_branch .LBB4_6976
.LBB4_7094:                             ;   in Loop: Header=BB4_6855 Depth=2
	s_mov_b32 s11, -1
	s_mov_b32 s27, exec_lo
                                        ; implicit-def: $sgpr25
	v_cmpx_eq_u16_e32 0x80, v114
; %bb.7095:                             ;   in Loop: Header=BB4_6855 Depth=2
	s_mov_b32 s25, 0x7f800001
	s_xor_b32 s11, exec_lo, -1
; %bb.7096:                             ;   in Loop: Header=BB4_6855 Depth=2
	s_or_b32 exec_lo, exec_lo, s27
	s_delay_alu instid0(SALU_CYCLE_1)
	s_and_b32 s11, s11, exec_lo
                                        ; implicit-def: $vgpr114
	s_or_saveexec_b32 s26, s26
	v_mov_b32_e32 v113, s25
	s_xor_b32 exec_lo, exec_lo, s26
	s_cbranch_execz .LBB4_6986
.LBB4_7097:                             ;   in Loop: Header=BB4_6855 Depth=2
	v_cmp_ne_u16_e32 vcc_lo, 0, v114
	v_mov_b32_e32 v113, 0
	s_and_not1_b32 s11, s11, exec_lo
	s_and_b32 s25, vcc_lo, exec_lo
	s_delay_alu instid0(SALU_CYCLE_1)
	s_or_b32 s11, s11, s25
	s_or_b32 exec_lo, exec_lo, s26
	s_and_saveexec_b32 s25, s11
	s_cbranch_execnz .LBB4_6987
	s_branch .LBB4_6988
.LBB4_7098:                             ;   in Loop: Header=BB4_6855 Depth=2
	s_mov_b32 s11, -1
	s_mov_b32 s27, exec_lo
                                        ; implicit-def: $sgpr25
	v_cmpx_eq_u16_e32 0x80, v113
; %bb.7099:                             ;   in Loop: Header=BB4_6855 Depth=2
	s_mov_b32 s25, 0x7f800001
	s_xor_b32 s11, exec_lo, -1
; %bb.7100:                             ;   in Loop: Header=BB4_6855 Depth=2
	s_or_b32 exec_lo, exec_lo, s27
	s_delay_alu instid0(SALU_CYCLE_1)
	s_and_b32 s11, s11, exec_lo
	s_or_saveexec_b32 s26, s26
	v_mov_b32_e32 v114, s25
	s_xor_b32 exec_lo, exec_lo, s26
	s_cbranch_execz .LBB4_6998
.LBB4_7101:                             ;   in Loop: Header=BB4_6855 Depth=2
	v_cmp_ne_u16_e32 vcc_lo, 0, v113
	v_mov_b32_e32 v114, 0
	s_and_not1_b32 s11, s11, exec_lo
	s_and_b32 s25, vcc_lo, exec_lo
	s_delay_alu instid0(SALU_CYCLE_1)
	s_or_b32 s11, s11, s25
	s_or_b32 exec_lo, exec_lo, s26
	s_and_saveexec_b32 s25, s11
	s_cbranch_execnz .LBB4_6999
	s_branch .LBB4_7000
.LBB4_7102:                             ;   in Loop: Header=BB4_6855 Depth=2
	s_mov_b32 s11, -1
	s_mov_b32 s27, exec_lo
                                        ; implicit-def: $sgpr25
	v_cmpx_eq_u16_e32 0x80, v114
; %bb.7103:                             ;   in Loop: Header=BB4_6855 Depth=2
	s_mov_b32 s25, 0x7f800001
	s_xor_b32 s11, exec_lo, -1
; %bb.7104:                             ;   in Loop: Header=BB4_6855 Depth=2
	s_or_b32 exec_lo, exec_lo, s27
	s_delay_alu instid0(SALU_CYCLE_1)
	s_and_b32 s11, s11, exec_lo
                                        ; implicit-def: $vgpr114
	s_or_saveexec_b32 s26, s26
	v_mov_b32_e32 v113, s25
	s_xor_b32 exec_lo, exec_lo, s26
	s_cbranch_execz .LBB4_7010
.LBB4_7105:                             ;   in Loop: Header=BB4_6855 Depth=2
	v_cmp_ne_u16_e32 vcc_lo, 0, v114
	v_mov_b32_e32 v113, 0
	s_and_not1_b32 s11, s11, exec_lo
	s_and_b32 s25, vcc_lo, exec_lo
	s_delay_alu instid0(SALU_CYCLE_1)
	s_or_b32 s11, s11, s25
	s_or_b32 exec_lo, exec_lo, s26
	s_and_saveexec_b32 s25, s11
	s_cbranch_execnz .LBB4_7011
	s_branch .LBB4_7012
.LBB4_7106:                             ;   in Loop: Header=BB4_6855 Depth=2
	s_mov_b32 s11, -1
	s_mov_b32 s27, exec_lo
                                        ; implicit-def: $sgpr25
	v_cmpx_eq_u16_e32 0x80, v114
; %bb.7107:                             ;   in Loop: Header=BB4_6855 Depth=2
	s_mov_b32 s25, 0x7f800001
	s_xor_b32 s11, exec_lo, -1
; %bb.7108:                             ;   in Loop: Header=BB4_6855 Depth=2
	s_or_b32 exec_lo, exec_lo, s27
	s_delay_alu instid0(SALU_CYCLE_1)
	s_and_b32 s11, s11, exec_lo
	s_or_saveexec_b32 s26, s26
	v_mov_b32_e32 v115, s25
	s_xor_b32 exec_lo, exec_lo, s26
	s_cbranch_execz .LBB4_7022
.LBB4_7109:                             ;   in Loop: Header=BB4_6855 Depth=2
	v_cmp_ne_u16_e32 vcc_lo, 0, v114
	v_mov_b32_e32 v115, 0
	s_and_not1_b32 s11, s11, exec_lo
	s_and_b32 s25, vcc_lo, exec_lo
	s_delay_alu instid0(SALU_CYCLE_1)
	s_or_b32 s11, s11, s25
	s_or_b32 exec_lo, exec_lo, s26
	s_and_saveexec_b32 s25, s11
	s_cbranch_execnz .LBB4_7023
	s_branch .LBB4_7024
.LBB4_7110:                             ;   in Loop: Header=BB4_6855 Depth=2
	s_mov_b32 s11, -1
	s_mov_b32 s27, exec_lo
                                        ; implicit-def: $sgpr25
	v_cmpx_eq_u16_e32 0x80, v117
; %bb.7111:                             ;   in Loop: Header=BB4_6855 Depth=2
	s_mov_b32 s25, 0x7f800001
	s_xor_b32 s11, exec_lo, -1
; %bb.7112:                             ;   in Loop: Header=BB4_6855 Depth=2
	s_or_b32 exec_lo, exec_lo, s27
	s_delay_alu instid0(SALU_CYCLE_1)
	s_and_b32 s11, s11, exec_lo
                                        ; implicit-def: $vgpr117
	s_or_saveexec_b32 s26, s26
	v_mov_b32_e32 v116, s25
	s_xor_b32 exec_lo, exec_lo, s26
	s_cbranch_execz .LBB4_7034
.LBB4_7113:                             ;   in Loop: Header=BB4_6855 Depth=2
	v_cmp_ne_u16_e32 vcc_lo, 0, v117
	v_mov_b32_e32 v116, 0
	s_and_not1_b32 s11, s11, exec_lo
	s_and_b32 s25, vcc_lo, exec_lo
	s_delay_alu instid0(SALU_CYCLE_1)
	s_or_b32 s11, s11, s25
	s_or_b32 exec_lo, exec_lo, s26
	s_and_saveexec_b32 s25, s11
	s_cbranch_execnz .LBB4_7035
	s_branch .LBB4_7036
.LBB4_7114:                             ;   in Loop: Header=BB4_6855 Depth=2
	s_mov_b32 s11, -1
	s_mov_b32 s27, exec_lo
                                        ; implicit-def: $sgpr25
	v_cmpx_eq_u16_e32 0x80, v116
; %bb.7115:                             ;   in Loop: Header=BB4_6855 Depth=2
	s_mov_b32 s25, 0x7f800001
	s_xor_b32 s11, exec_lo, -1
; %bb.7116:                             ;   in Loop: Header=BB4_6855 Depth=2
	s_or_b32 exec_lo, exec_lo, s27
	s_delay_alu instid0(SALU_CYCLE_1)
	s_and_b32 s11, s11, exec_lo
	s_or_saveexec_b32 s26, s26
	v_mov_b32_e32 v117, s25
	s_xor_b32 exec_lo, exec_lo, s26
	s_cbranch_execz .LBB4_7046
.LBB4_7117:                             ;   in Loop: Header=BB4_6855 Depth=2
	v_cmp_ne_u16_e32 vcc_lo, 0, v116
	v_mov_b32_e32 v117, 0
	s_and_not1_b32 s11, s11, exec_lo
	s_and_b32 s25, vcc_lo, exec_lo
	s_delay_alu instid0(SALU_CYCLE_1)
	s_or_b32 s11, s11, s25
	s_or_b32 exec_lo, exec_lo, s26
	s_and_saveexec_b32 s25, s11
	s_cbranch_execnz .LBB4_7047
	s_branch .LBB4_7048
.LBB4_7118:                             ;   in Loop: Header=BB4_5730 Depth=1
	s_or_b32 exec_lo, exec_lo, s22
.LBB4_7119:                             ;   in Loop: Header=BB4_5730 Depth=1
	s_delay_alu instid0(SALU_CYCLE_1) | instskip(SKIP_3) | instid1(VALU_DEP_1)
	s_or_b32 exec_lo, exec_lo, s21
	v_dual_mov_b32 v49, 0 :: v_dual_and_b32 v10, 15, v82
	s_mov_b32 s11, 0
	s_mov_b32 s21, exec_lo
                                        ; implicit-def: $vgpr50
                                        ; implicit-def: $vgpr12
	v_cndmask_b32_e64 v48, v83, v10, s10
	s_delay_alu instid0(VALU_DEP_1)
	v_cmpx_ne_u32_e32 0, v48
	s_cbranch_execz .LBB4_7121
; %bb.7120:                             ;   in Loop: Header=BB4_5730 Depth=1
	v_cmp_lt_i32_e32 vcc_lo, 0, v84
	v_sub_nc_u32_e32 v10, v83, v10
	s_mov_b32 s11, exec_lo
	v_dual_cndmask_b32 v11, 0, v39 :: v_dual_and_b32 v12, 0x3ffffe00, v82
	s_delay_alu instid0(VALU_DEP_2) | instskip(NEXT) | instid1(VALU_DEP_2)
	v_cndmask_b32_e64 v10, 0, v10, s10
	v_sub_nc_u32_e32 v11, v11, v84
	s_delay_alu instid0(VALU_DEP_2) | instskip(NEXT) | instid1(VALU_DEP_2)
	v_add_nc_u32_e32 v49, v10, v12
	v_lshl_add_u32 v50, v11, 5, v51
	s_delay_alu instid0(VALU_DEP_1) | instskip(NEXT) | instid1(VALU_DEP_1)
	v_ashrrev_i32_e32 v11, 31, v50
	v_lshrrev_b32_e32 v11, 27, v11
	s_delay_alu instid0(VALU_DEP_1) | instskip(NEXT) | instid1(VALU_DEP_1)
	v_add_nc_u32_e32 v11, v50, v11
	v_ashrrev_i32_e32 v12, 5, v11
.LBB4_7121:                             ;   in Loop: Header=BB4_5730 Depth=1
	s_or_b32 exec_lo, exec_lo, s21
	s_delay_alu instid0(SALU_CYCLE_1)
	s_and_b32 s10, s11, exec_lo
.LBB4_7122:                             ;   in Loop: Header=BB4_5730 Depth=1
	s_or_b32 exec_lo, exec_lo, s20
.LBB4_7123:                             ;   in Loop: Header=BB4_5730 Depth=1
	s_and_saveexec_b32 s11, s10
	s_cbranch_execz .LBB4_7426
; %bb.7124:                             ;   in Loop: Header=BB4_5730 Depth=1
	s_delay_alu instid0(VALU_DEP_1) | instskip(SKIP_1) | instid1(VALU_DEP_1)
	v_ashrrev_i32_e32 v10, 31, v48
	s_mov_b32 s20, exec_lo
	v_lshrrev_b32_e32 v10, 23, v10
	s_delay_alu instid0(VALU_DEP_1) | instskip(NEXT) | instid1(VALU_DEP_1)
	v_add_nc_u32_e32 v10, v48, v10
	v_ashrrev_i32_e32 v83, 9, v10
	s_delay_alu instid0(VALU_DEP_1) | instskip(NEXT) | instid1(VALU_DEP_1)
	v_sub_nc_u32_e32 v51, v83, v12
	v_cmpx_lt_i32_e32 0, v51
	s_cbranch_execz .LBB4_7395
; %bb.7125:                             ;   in Loop: Header=BB4_5730 Depth=1
	s_cbranch_execnz .LBB4_7675
; %bb.7126:                             ;   in Loop: Header=BB4_5730 Depth=1
	v_ashrrev_i32_e32 v10, 31, v50
	v_lshlrev_b32_e32 v12, 9, v12
	s_mov_b32 s21, 0
	s_delay_alu instid0(VALU_DEP_2) | instskip(NEXT) | instid1(VALU_DEP_1)
	v_lshrrev_b32_e32 v10, 27, v10
	v_add_nc_u32_e32 v13, v50, v10
	ds_load_b64 v[10:11], v0
	v_and_b32_e32 v13, 0xffffffe0, v13
	s_delay_alu instid0(VALU_DEP_1) | instskip(NEXT) | instid1(VALU_DEP_1)
	v_sub_nc_u32_e32 v13, v50, v13
	v_add3_u32 v84, v49, v13, v12
	s_delay_alu instid0(VALU_DEP_1)
	v_ashrrev_i32_e32 v85, 31, v84
	s_waitcnt lgkmcnt(0)
	v_dual_mov_b32 v13, v11 :: v_dual_mov_b32 v12, v10
.LBB4_7127:                             ;   Parent Loop BB4_5730 Depth=1
                                        ; =>  This Inner Loop Header: Depth=2
	s_cbranch_execnz .LBB4_7679
; %bb.7128:                             ;   in Loop: Header=BB4_7127 Depth=2
	ds_load_b64 v[37:38], v0
	s_waitcnt lgkmcnt(0)
	v_and_b32_e32 v38, 0xff, v37
	v_readfirstlane_b32 s10, v37
	s_delay_alu instid0(VALU_DEP_2)
	v_cmp_gt_i16_e32 vcc_lo, 0x80, v38
	s_cbranch_vccnz .LBB4_7132
; %bb.7129:                             ;   in Loop: Header=BB4_7127 Depth=2
	v_cmp_eq_u16_e32 vcc_lo, 0x80, v38
	s_mov_b32 s22, -1
                                        ; implicit-def: $sgpr23
	s_cbranch_vccz .LBB4_7131
; %bb.7130:                             ;   in Loop: Header=BB4_7127 Depth=2
	s_mov_b32 s22, 0
	s_mov_b32 s23, 0x7f800001
.LBB4_7131:                             ;   in Loop: Header=BB4_7127 Depth=2
	s_mov_b32 s24, 0
	s_branch .LBB4_7133
.LBB4_7132:                             ;   in Loop: Header=BB4_7127 Depth=2
	s_mov_b32 s24, -1
	s_mov_b32 s22, 0
                                        ; implicit-def: $sgpr23
.LBB4_7133:                             ;   in Loop: Header=BB4_7127 Depth=2
	s_and_b32 vcc_lo, exec_lo, s24
	s_cbranch_vccz .LBB4_7135
; %bb.7134:                             ;   in Loop: Header=BB4_7127 Depth=2
	v_cmp_ne_u16_e64 s22, 0, v38
	s_mov_b32 s23, 0
.LBB4_7135:                             ;   in Loop: Header=BB4_7127 Depth=2
	s_delay_alu instid0(SALU_CYCLE_1) | instskip(NEXT) | instid1(VALU_DEP_2)
	v_mov_b32_e32 v86, s23
	s_and_not1_b32 vcc_lo, exec_lo, s22
	s_cbranch_vccnz .LBB4_7137
; %bb.7136:                             ;   in Loop: Header=BB4_7127 Depth=2
	s_and_b32 s22, s10, 7
	s_bfe_u32 s24, s10, 0x40003
	s_clz_i32_u32 s23, s22
	v_lshlrev_b32_e32 v37, 24, v37
	s_min_u32 s23, s23, 32
	s_delay_alu instid0(SALU_CYCLE_1)
	s_sub_i32 s25, s23, 28
	s_sub_i32 s23, 29, s23
	s_lshl_b32 s10, s10, s25
	v_and_b32_e32 v37, 0x80000000, v37
	s_and_b32 s10, s10, 7
	s_cmp_eq_u32 s24, 0
	s_cselect_b32 s23, s23, s24
	s_cselect_b32 s10, s10, s22
	s_lshl_b32 s22, s23, 23
	s_lshl_b32 s10, s10, 20
	s_add_i32 s22, s22, 0x3b800000
	s_delay_alu instid0(SALU_CYCLE_1) | instskip(NEXT) | instid1(VALU_DEP_1)
	v_or_b32_e32 v37, s22, v37
	v_or_b32_e32 v86, s10, v37
.LBB4_7137:                             ;   in Loop: Header=BB4_7127 Depth=2
	v_add_co_u32 v37, vcc_lo, v84, v12
	v_add_co_ci_u32_e32 v38, vcc_lo, v85, v13, vcc_lo
	s_mov_b32 s10, 0
	s_mov_b32 s23, exec_lo
                                        ; implicit-def: $sgpr22
	flat_load_u8 v87, v[37:38] slc dlc
	s_waitcnt vmcnt(0) lgkmcnt(0)
	v_cmpx_lt_i16_e32 0x7f, v87
	s_xor_b32 s23, exec_lo, s23
	s_cbranch_execnz .LBB4_7330
; %bb.7138:                             ;   in Loop: Header=BB4_7127 Depth=2
	s_or_saveexec_b32 s23, s23
	v_mov_b32_e32 v96, s22
	s_xor_b32 exec_lo, exec_lo, s23
	s_cbranch_execnz .LBB4_7333
.LBB4_7139:                             ;   in Loop: Header=BB4_7127 Depth=2
	s_or_b32 exec_lo, exec_lo, s23
	s_and_saveexec_b32 s22, s10
	s_cbranch_execz .LBB4_7141
.LBB4_7140:                             ;   in Loop: Header=BB4_7127 Depth=2
	v_and_b32_e32 v96, 0xffff, v87
	v_lshlrev_b32_e32 v87, 24, v87
	s_delay_alu instid0(VALU_DEP_2) | instskip(NEXT) | instid1(VALU_DEP_2)
	v_and_b32_e32 v97, 7, v96
	v_and_b32_e32 v87, 0x80000000, v87
	s_delay_alu instid0(VALU_DEP_2) | instskip(NEXT) | instid1(VALU_DEP_1)
	v_clz_i32_u32_e32 v98, v97
	v_min_u32_e32 v98, 32, v98
	s_delay_alu instid0(VALU_DEP_1) | instskip(SKIP_1) | instid1(VALU_DEP_2)
	v_subrev_nc_u32_e32 v99, 28, v98
	v_sub_nc_u32_e32 v98, 29, v98
	v_lshlrev_b32_e32 v99, v99, v96
	v_bfe_u32 v96, v96, 3, 4
	s_delay_alu instid0(VALU_DEP_2) | instskip(NEXT) | instid1(VALU_DEP_2)
	v_and_b32_e32 v99, 7, v99
	v_cmp_eq_u32_e32 vcc_lo, 0, v96
	s_delay_alu instid0(VALU_DEP_2) | instskip(NEXT) | instid1(VALU_DEP_1)
	v_dual_cndmask_b32 v96, v96, v98 :: v_dual_cndmask_b32 v97, v97, v99
	v_lshl_add_u32 v96, v96, 23, 0x3b800000
	s_delay_alu instid0(VALU_DEP_2) | instskip(NEXT) | instid1(VALU_DEP_1)
	v_lshlrev_b32_e32 v97, 20, v97
	v_or3_b32 v96, v87, v96, v97
.LBB4_7141:                             ;   in Loop: Header=BB4_7127 Depth=2
	s_or_b32 exec_lo, exec_lo, s22
	s_delay_alu instid0(VALU_DEP_1) | instskip(NEXT) | instid1(VALU_DEP_1)
	v_mul_f32_e32 v96, v86, v96
	v_and_b32_e32 v87, 0x7f800000, v96
	s_delay_alu instid0(VALU_DEP_1)
	v_cmp_ne_u32_e32 vcc_lo, 0x7f800000, v87
	v_mov_b32_e32 v87, 0x80
	s_and_saveexec_b32 s22, vcc_lo
	s_cbranch_execz .LBB4_7149
; %bb.7142:                             ;   in Loop: Header=BB4_7127 Depth=2
	v_mov_b32_e32 v87, 0
	s_mov_b32 s23, exec_lo
	v_cmpx_ne_u32_e32 0, v96
	s_cbranch_execz .LBB4_7148
; %bb.7143:                             ;   in Loop: Header=BB4_7127 Depth=2
	v_bfe_u32 v87, v96, 23, 8
	s_delay_alu instid0(VALU_DEP_1) | instskip(SKIP_1) | instid1(VALU_DEP_2)
	v_sub_nc_u32_e32 v98, 0x78, v87
	v_cmp_gt_u32_e32 vcc_lo, 0x79, v87
	v_dual_cndmask_b32 v98, 0, v98 :: v_dual_and_b32 v97, 0x7fffff, v96
	s_delay_alu instid0(VALU_DEP_1) | instskip(SKIP_2) | instid1(VALU_DEP_4)
	v_or_b32_e32 v99, 0x800000, v97
	v_cmp_eq_u32_e32 vcc_lo, 0, v87
	v_add_nc_u32_e32 v87, 0xffffff89, v87
	v_cndmask_b32_e64 v98, v98, 0x77, vcc_lo
	s_delay_alu instid0(VALU_DEP_2) | instskip(SKIP_1) | instid1(VALU_DEP_3)
	v_cndmask_b32_e64 v87, v87, 0xffffff8a, vcc_lo
	v_cndmask_b32_e32 v97, v99, v97, vcc_lo
	v_lshl_add_u32 v99, 0x100000, v98, -1
	v_lshlrev_b32_e64 v102, v98, 0x80000
	s_delay_alu instid0(VALU_DEP_3) | instskip(SKIP_1) | instid1(VALU_DEP_4)
	v_lshrrev_b32_e32 v100, v98, v97
	v_add_nc_u32_e32 v98, v98, v87
	v_and_b32_e32 v97, v99, v97
	s_delay_alu instid0(VALU_DEP_3) | instskip(NEXT) | instid1(VALU_DEP_2)
	v_bfe_u32 v101, v100, 20, 1
	v_cmp_eq_u32_e64 s10, v97, v102
	s_delay_alu instid0(VALU_DEP_2) | instskip(NEXT) | instid1(VALU_DEP_1)
	v_add_nc_u32_e32 v99, -1, v101
	v_cndmask_b32_e64 v97, 0, v99, s10
	v_lshrrev_b32_e32 v99, 23, v100
	s_mov_b32 s10, exec_lo
	s_delay_alu instid0(VALU_DEP_2) | instskip(NEXT) | instid1(VALU_DEP_2)
	v_add_nc_u32_e32 v97, v97, v100
	v_xor_b32_e32 v99, 1, v99
	s_delay_alu instid0(VALU_DEP_2) | instskip(NEXT) | instid1(VALU_DEP_1)
	v_and_b32_e32 v87, 0xfffff, v97
	v_add_nc_u32_e32 v97, v87, v100
                                        ; implicit-def: $vgpr87
	s_delay_alu instid0(VALU_DEP_3)
	v_cmpx_ne_u32_e64 v98, v99
	s_xor_b32 s10, exec_lo, s10
; %bb.7144:                             ;   in Loop: Header=BB4_7127 Depth=2
	s_delay_alu instid0(VALU_DEP_2) | instskip(SKIP_2) | instid1(VALU_DEP_2)
	v_cmp_lt_u32_e32 vcc_lo, 0xffffff, v97
	v_sub_nc_u32_e32 v87, v98, v99
	v_cndmask_b32_e64 v98, 0, 1, vcc_lo
	v_add_co_ci_u32_e32 v87, vcc_lo, 0, v87, vcc_lo
	s_delay_alu instid0(VALU_DEP_2)
	v_lshrrev_b32_e32 v97, v98, v97
; %bb.7145:                             ;   in Loop: Header=BB4_7127 Depth=2
	s_and_not1_saveexec_b32 s10, s10
; %bb.7146:                             ;   in Loop: Header=BB4_7127 Depth=2
	s_delay_alu instid0(VALU_DEP_1)
	v_bfe_u32 v87, v97, 23, 1
; %bb.7147:                             ;   in Loop: Header=BB4_7127 Depth=2
	s_or_b32 exec_lo, exec_lo, s10
	v_lshrrev_b32_e32 v97, 20, v97
	s_delay_alu instid0(VALU_DEP_2) | instskip(SKIP_2) | instid1(VALU_DEP_2)
	v_cmp_gt_i32_e32 vcc_lo, 16, v87
	v_lshrrev_b32_e32 v96, 24, v96
	v_min_i32_e32 v98, 15, v87
	v_dual_cndmask_b32 v97, 7, v97 :: v_dual_and_b32 v96, 0x80, v96
	s_delay_alu instid0(VALU_DEP_1) | instskip(SKIP_1) | instid1(VALU_DEP_2)
	v_or_b32_e32 v87, v87, v97
	v_and_b32_e32 v99, 7, v97
	v_cmp_ne_u32_e32 vcc_lo, 0, v87
	v_lshlrev_b32_e32 v98, 3, v98
	s_delay_alu instid0(VALU_DEP_1) | instskip(NEXT) | instid1(VALU_DEP_1)
	v_or3_b32 v96, v98, v96, v99
	v_cndmask_b32_e32 v87, 0, v96, vcc_lo
.LBB4_7148:                             ;   in Loop: Header=BB4_7127 Depth=2
	s_or_b32 exec_lo, exec_lo, s23
.LBB4_7149:                             ;   in Loop: Header=BB4_7127 Depth=2
	s_delay_alu instid0(SALU_CYCLE_1)
	s_or_b32 exec_lo, exec_lo, s22
	flat_load_u8 v96, v[37:38] offset:32 slc dlc
	s_mov_b32 s10, 0
	s_mov_b32 s23, exec_lo
                                        ; implicit-def: $sgpr22
	s_waitcnt vmcnt(0) lgkmcnt(0)
	v_cmpx_lt_i16_e32 0x7f, v96
	s_xor_b32 s23, exec_lo, s23
	s_cbranch_execnz .LBB4_7334
; %bb.7150:                             ;   in Loop: Header=BB4_7127 Depth=2
	s_or_saveexec_b32 s23, s23
	v_mov_b32_e32 v97, s22
	s_xor_b32 exec_lo, exec_lo, s23
	s_cbranch_execnz .LBB4_7337
.LBB4_7151:                             ;   in Loop: Header=BB4_7127 Depth=2
	s_or_b32 exec_lo, exec_lo, s23
	s_and_saveexec_b32 s22, s10
	s_cbranch_execz .LBB4_7153
.LBB4_7152:                             ;   in Loop: Header=BB4_7127 Depth=2
	v_and_b32_e32 v97, 0xffff, v96
	v_lshlrev_b32_e32 v96, 24, v96
	s_delay_alu instid0(VALU_DEP_2) | instskip(NEXT) | instid1(VALU_DEP_2)
	v_and_b32_e32 v98, 7, v97
	v_and_b32_e32 v96, 0x80000000, v96
	s_delay_alu instid0(VALU_DEP_2) | instskip(NEXT) | instid1(VALU_DEP_1)
	v_clz_i32_u32_e32 v99, v98
	v_min_u32_e32 v99, 32, v99
	s_delay_alu instid0(VALU_DEP_1) | instskip(SKIP_1) | instid1(VALU_DEP_2)
	v_subrev_nc_u32_e32 v100, 28, v99
	v_sub_nc_u32_e32 v99, 29, v99
	v_lshlrev_b32_e32 v100, v100, v97
	v_bfe_u32 v97, v97, 3, 4
	s_delay_alu instid0(VALU_DEP_2) | instskip(NEXT) | instid1(VALU_DEP_2)
	v_and_b32_e32 v100, 7, v100
	v_cmp_eq_u32_e32 vcc_lo, 0, v97
	s_delay_alu instid0(VALU_DEP_2) | instskip(NEXT) | instid1(VALU_DEP_1)
	v_dual_cndmask_b32 v97, v97, v99 :: v_dual_cndmask_b32 v98, v98, v100
	v_lshl_add_u32 v97, v97, 23, 0x3b800000
	s_delay_alu instid0(VALU_DEP_2) | instskip(NEXT) | instid1(VALU_DEP_1)
	v_lshlrev_b32_e32 v98, 20, v98
	v_or3_b32 v97, v96, v97, v98
.LBB4_7153:                             ;   in Loop: Header=BB4_7127 Depth=2
	s_or_b32 exec_lo, exec_lo, s22
	s_delay_alu instid0(VALU_DEP_1) | instskip(NEXT) | instid1(VALU_DEP_1)
	v_mul_f32_e32 v97, v86, v97
	v_and_b32_e32 v96, 0x7f800000, v97
	s_delay_alu instid0(VALU_DEP_1)
	v_cmp_ne_u32_e32 vcc_lo, 0x7f800000, v96
	v_mov_b32_e32 v96, 0x80
	s_and_saveexec_b32 s22, vcc_lo
	s_cbranch_execz .LBB4_7161
; %bb.7154:                             ;   in Loop: Header=BB4_7127 Depth=2
	v_mov_b32_e32 v96, 0
	s_mov_b32 s23, exec_lo
	v_cmpx_ne_u32_e32 0, v97
	s_cbranch_execz .LBB4_7160
; %bb.7155:                             ;   in Loop: Header=BB4_7127 Depth=2
	v_bfe_u32 v96, v97, 23, 8
	s_delay_alu instid0(VALU_DEP_1) | instskip(SKIP_1) | instid1(VALU_DEP_2)
	v_sub_nc_u32_e32 v99, 0x78, v96
	v_cmp_gt_u32_e32 vcc_lo, 0x79, v96
	v_dual_cndmask_b32 v99, 0, v99 :: v_dual_and_b32 v98, 0x7fffff, v97
	s_delay_alu instid0(VALU_DEP_1) | instskip(SKIP_2) | instid1(VALU_DEP_4)
	v_or_b32_e32 v100, 0x800000, v98
	v_cmp_eq_u32_e32 vcc_lo, 0, v96
	v_add_nc_u32_e32 v96, 0xffffff89, v96
	v_cndmask_b32_e64 v99, v99, 0x77, vcc_lo
	s_delay_alu instid0(VALU_DEP_2) | instskip(SKIP_1) | instid1(VALU_DEP_3)
	v_cndmask_b32_e64 v96, v96, 0xffffff8a, vcc_lo
	v_cndmask_b32_e32 v98, v100, v98, vcc_lo
	v_lshl_add_u32 v100, 0x100000, v99, -1
	v_lshlrev_b32_e64 v103, v99, 0x80000
	s_delay_alu instid0(VALU_DEP_3) | instskip(SKIP_1) | instid1(VALU_DEP_4)
	v_lshrrev_b32_e32 v101, v99, v98
	v_add_nc_u32_e32 v99, v99, v96
	v_and_b32_e32 v98, v100, v98
	s_delay_alu instid0(VALU_DEP_3) | instskip(NEXT) | instid1(VALU_DEP_2)
	v_bfe_u32 v102, v101, 20, 1
	v_cmp_eq_u32_e64 s10, v98, v103
	s_delay_alu instid0(VALU_DEP_2) | instskip(NEXT) | instid1(VALU_DEP_1)
	v_add_nc_u32_e32 v100, -1, v102
	v_cndmask_b32_e64 v98, 0, v100, s10
	v_lshrrev_b32_e32 v100, 23, v101
	s_mov_b32 s10, exec_lo
	s_delay_alu instid0(VALU_DEP_2) | instskip(NEXT) | instid1(VALU_DEP_2)
	v_add_nc_u32_e32 v98, v98, v101
	v_xor_b32_e32 v100, 1, v100
	s_delay_alu instid0(VALU_DEP_2) | instskip(NEXT) | instid1(VALU_DEP_1)
	v_and_b32_e32 v96, 0xfffff, v98
	v_add_nc_u32_e32 v98, v96, v101
                                        ; implicit-def: $vgpr96
	s_delay_alu instid0(VALU_DEP_3)
	v_cmpx_ne_u32_e64 v99, v100
	s_xor_b32 s10, exec_lo, s10
; %bb.7156:                             ;   in Loop: Header=BB4_7127 Depth=2
	s_delay_alu instid0(VALU_DEP_2) | instskip(SKIP_2) | instid1(VALU_DEP_2)
	v_cmp_lt_u32_e32 vcc_lo, 0xffffff, v98
	v_sub_nc_u32_e32 v96, v99, v100
	v_cndmask_b32_e64 v99, 0, 1, vcc_lo
	v_add_co_ci_u32_e32 v96, vcc_lo, 0, v96, vcc_lo
	s_delay_alu instid0(VALU_DEP_2)
	v_lshrrev_b32_e32 v98, v99, v98
; %bb.7157:                             ;   in Loop: Header=BB4_7127 Depth=2
	s_and_not1_saveexec_b32 s10, s10
; %bb.7158:                             ;   in Loop: Header=BB4_7127 Depth=2
	s_delay_alu instid0(VALU_DEP_1)
	v_bfe_u32 v96, v98, 23, 1
; %bb.7159:                             ;   in Loop: Header=BB4_7127 Depth=2
	s_or_b32 exec_lo, exec_lo, s10
	v_lshrrev_b32_e32 v98, 20, v98
	s_delay_alu instid0(VALU_DEP_2) | instskip(SKIP_2) | instid1(VALU_DEP_2)
	v_cmp_gt_i32_e32 vcc_lo, 16, v96
	v_lshrrev_b32_e32 v97, 24, v97
	v_min_i32_e32 v99, 15, v96
	v_dual_cndmask_b32 v98, 7, v98 :: v_dual_and_b32 v97, 0x80, v97
	s_delay_alu instid0(VALU_DEP_1) | instskip(SKIP_1) | instid1(VALU_DEP_2)
	v_or_b32_e32 v96, v96, v98
	v_and_b32_e32 v100, 7, v98
	v_cmp_ne_u32_e32 vcc_lo, 0, v96
	v_lshlrev_b32_e32 v99, 3, v99
	s_delay_alu instid0(VALU_DEP_1) | instskip(NEXT) | instid1(VALU_DEP_1)
	v_or3_b32 v97, v99, v97, v100
	v_cndmask_b32_e32 v96, 0, v97, vcc_lo
.LBB4_7160:                             ;   in Loop: Header=BB4_7127 Depth=2
	s_or_b32 exec_lo, exec_lo, s23
.LBB4_7161:                             ;   in Loop: Header=BB4_7127 Depth=2
	s_delay_alu instid0(SALU_CYCLE_1)
	s_or_b32 exec_lo, exec_lo, s22
	flat_load_u8 v97, v[37:38] offset:64 slc dlc
	s_mov_b32 s10, 0
	s_mov_b32 s23, exec_lo
                                        ; implicit-def: $sgpr22
	s_waitcnt vmcnt(0) lgkmcnt(0)
	v_cmpx_lt_i16_e32 0x7f, v97
	s_xor_b32 s23, exec_lo, s23
	s_cbranch_execnz .LBB4_7338
; %bb.7162:                             ;   in Loop: Header=BB4_7127 Depth=2
	s_or_saveexec_b32 s23, s23
	v_mov_b32_e32 v98, s22
	s_xor_b32 exec_lo, exec_lo, s23
	s_cbranch_execnz .LBB4_7341
.LBB4_7163:                             ;   in Loop: Header=BB4_7127 Depth=2
	s_or_b32 exec_lo, exec_lo, s23
	s_and_saveexec_b32 s22, s10
	s_cbranch_execz .LBB4_7165
.LBB4_7164:                             ;   in Loop: Header=BB4_7127 Depth=2
	v_and_b32_e32 v98, 0xffff, v97
	v_lshlrev_b32_e32 v97, 24, v97
	s_delay_alu instid0(VALU_DEP_2) | instskip(NEXT) | instid1(VALU_DEP_2)
	v_and_b32_e32 v99, 7, v98
	v_and_b32_e32 v97, 0x80000000, v97
	s_delay_alu instid0(VALU_DEP_2) | instskip(NEXT) | instid1(VALU_DEP_1)
	v_clz_i32_u32_e32 v100, v99
	v_min_u32_e32 v100, 32, v100
	s_delay_alu instid0(VALU_DEP_1) | instskip(SKIP_1) | instid1(VALU_DEP_2)
	v_subrev_nc_u32_e32 v101, 28, v100
	v_sub_nc_u32_e32 v100, 29, v100
	v_lshlrev_b32_e32 v101, v101, v98
	v_bfe_u32 v98, v98, 3, 4
	s_delay_alu instid0(VALU_DEP_2) | instskip(NEXT) | instid1(VALU_DEP_2)
	v_and_b32_e32 v101, 7, v101
	v_cmp_eq_u32_e32 vcc_lo, 0, v98
	s_delay_alu instid0(VALU_DEP_2) | instskip(NEXT) | instid1(VALU_DEP_1)
	v_dual_cndmask_b32 v98, v98, v100 :: v_dual_cndmask_b32 v99, v99, v101
	v_lshl_add_u32 v98, v98, 23, 0x3b800000
	s_delay_alu instid0(VALU_DEP_2) | instskip(NEXT) | instid1(VALU_DEP_1)
	v_lshlrev_b32_e32 v99, 20, v99
	v_or3_b32 v98, v97, v98, v99
.LBB4_7165:                             ;   in Loop: Header=BB4_7127 Depth=2
	s_or_b32 exec_lo, exec_lo, s22
	s_delay_alu instid0(VALU_DEP_1) | instskip(NEXT) | instid1(VALU_DEP_1)
	v_mul_f32_e32 v98, v86, v98
	v_and_b32_e32 v97, 0x7f800000, v98
	s_delay_alu instid0(VALU_DEP_1)
	v_cmp_ne_u32_e32 vcc_lo, 0x7f800000, v97
	v_mov_b32_e32 v97, 0x80
	s_and_saveexec_b32 s22, vcc_lo
	s_cbranch_execz .LBB4_7173
; %bb.7166:                             ;   in Loop: Header=BB4_7127 Depth=2
	v_mov_b32_e32 v97, 0
	s_mov_b32 s23, exec_lo
	v_cmpx_ne_u32_e32 0, v98
	s_cbranch_execz .LBB4_7172
; %bb.7167:                             ;   in Loop: Header=BB4_7127 Depth=2
	v_bfe_u32 v97, v98, 23, 8
	s_delay_alu instid0(VALU_DEP_1) | instskip(SKIP_1) | instid1(VALU_DEP_2)
	v_sub_nc_u32_e32 v100, 0x78, v97
	v_cmp_gt_u32_e32 vcc_lo, 0x79, v97
	v_dual_cndmask_b32 v100, 0, v100 :: v_dual_and_b32 v99, 0x7fffff, v98
	s_delay_alu instid0(VALU_DEP_1) | instskip(SKIP_2) | instid1(VALU_DEP_4)
	v_or_b32_e32 v101, 0x800000, v99
	v_cmp_eq_u32_e32 vcc_lo, 0, v97
	v_add_nc_u32_e32 v97, 0xffffff89, v97
	v_cndmask_b32_e64 v100, v100, 0x77, vcc_lo
	s_delay_alu instid0(VALU_DEP_2) | instskip(SKIP_1) | instid1(VALU_DEP_3)
	v_cndmask_b32_e64 v97, v97, 0xffffff8a, vcc_lo
	v_cndmask_b32_e32 v99, v101, v99, vcc_lo
	v_lshl_add_u32 v101, 0x100000, v100, -1
	v_lshlrev_b32_e64 v112, v100, 0x80000
	s_delay_alu instid0(VALU_DEP_3) | instskip(SKIP_1) | instid1(VALU_DEP_4)
	v_lshrrev_b32_e32 v102, v100, v99
	v_add_nc_u32_e32 v100, v100, v97
	v_and_b32_e32 v99, v101, v99
	s_delay_alu instid0(VALU_DEP_3) | instskip(NEXT) | instid1(VALU_DEP_2)
	v_bfe_u32 v103, v102, 20, 1
	v_cmp_eq_u32_e64 s10, v99, v112
	s_delay_alu instid0(VALU_DEP_2) | instskip(NEXT) | instid1(VALU_DEP_1)
	v_add_nc_u32_e32 v101, -1, v103
	v_cndmask_b32_e64 v99, 0, v101, s10
	v_lshrrev_b32_e32 v101, 23, v102
	s_mov_b32 s10, exec_lo
	s_delay_alu instid0(VALU_DEP_2) | instskip(NEXT) | instid1(VALU_DEP_2)
	v_add_nc_u32_e32 v99, v99, v102
	v_xor_b32_e32 v101, 1, v101
	s_delay_alu instid0(VALU_DEP_2) | instskip(NEXT) | instid1(VALU_DEP_1)
	v_and_b32_e32 v97, 0xfffff, v99
	v_add_nc_u32_e32 v99, v97, v102
                                        ; implicit-def: $vgpr97
	s_delay_alu instid0(VALU_DEP_3)
	v_cmpx_ne_u32_e64 v100, v101
	s_xor_b32 s10, exec_lo, s10
; %bb.7168:                             ;   in Loop: Header=BB4_7127 Depth=2
	s_delay_alu instid0(VALU_DEP_2) | instskip(SKIP_2) | instid1(VALU_DEP_2)
	v_cmp_lt_u32_e32 vcc_lo, 0xffffff, v99
	v_sub_nc_u32_e32 v97, v100, v101
	v_cndmask_b32_e64 v100, 0, 1, vcc_lo
	v_add_co_ci_u32_e32 v97, vcc_lo, 0, v97, vcc_lo
	s_delay_alu instid0(VALU_DEP_2)
	v_lshrrev_b32_e32 v99, v100, v99
; %bb.7169:                             ;   in Loop: Header=BB4_7127 Depth=2
	s_and_not1_saveexec_b32 s10, s10
; %bb.7170:                             ;   in Loop: Header=BB4_7127 Depth=2
	s_delay_alu instid0(VALU_DEP_1)
	v_bfe_u32 v97, v99, 23, 1
; %bb.7171:                             ;   in Loop: Header=BB4_7127 Depth=2
	s_or_b32 exec_lo, exec_lo, s10
	v_lshrrev_b32_e32 v99, 20, v99
	s_delay_alu instid0(VALU_DEP_2) | instskip(SKIP_2) | instid1(VALU_DEP_2)
	v_cmp_gt_i32_e32 vcc_lo, 16, v97
	v_lshrrev_b32_e32 v98, 24, v98
	v_min_i32_e32 v100, 15, v97
	v_dual_cndmask_b32 v99, 7, v99 :: v_dual_and_b32 v98, 0x80, v98
	s_delay_alu instid0(VALU_DEP_1) | instskip(SKIP_1) | instid1(VALU_DEP_2)
	v_or_b32_e32 v97, v97, v99
	v_and_b32_e32 v101, 7, v99
	v_cmp_ne_u32_e32 vcc_lo, 0, v97
	v_lshlrev_b32_e32 v100, 3, v100
	s_delay_alu instid0(VALU_DEP_1) | instskip(NEXT) | instid1(VALU_DEP_1)
	v_or3_b32 v98, v100, v98, v101
	v_cndmask_b32_e32 v97, 0, v98, vcc_lo
.LBB4_7172:                             ;   in Loop: Header=BB4_7127 Depth=2
	s_or_b32 exec_lo, exec_lo, s23
.LBB4_7173:                             ;   in Loop: Header=BB4_7127 Depth=2
	s_delay_alu instid0(SALU_CYCLE_1)
	s_or_b32 exec_lo, exec_lo, s22
	flat_load_u8 v98, v[37:38] offset:96 slc dlc
	s_mov_b32 s10, 0
	s_mov_b32 s23, exec_lo
                                        ; implicit-def: $sgpr22
	s_waitcnt vmcnt(0) lgkmcnt(0)
	v_cmpx_lt_i16_e32 0x7f, v98
	s_xor_b32 s23, exec_lo, s23
	s_cbranch_execnz .LBB4_7342
; %bb.7174:                             ;   in Loop: Header=BB4_7127 Depth=2
	s_or_saveexec_b32 s23, s23
	v_mov_b32_e32 v99, s22
	s_xor_b32 exec_lo, exec_lo, s23
	s_cbranch_execnz .LBB4_7345
.LBB4_7175:                             ;   in Loop: Header=BB4_7127 Depth=2
	s_or_b32 exec_lo, exec_lo, s23
	s_and_saveexec_b32 s22, s10
	s_cbranch_execz .LBB4_7177
.LBB4_7176:                             ;   in Loop: Header=BB4_7127 Depth=2
	v_and_b32_e32 v99, 0xffff, v98
	v_lshlrev_b32_e32 v98, 24, v98
	s_delay_alu instid0(VALU_DEP_2) | instskip(NEXT) | instid1(VALU_DEP_2)
	v_and_b32_e32 v100, 7, v99
	v_and_b32_e32 v98, 0x80000000, v98
	s_delay_alu instid0(VALU_DEP_2) | instskip(NEXT) | instid1(VALU_DEP_1)
	v_clz_i32_u32_e32 v101, v100
	v_min_u32_e32 v101, 32, v101
	s_delay_alu instid0(VALU_DEP_1) | instskip(SKIP_1) | instid1(VALU_DEP_2)
	v_subrev_nc_u32_e32 v102, 28, v101
	v_sub_nc_u32_e32 v101, 29, v101
	v_lshlrev_b32_e32 v102, v102, v99
	v_bfe_u32 v99, v99, 3, 4
	s_delay_alu instid0(VALU_DEP_2) | instskip(NEXT) | instid1(VALU_DEP_2)
	v_and_b32_e32 v102, 7, v102
	v_cmp_eq_u32_e32 vcc_lo, 0, v99
	s_delay_alu instid0(VALU_DEP_2) | instskip(NEXT) | instid1(VALU_DEP_1)
	v_dual_cndmask_b32 v99, v99, v101 :: v_dual_cndmask_b32 v100, v100, v102
	v_lshl_add_u32 v99, v99, 23, 0x3b800000
	s_delay_alu instid0(VALU_DEP_2) | instskip(NEXT) | instid1(VALU_DEP_1)
	v_lshlrev_b32_e32 v100, 20, v100
	v_or3_b32 v99, v98, v99, v100
.LBB4_7177:                             ;   in Loop: Header=BB4_7127 Depth=2
	s_or_b32 exec_lo, exec_lo, s22
	s_delay_alu instid0(VALU_DEP_1) | instskip(NEXT) | instid1(VALU_DEP_1)
	v_mul_f32_e32 v99, v86, v99
	v_and_b32_e32 v98, 0x7f800000, v99
	s_delay_alu instid0(VALU_DEP_1)
	v_cmp_ne_u32_e32 vcc_lo, 0x7f800000, v98
	v_mov_b32_e32 v98, 0x80
	s_and_saveexec_b32 s22, vcc_lo
	s_cbranch_execz .LBB4_7185
; %bb.7178:                             ;   in Loop: Header=BB4_7127 Depth=2
	v_mov_b32_e32 v98, 0
	s_mov_b32 s23, exec_lo
	v_cmpx_ne_u32_e32 0, v99
	s_cbranch_execz .LBB4_7184
; %bb.7179:                             ;   in Loop: Header=BB4_7127 Depth=2
	v_bfe_u32 v98, v99, 23, 8
	s_delay_alu instid0(VALU_DEP_1) | instskip(SKIP_1) | instid1(VALU_DEP_2)
	v_sub_nc_u32_e32 v101, 0x78, v98
	v_cmp_gt_u32_e32 vcc_lo, 0x79, v98
	v_dual_cndmask_b32 v101, 0, v101 :: v_dual_and_b32 v100, 0x7fffff, v99
	s_delay_alu instid0(VALU_DEP_1) | instskip(SKIP_2) | instid1(VALU_DEP_4)
	v_or_b32_e32 v102, 0x800000, v100
	v_cmp_eq_u32_e32 vcc_lo, 0, v98
	v_add_nc_u32_e32 v98, 0xffffff89, v98
	v_cndmask_b32_e64 v101, v101, 0x77, vcc_lo
	s_delay_alu instid0(VALU_DEP_2) | instskip(SKIP_1) | instid1(VALU_DEP_3)
	v_cndmask_b32_e64 v98, v98, 0xffffff8a, vcc_lo
	v_cndmask_b32_e32 v100, v102, v100, vcc_lo
	v_lshl_add_u32 v102, 0x100000, v101, -1
	v_lshlrev_b32_e64 v113, v101, 0x80000
	s_delay_alu instid0(VALU_DEP_3) | instskip(SKIP_1) | instid1(VALU_DEP_4)
	v_lshrrev_b32_e32 v103, v101, v100
	v_add_nc_u32_e32 v101, v101, v98
	v_and_b32_e32 v100, v102, v100
	s_delay_alu instid0(VALU_DEP_3) | instskip(NEXT) | instid1(VALU_DEP_2)
	v_bfe_u32 v112, v103, 20, 1
	v_cmp_eq_u32_e64 s10, v100, v113
	s_delay_alu instid0(VALU_DEP_2) | instskip(NEXT) | instid1(VALU_DEP_1)
	v_add_nc_u32_e32 v102, -1, v112
	v_cndmask_b32_e64 v100, 0, v102, s10
	v_lshrrev_b32_e32 v102, 23, v103
	s_mov_b32 s10, exec_lo
	s_delay_alu instid0(VALU_DEP_2) | instskip(NEXT) | instid1(VALU_DEP_2)
	v_add_nc_u32_e32 v100, v100, v103
	v_xor_b32_e32 v102, 1, v102
	s_delay_alu instid0(VALU_DEP_2) | instskip(NEXT) | instid1(VALU_DEP_1)
	v_and_b32_e32 v98, 0xfffff, v100
	v_add_nc_u32_e32 v100, v98, v103
                                        ; implicit-def: $vgpr98
	s_delay_alu instid0(VALU_DEP_3)
	v_cmpx_ne_u32_e64 v101, v102
	s_xor_b32 s10, exec_lo, s10
; %bb.7180:                             ;   in Loop: Header=BB4_7127 Depth=2
	s_delay_alu instid0(VALU_DEP_2) | instskip(SKIP_2) | instid1(VALU_DEP_2)
	v_cmp_lt_u32_e32 vcc_lo, 0xffffff, v100
	v_sub_nc_u32_e32 v98, v101, v102
	v_cndmask_b32_e64 v101, 0, 1, vcc_lo
	v_add_co_ci_u32_e32 v98, vcc_lo, 0, v98, vcc_lo
	s_delay_alu instid0(VALU_DEP_2)
	v_lshrrev_b32_e32 v100, v101, v100
; %bb.7181:                             ;   in Loop: Header=BB4_7127 Depth=2
	s_and_not1_saveexec_b32 s10, s10
; %bb.7182:                             ;   in Loop: Header=BB4_7127 Depth=2
	s_delay_alu instid0(VALU_DEP_1)
	v_bfe_u32 v98, v100, 23, 1
; %bb.7183:                             ;   in Loop: Header=BB4_7127 Depth=2
	s_or_b32 exec_lo, exec_lo, s10
	v_lshrrev_b32_e32 v100, 20, v100
	s_delay_alu instid0(VALU_DEP_2) | instskip(SKIP_2) | instid1(VALU_DEP_2)
	v_cmp_gt_i32_e32 vcc_lo, 16, v98
	v_lshrrev_b32_e32 v99, 24, v99
	v_min_i32_e32 v101, 15, v98
	v_dual_cndmask_b32 v100, 7, v100 :: v_dual_and_b32 v99, 0x80, v99
	s_delay_alu instid0(VALU_DEP_1) | instskip(SKIP_1) | instid1(VALU_DEP_2)
	v_or_b32_e32 v98, v98, v100
	v_and_b32_e32 v102, 7, v100
	v_cmp_ne_u32_e32 vcc_lo, 0, v98
	v_lshlrev_b32_e32 v101, 3, v101
	s_delay_alu instid0(VALU_DEP_1) | instskip(NEXT) | instid1(VALU_DEP_1)
	v_or3_b32 v99, v101, v99, v102
	v_cndmask_b32_e32 v98, 0, v99, vcc_lo
.LBB4_7184:                             ;   in Loop: Header=BB4_7127 Depth=2
	s_or_b32 exec_lo, exec_lo, s23
.LBB4_7185:                             ;   in Loop: Header=BB4_7127 Depth=2
	s_delay_alu instid0(SALU_CYCLE_1)
	s_or_b32 exec_lo, exec_lo, s22
	flat_load_u8 v99, v[37:38] offset:128 slc dlc
	s_mov_b32 s10, 0
	s_mov_b32 s23, exec_lo
                                        ; implicit-def: $sgpr22
	s_waitcnt vmcnt(0) lgkmcnt(0)
	v_cmpx_lt_i16_e32 0x7f, v99
	s_xor_b32 s23, exec_lo, s23
	s_cbranch_execnz .LBB4_7346
; %bb.7186:                             ;   in Loop: Header=BB4_7127 Depth=2
	s_or_saveexec_b32 s23, s23
	v_mov_b32_e32 v100, s22
	s_xor_b32 exec_lo, exec_lo, s23
	s_cbranch_execnz .LBB4_7349
.LBB4_7187:                             ;   in Loop: Header=BB4_7127 Depth=2
	s_or_b32 exec_lo, exec_lo, s23
	s_and_saveexec_b32 s22, s10
	s_cbranch_execz .LBB4_7189
.LBB4_7188:                             ;   in Loop: Header=BB4_7127 Depth=2
	v_and_b32_e32 v100, 0xffff, v99
	v_lshlrev_b32_e32 v99, 24, v99
	s_delay_alu instid0(VALU_DEP_2) | instskip(NEXT) | instid1(VALU_DEP_2)
	v_and_b32_e32 v101, 7, v100
	v_and_b32_e32 v99, 0x80000000, v99
	s_delay_alu instid0(VALU_DEP_2) | instskip(NEXT) | instid1(VALU_DEP_1)
	v_clz_i32_u32_e32 v102, v101
	v_min_u32_e32 v102, 32, v102
	s_delay_alu instid0(VALU_DEP_1) | instskip(SKIP_1) | instid1(VALU_DEP_2)
	v_subrev_nc_u32_e32 v103, 28, v102
	v_sub_nc_u32_e32 v102, 29, v102
	v_lshlrev_b32_e32 v103, v103, v100
	v_bfe_u32 v100, v100, 3, 4
	s_delay_alu instid0(VALU_DEP_2) | instskip(NEXT) | instid1(VALU_DEP_2)
	v_and_b32_e32 v103, 7, v103
	v_cmp_eq_u32_e32 vcc_lo, 0, v100
	s_delay_alu instid0(VALU_DEP_2) | instskip(NEXT) | instid1(VALU_DEP_1)
	v_dual_cndmask_b32 v100, v100, v102 :: v_dual_cndmask_b32 v101, v101, v103
	v_lshl_add_u32 v100, v100, 23, 0x3b800000
	s_delay_alu instid0(VALU_DEP_2) | instskip(NEXT) | instid1(VALU_DEP_1)
	v_lshlrev_b32_e32 v101, 20, v101
	v_or3_b32 v100, v99, v100, v101
.LBB4_7189:                             ;   in Loop: Header=BB4_7127 Depth=2
	s_or_b32 exec_lo, exec_lo, s22
	s_delay_alu instid0(VALU_DEP_1) | instskip(NEXT) | instid1(VALU_DEP_1)
	v_mul_f32_e32 v100, v86, v100
	v_and_b32_e32 v99, 0x7f800000, v100
	s_delay_alu instid0(VALU_DEP_1)
	v_cmp_ne_u32_e32 vcc_lo, 0x7f800000, v99
	v_mov_b32_e32 v99, 0x80
	s_and_saveexec_b32 s22, vcc_lo
	s_cbranch_execz .LBB4_7197
; %bb.7190:                             ;   in Loop: Header=BB4_7127 Depth=2
	v_mov_b32_e32 v99, 0
	s_mov_b32 s23, exec_lo
	v_cmpx_ne_u32_e32 0, v100
	s_cbranch_execz .LBB4_7196
; %bb.7191:                             ;   in Loop: Header=BB4_7127 Depth=2
	v_bfe_u32 v99, v100, 23, 8
	s_delay_alu instid0(VALU_DEP_1) | instskip(SKIP_1) | instid1(VALU_DEP_2)
	v_sub_nc_u32_e32 v102, 0x78, v99
	v_cmp_gt_u32_e32 vcc_lo, 0x79, v99
	v_dual_cndmask_b32 v102, 0, v102 :: v_dual_and_b32 v101, 0x7fffff, v100
	s_delay_alu instid0(VALU_DEP_1) | instskip(SKIP_2) | instid1(VALU_DEP_4)
	v_or_b32_e32 v103, 0x800000, v101
	v_cmp_eq_u32_e32 vcc_lo, 0, v99
	v_add_nc_u32_e32 v99, 0xffffff89, v99
	v_cndmask_b32_e64 v102, v102, 0x77, vcc_lo
	s_delay_alu instid0(VALU_DEP_2) | instskip(SKIP_1) | instid1(VALU_DEP_3)
	v_cndmask_b32_e64 v99, v99, 0xffffff8a, vcc_lo
	v_cndmask_b32_e32 v101, v103, v101, vcc_lo
	v_lshl_add_u32 v103, 0x100000, v102, -1
	v_lshlrev_b32_e64 v114, v102, 0x80000
	s_delay_alu instid0(VALU_DEP_3) | instskip(SKIP_1) | instid1(VALU_DEP_4)
	v_lshrrev_b32_e32 v112, v102, v101
	v_add_nc_u32_e32 v102, v102, v99
	v_and_b32_e32 v101, v103, v101
	s_delay_alu instid0(VALU_DEP_3) | instskip(NEXT) | instid1(VALU_DEP_2)
	v_bfe_u32 v113, v112, 20, 1
	v_cmp_eq_u32_e64 s10, v101, v114
	s_delay_alu instid0(VALU_DEP_2) | instskip(NEXT) | instid1(VALU_DEP_1)
	v_add_nc_u32_e32 v103, -1, v113
	v_cndmask_b32_e64 v101, 0, v103, s10
	v_lshrrev_b32_e32 v103, 23, v112
	s_mov_b32 s10, exec_lo
	s_delay_alu instid0(VALU_DEP_2) | instskip(NEXT) | instid1(VALU_DEP_2)
	v_add_nc_u32_e32 v101, v101, v112
	v_xor_b32_e32 v103, 1, v103
	s_delay_alu instid0(VALU_DEP_2) | instskip(NEXT) | instid1(VALU_DEP_1)
	v_and_b32_e32 v99, 0xfffff, v101
	v_add_nc_u32_e32 v101, v99, v112
                                        ; implicit-def: $vgpr99
	s_delay_alu instid0(VALU_DEP_3)
	v_cmpx_ne_u32_e64 v102, v103
	s_xor_b32 s10, exec_lo, s10
; %bb.7192:                             ;   in Loop: Header=BB4_7127 Depth=2
	s_delay_alu instid0(VALU_DEP_2) | instskip(SKIP_2) | instid1(VALU_DEP_2)
	v_cmp_lt_u32_e32 vcc_lo, 0xffffff, v101
	v_sub_nc_u32_e32 v99, v102, v103
	v_cndmask_b32_e64 v102, 0, 1, vcc_lo
	v_add_co_ci_u32_e32 v99, vcc_lo, 0, v99, vcc_lo
	s_delay_alu instid0(VALU_DEP_2)
	v_lshrrev_b32_e32 v101, v102, v101
; %bb.7193:                             ;   in Loop: Header=BB4_7127 Depth=2
	s_and_not1_saveexec_b32 s10, s10
; %bb.7194:                             ;   in Loop: Header=BB4_7127 Depth=2
	s_delay_alu instid0(VALU_DEP_1)
	v_bfe_u32 v99, v101, 23, 1
; %bb.7195:                             ;   in Loop: Header=BB4_7127 Depth=2
	s_or_b32 exec_lo, exec_lo, s10
	v_lshrrev_b32_e32 v101, 20, v101
	s_delay_alu instid0(VALU_DEP_2) | instskip(SKIP_2) | instid1(VALU_DEP_2)
	v_cmp_gt_i32_e32 vcc_lo, 16, v99
	v_lshrrev_b32_e32 v100, 24, v100
	v_min_i32_e32 v102, 15, v99
	v_dual_cndmask_b32 v101, 7, v101 :: v_dual_and_b32 v100, 0x80, v100
	s_delay_alu instid0(VALU_DEP_1) | instskip(SKIP_1) | instid1(VALU_DEP_2)
	v_or_b32_e32 v99, v99, v101
	v_and_b32_e32 v103, 7, v101
	v_cmp_ne_u32_e32 vcc_lo, 0, v99
	v_lshlrev_b32_e32 v102, 3, v102
	s_delay_alu instid0(VALU_DEP_1) | instskip(NEXT) | instid1(VALU_DEP_1)
	v_or3_b32 v100, v102, v100, v103
	v_cndmask_b32_e32 v99, 0, v100, vcc_lo
.LBB4_7196:                             ;   in Loop: Header=BB4_7127 Depth=2
	s_or_b32 exec_lo, exec_lo, s23
.LBB4_7197:                             ;   in Loop: Header=BB4_7127 Depth=2
	s_delay_alu instid0(SALU_CYCLE_1)
	s_or_b32 exec_lo, exec_lo, s22
	flat_load_u8 v100, v[37:38] offset:160 slc dlc
	s_mov_b32 s10, 0
	s_mov_b32 s23, exec_lo
                                        ; implicit-def: $sgpr22
	s_waitcnt vmcnt(0) lgkmcnt(0)
	v_cmpx_lt_i16_e32 0x7f, v100
	s_xor_b32 s23, exec_lo, s23
	s_cbranch_execnz .LBB4_7350
; %bb.7198:                             ;   in Loop: Header=BB4_7127 Depth=2
	s_or_saveexec_b32 s23, s23
	v_mov_b32_e32 v101, s22
	s_xor_b32 exec_lo, exec_lo, s23
	s_cbranch_execnz .LBB4_7353
.LBB4_7199:                             ;   in Loop: Header=BB4_7127 Depth=2
	s_or_b32 exec_lo, exec_lo, s23
	s_and_saveexec_b32 s22, s10
	s_cbranch_execz .LBB4_7201
.LBB4_7200:                             ;   in Loop: Header=BB4_7127 Depth=2
	v_and_b32_e32 v101, 0xffff, v100
	v_lshlrev_b32_e32 v100, 24, v100
	s_delay_alu instid0(VALU_DEP_2) | instskip(NEXT) | instid1(VALU_DEP_2)
	v_and_b32_e32 v102, 7, v101
	v_and_b32_e32 v100, 0x80000000, v100
	s_delay_alu instid0(VALU_DEP_2) | instskip(NEXT) | instid1(VALU_DEP_1)
	v_clz_i32_u32_e32 v103, v102
	v_min_u32_e32 v103, 32, v103
	s_delay_alu instid0(VALU_DEP_1) | instskip(SKIP_1) | instid1(VALU_DEP_2)
	v_subrev_nc_u32_e32 v112, 28, v103
	v_sub_nc_u32_e32 v103, 29, v103
	v_lshlrev_b32_e32 v112, v112, v101
	v_bfe_u32 v101, v101, 3, 4
	s_delay_alu instid0(VALU_DEP_2) | instskip(NEXT) | instid1(VALU_DEP_2)
	v_and_b32_e32 v112, 7, v112
	v_cmp_eq_u32_e32 vcc_lo, 0, v101
	s_delay_alu instid0(VALU_DEP_2) | instskip(NEXT) | instid1(VALU_DEP_1)
	v_dual_cndmask_b32 v101, v101, v103 :: v_dual_cndmask_b32 v102, v102, v112
	v_lshl_add_u32 v101, v101, 23, 0x3b800000
	s_delay_alu instid0(VALU_DEP_2) | instskip(NEXT) | instid1(VALU_DEP_1)
	v_lshlrev_b32_e32 v102, 20, v102
	v_or3_b32 v101, v100, v101, v102
.LBB4_7201:                             ;   in Loop: Header=BB4_7127 Depth=2
	s_or_b32 exec_lo, exec_lo, s22
	s_delay_alu instid0(VALU_DEP_1) | instskip(NEXT) | instid1(VALU_DEP_1)
	v_mul_f32_e32 v101, v86, v101
	v_and_b32_e32 v100, 0x7f800000, v101
	s_delay_alu instid0(VALU_DEP_1)
	v_cmp_ne_u32_e32 vcc_lo, 0x7f800000, v100
	v_mov_b32_e32 v100, 0x80
	s_and_saveexec_b32 s22, vcc_lo
	s_cbranch_execz .LBB4_7209
; %bb.7202:                             ;   in Loop: Header=BB4_7127 Depth=2
	v_mov_b32_e32 v100, 0
	s_mov_b32 s23, exec_lo
	v_cmpx_ne_u32_e32 0, v101
	s_cbranch_execz .LBB4_7208
; %bb.7203:                             ;   in Loop: Header=BB4_7127 Depth=2
	v_bfe_u32 v100, v101, 23, 8
	s_delay_alu instid0(VALU_DEP_1) | instskip(SKIP_1) | instid1(VALU_DEP_2)
	v_sub_nc_u32_e32 v103, 0x78, v100
	v_cmp_gt_u32_e32 vcc_lo, 0x79, v100
	v_dual_cndmask_b32 v103, 0, v103 :: v_dual_and_b32 v102, 0x7fffff, v101
	s_delay_alu instid0(VALU_DEP_1) | instskip(SKIP_2) | instid1(VALU_DEP_4)
	v_or_b32_e32 v112, 0x800000, v102
	v_cmp_eq_u32_e32 vcc_lo, 0, v100
	v_add_nc_u32_e32 v100, 0xffffff89, v100
	v_cndmask_b32_e64 v103, v103, 0x77, vcc_lo
	s_delay_alu instid0(VALU_DEP_2) | instskip(SKIP_1) | instid1(VALU_DEP_3)
	v_cndmask_b32_e64 v100, v100, 0xffffff8a, vcc_lo
	v_cndmask_b32_e32 v102, v112, v102, vcc_lo
	v_lshl_add_u32 v112, 0x100000, v103, -1
	v_lshlrev_b32_e64 v115, v103, 0x80000
	s_delay_alu instid0(VALU_DEP_3) | instskip(SKIP_1) | instid1(VALU_DEP_4)
	v_lshrrev_b32_e32 v113, v103, v102
	v_add_nc_u32_e32 v103, v103, v100
	v_and_b32_e32 v102, v112, v102
	s_delay_alu instid0(VALU_DEP_3) | instskip(NEXT) | instid1(VALU_DEP_2)
	v_bfe_u32 v114, v113, 20, 1
	v_cmp_eq_u32_e64 s10, v102, v115
	s_delay_alu instid0(VALU_DEP_2) | instskip(NEXT) | instid1(VALU_DEP_1)
	v_add_nc_u32_e32 v112, -1, v114
	v_cndmask_b32_e64 v102, 0, v112, s10
	v_lshrrev_b32_e32 v112, 23, v113
	s_mov_b32 s10, exec_lo
	s_delay_alu instid0(VALU_DEP_2) | instskip(NEXT) | instid1(VALU_DEP_2)
	v_add_nc_u32_e32 v102, v102, v113
	v_xor_b32_e32 v112, 1, v112
	s_delay_alu instid0(VALU_DEP_2) | instskip(NEXT) | instid1(VALU_DEP_1)
	v_and_b32_e32 v100, 0xfffff, v102
	v_add_nc_u32_e32 v102, v100, v113
                                        ; implicit-def: $vgpr100
	s_delay_alu instid0(VALU_DEP_3)
	v_cmpx_ne_u32_e64 v103, v112
	s_xor_b32 s10, exec_lo, s10
; %bb.7204:                             ;   in Loop: Header=BB4_7127 Depth=2
	s_delay_alu instid0(VALU_DEP_2) | instskip(SKIP_2) | instid1(VALU_DEP_2)
	v_cmp_lt_u32_e32 vcc_lo, 0xffffff, v102
	v_sub_nc_u32_e32 v100, v103, v112
	v_cndmask_b32_e64 v103, 0, 1, vcc_lo
	v_add_co_ci_u32_e32 v100, vcc_lo, 0, v100, vcc_lo
	s_delay_alu instid0(VALU_DEP_2)
	v_lshrrev_b32_e32 v102, v103, v102
; %bb.7205:                             ;   in Loop: Header=BB4_7127 Depth=2
	s_and_not1_saveexec_b32 s10, s10
; %bb.7206:                             ;   in Loop: Header=BB4_7127 Depth=2
	s_delay_alu instid0(VALU_DEP_1)
	v_bfe_u32 v100, v102, 23, 1
; %bb.7207:                             ;   in Loop: Header=BB4_7127 Depth=2
	s_or_b32 exec_lo, exec_lo, s10
	v_lshrrev_b32_e32 v102, 20, v102
	s_delay_alu instid0(VALU_DEP_2) | instskip(SKIP_2) | instid1(VALU_DEP_2)
	v_cmp_gt_i32_e32 vcc_lo, 16, v100
	v_lshrrev_b32_e32 v101, 24, v101
	v_min_i32_e32 v103, 15, v100
	v_dual_cndmask_b32 v102, 7, v102 :: v_dual_and_b32 v101, 0x80, v101
	s_delay_alu instid0(VALU_DEP_1) | instskip(SKIP_1) | instid1(VALU_DEP_2)
	v_or_b32_e32 v100, v100, v102
	v_and_b32_e32 v112, 7, v102
	v_cmp_ne_u32_e32 vcc_lo, 0, v100
	v_lshlrev_b32_e32 v103, 3, v103
	s_delay_alu instid0(VALU_DEP_1) | instskip(NEXT) | instid1(VALU_DEP_1)
	v_or3_b32 v101, v103, v101, v112
	v_cndmask_b32_e32 v100, 0, v101, vcc_lo
.LBB4_7208:                             ;   in Loop: Header=BB4_7127 Depth=2
	s_or_b32 exec_lo, exec_lo, s23
.LBB4_7209:                             ;   in Loop: Header=BB4_7127 Depth=2
	s_delay_alu instid0(SALU_CYCLE_1)
	s_or_b32 exec_lo, exec_lo, s22
	flat_load_u8 v101, v[37:38] offset:192 slc dlc
	s_mov_b32 s10, 0
	s_mov_b32 s23, exec_lo
                                        ; implicit-def: $sgpr22
	s_waitcnt vmcnt(0) lgkmcnt(0)
	v_cmpx_lt_i16_e32 0x7f, v101
	s_xor_b32 s23, exec_lo, s23
	s_cbranch_execnz .LBB4_7354
; %bb.7210:                             ;   in Loop: Header=BB4_7127 Depth=2
	s_or_saveexec_b32 s23, s23
	v_mov_b32_e32 v102, s22
	s_xor_b32 exec_lo, exec_lo, s23
	s_cbranch_execnz .LBB4_7357
.LBB4_7211:                             ;   in Loop: Header=BB4_7127 Depth=2
	s_or_b32 exec_lo, exec_lo, s23
	s_and_saveexec_b32 s22, s10
	s_cbranch_execz .LBB4_7213
.LBB4_7212:                             ;   in Loop: Header=BB4_7127 Depth=2
	v_and_b32_e32 v102, 0xffff, v101
	v_lshlrev_b32_e32 v101, 24, v101
	s_delay_alu instid0(VALU_DEP_2) | instskip(NEXT) | instid1(VALU_DEP_2)
	v_and_b32_e32 v103, 7, v102
	v_and_b32_e32 v101, 0x80000000, v101
	s_delay_alu instid0(VALU_DEP_2) | instskip(NEXT) | instid1(VALU_DEP_1)
	v_clz_i32_u32_e32 v112, v103
	v_min_u32_e32 v112, 32, v112
	s_delay_alu instid0(VALU_DEP_1) | instskip(SKIP_1) | instid1(VALU_DEP_2)
	v_subrev_nc_u32_e32 v113, 28, v112
	v_sub_nc_u32_e32 v112, 29, v112
	v_lshlrev_b32_e32 v113, v113, v102
	v_bfe_u32 v102, v102, 3, 4
	s_delay_alu instid0(VALU_DEP_2) | instskip(NEXT) | instid1(VALU_DEP_2)
	v_and_b32_e32 v113, 7, v113
	v_cmp_eq_u32_e32 vcc_lo, 0, v102
	s_delay_alu instid0(VALU_DEP_2) | instskip(NEXT) | instid1(VALU_DEP_1)
	v_dual_cndmask_b32 v102, v102, v112 :: v_dual_cndmask_b32 v103, v103, v113
	v_lshl_add_u32 v102, v102, 23, 0x3b800000
	s_delay_alu instid0(VALU_DEP_2) | instskip(NEXT) | instid1(VALU_DEP_1)
	v_lshlrev_b32_e32 v103, 20, v103
	v_or3_b32 v102, v101, v102, v103
.LBB4_7213:                             ;   in Loop: Header=BB4_7127 Depth=2
	s_or_b32 exec_lo, exec_lo, s22
	s_delay_alu instid0(VALU_DEP_1) | instskip(NEXT) | instid1(VALU_DEP_1)
	v_mul_f32_e32 v102, v86, v102
	v_and_b32_e32 v101, 0x7f800000, v102
	s_delay_alu instid0(VALU_DEP_1)
	v_cmp_ne_u32_e32 vcc_lo, 0x7f800000, v101
	v_mov_b32_e32 v101, 0x80
	s_and_saveexec_b32 s22, vcc_lo
	s_cbranch_execz .LBB4_7221
; %bb.7214:                             ;   in Loop: Header=BB4_7127 Depth=2
	v_mov_b32_e32 v101, 0
	s_mov_b32 s23, exec_lo
	v_cmpx_ne_u32_e32 0, v102
	s_cbranch_execz .LBB4_7220
; %bb.7215:                             ;   in Loop: Header=BB4_7127 Depth=2
	v_bfe_u32 v101, v102, 23, 8
	s_delay_alu instid0(VALU_DEP_1) | instskip(SKIP_1) | instid1(VALU_DEP_2)
	v_sub_nc_u32_e32 v112, 0x78, v101
	v_cmp_gt_u32_e32 vcc_lo, 0x79, v101
	v_dual_cndmask_b32 v112, 0, v112 :: v_dual_and_b32 v103, 0x7fffff, v102
	s_delay_alu instid0(VALU_DEP_1) | instskip(SKIP_2) | instid1(VALU_DEP_4)
	v_or_b32_e32 v113, 0x800000, v103
	v_cmp_eq_u32_e32 vcc_lo, 0, v101
	v_add_nc_u32_e32 v101, 0xffffff89, v101
	v_cndmask_b32_e64 v112, v112, 0x77, vcc_lo
	s_delay_alu instid0(VALU_DEP_2) | instskip(SKIP_1) | instid1(VALU_DEP_3)
	v_cndmask_b32_e64 v101, v101, 0xffffff8a, vcc_lo
	v_cndmask_b32_e32 v103, v113, v103, vcc_lo
	v_lshl_add_u32 v113, 0x100000, v112, -1
	v_lshlrev_b32_e64 v116, v112, 0x80000
	s_delay_alu instid0(VALU_DEP_3) | instskip(SKIP_1) | instid1(VALU_DEP_4)
	v_lshrrev_b32_e32 v114, v112, v103
	v_add_nc_u32_e32 v112, v112, v101
	v_and_b32_e32 v103, v113, v103
	s_delay_alu instid0(VALU_DEP_3) | instskip(NEXT) | instid1(VALU_DEP_2)
	v_bfe_u32 v115, v114, 20, 1
	v_cmp_eq_u32_e64 s10, v103, v116
	s_delay_alu instid0(VALU_DEP_2) | instskip(NEXT) | instid1(VALU_DEP_1)
	v_add_nc_u32_e32 v113, -1, v115
	v_cndmask_b32_e64 v103, 0, v113, s10
	v_lshrrev_b32_e32 v113, 23, v114
	s_mov_b32 s10, exec_lo
	s_delay_alu instid0(VALU_DEP_2) | instskip(NEXT) | instid1(VALU_DEP_2)
	v_add_nc_u32_e32 v103, v103, v114
	v_xor_b32_e32 v113, 1, v113
	s_delay_alu instid0(VALU_DEP_2) | instskip(NEXT) | instid1(VALU_DEP_1)
	v_and_b32_e32 v101, 0xfffff, v103
	v_add_nc_u32_e32 v103, v101, v114
                                        ; implicit-def: $vgpr101
	s_delay_alu instid0(VALU_DEP_3)
	v_cmpx_ne_u32_e64 v112, v113
	s_xor_b32 s10, exec_lo, s10
; %bb.7216:                             ;   in Loop: Header=BB4_7127 Depth=2
	s_delay_alu instid0(VALU_DEP_2) | instskip(SKIP_2) | instid1(VALU_DEP_2)
	v_cmp_lt_u32_e32 vcc_lo, 0xffffff, v103
	v_sub_nc_u32_e32 v101, v112, v113
	v_cndmask_b32_e64 v112, 0, 1, vcc_lo
	v_add_co_ci_u32_e32 v101, vcc_lo, 0, v101, vcc_lo
	s_delay_alu instid0(VALU_DEP_2)
	v_lshrrev_b32_e32 v103, v112, v103
; %bb.7217:                             ;   in Loop: Header=BB4_7127 Depth=2
	s_and_not1_saveexec_b32 s10, s10
; %bb.7218:                             ;   in Loop: Header=BB4_7127 Depth=2
	s_delay_alu instid0(VALU_DEP_1)
	v_bfe_u32 v101, v103, 23, 1
; %bb.7219:                             ;   in Loop: Header=BB4_7127 Depth=2
	s_or_b32 exec_lo, exec_lo, s10
	v_lshrrev_b32_e32 v103, 20, v103
	s_delay_alu instid0(VALU_DEP_2) | instskip(SKIP_2) | instid1(VALU_DEP_2)
	v_cmp_gt_i32_e32 vcc_lo, 16, v101
	v_lshrrev_b32_e32 v102, 24, v102
	v_min_i32_e32 v112, 15, v101
	v_dual_cndmask_b32 v103, 7, v103 :: v_dual_and_b32 v102, 0x80, v102
	s_delay_alu instid0(VALU_DEP_1) | instskip(SKIP_1) | instid1(VALU_DEP_2)
	v_or_b32_e32 v101, v101, v103
	v_and_b32_e32 v113, 7, v103
	v_cmp_ne_u32_e32 vcc_lo, 0, v101
	v_lshlrev_b32_e32 v112, 3, v112
	s_delay_alu instid0(VALU_DEP_1) | instskip(NEXT) | instid1(VALU_DEP_1)
	v_or3_b32 v102, v112, v102, v113
	v_cndmask_b32_e32 v101, 0, v102, vcc_lo
.LBB4_7220:                             ;   in Loop: Header=BB4_7127 Depth=2
	s_or_b32 exec_lo, exec_lo, s23
.LBB4_7221:                             ;   in Loop: Header=BB4_7127 Depth=2
	s_delay_alu instid0(SALU_CYCLE_1)
	s_or_b32 exec_lo, exec_lo, s22
	flat_load_u8 v102, v[37:38] offset:224 slc dlc
	s_mov_b32 s10, 0
	s_mov_b32 s23, exec_lo
                                        ; implicit-def: $sgpr22
	s_waitcnt vmcnt(0) lgkmcnt(0)
	v_cmpx_lt_i16_e32 0x7f, v102
	s_xor_b32 s23, exec_lo, s23
	s_cbranch_execnz .LBB4_7358
; %bb.7222:                             ;   in Loop: Header=BB4_7127 Depth=2
	s_or_saveexec_b32 s23, s23
	v_mov_b32_e32 v103, s22
	s_xor_b32 exec_lo, exec_lo, s23
	s_cbranch_execnz .LBB4_7361
.LBB4_7223:                             ;   in Loop: Header=BB4_7127 Depth=2
	s_or_b32 exec_lo, exec_lo, s23
	s_and_saveexec_b32 s22, s10
	s_cbranch_execz .LBB4_7225
.LBB4_7224:                             ;   in Loop: Header=BB4_7127 Depth=2
	v_and_b32_e32 v103, 0xffff, v102
	v_lshlrev_b32_e32 v102, 24, v102
	s_delay_alu instid0(VALU_DEP_2) | instskip(NEXT) | instid1(VALU_DEP_2)
	v_and_b32_e32 v112, 7, v103
	v_and_b32_e32 v102, 0x80000000, v102
	s_delay_alu instid0(VALU_DEP_2) | instskip(NEXT) | instid1(VALU_DEP_1)
	v_clz_i32_u32_e32 v113, v112
	v_min_u32_e32 v113, 32, v113
	s_delay_alu instid0(VALU_DEP_1) | instskip(SKIP_1) | instid1(VALU_DEP_2)
	v_subrev_nc_u32_e32 v114, 28, v113
	v_sub_nc_u32_e32 v113, 29, v113
	v_lshlrev_b32_e32 v114, v114, v103
	v_bfe_u32 v103, v103, 3, 4
	s_delay_alu instid0(VALU_DEP_2) | instskip(NEXT) | instid1(VALU_DEP_2)
	v_and_b32_e32 v114, 7, v114
	v_cmp_eq_u32_e32 vcc_lo, 0, v103
	s_delay_alu instid0(VALU_DEP_2) | instskip(NEXT) | instid1(VALU_DEP_1)
	v_dual_cndmask_b32 v103, v103, v113 :: v_dual_cndmask_b32 v112, v112, v114
	v_lshl_add_u32 v103, v103, 23, 0x3b800000
	s_delay_alu instid0(VALU_DEP_2) | instskip(NEXT) | instid1(VALU_DEP_1)
	v_lshlrev_b32_e32 v112, 20, v112
	v_or3_b32 v103, v102, v103, v112
.LBB4_7225:                             ;   in Loop: Header=BB4_7127 Depth=2
	s_or_b32 exec_lo, exec_lo, s22
	s_delay_alu instid0(VALU_DEP_1) | instskip(NEXT) | instid1(VALU_DEP_1)
	v_mul_f32_e32 v103, v86, v103
	v_and_b32_e32 v102, 0x7f800000, v103
	s_delay_alu instid0(VALU_DEP_1)
	v_cmp_ne_u32_e32 vcc_lo, 0x7f800000, v102
	v_mov_b32_e32 v102, 0x80
	s_and_saveexec_b32 s22, vcc_lo
	s_cbranch_execz .LBB4_7233
; %bb.7226:                             ;   in Loop: Header=BB4_7127 Depth=2
	v_mov_b32_e32 v102, 0
	s_mov_b32 s23, exec_lo
	v_cmpx_ne_u32_e32 0, v103
	s_cbranch_execz .LBB4_7232
; %bb.7227:                             ;   in Loop: Header=BB4_7127 Depth=2
	v_bfe_u32 v102, v103, 23, 8
	s_delay_alu instid0(VALU_DEP_1) | instskip(SKIP_1) | instid1(VALU_DEP_2)
	v_sub_nc_u32_e32 v113, 0x78, v102
	v_cmp_gt_u32_e32 vcc_lo, 0x79, v102
	v_dual_cndmask_b32 v113, 0, v113 :: v_dual_and_b32 v112, 0x7fffff, v103
	s_delay_alu instid0(VALU_DEP_1) | instskip(SKIP_2) | instid1(VALU_DEP_4)
	v_or_b32_e32 v114, 0x800000, v112
	v_cmp_eq_u32_e32 vcc_lo, 0, v102
	v_add_nc_u32_e32 v102, 0xffffff89, v102
	v_cndmask_b32_e64 v113, v113, 0x77, vcc_lo
	s_delay_alu instid0(VALU_DEP_2) | instskip(SKIP_1) | instid1(VALU_DEP_3)
	v_cndmask_b32_e64 v102, v102, 0xffffff8a, vcc_lo
	v_cndmask_b32_e32 v112, v114, v112, vcc_lo
	v_lshl_add_u32 v114, 0x100000, v113, -1
	v_lshlrev_b32_e64 v117, v113, 0x80000
	s_delay_alu instid0(VALU_DEP_3) | instskip(SKIP_1) | instid1(VALU_DEP_4)
	v_lshrrev_b32_e32 v115, v113, v112
	v_add_nc_u32_e32 v113, v113, v102
	v_and_b32_e32 v112, v114, v112
	s_delay_alu instid0(VALU_DEP_3) | instskip(NEXT) | instid1(VALU_DEP_2)
	v_bfe_u32 v116, v115, 20, 1
	v_cmp_eq_u32_e64 s10, v112, v117
	s_delay_alu instid0(VALU_DEP_2) | instskip(NEXT) | instid1(VALU_DEP_1)
	v_add_nc_u32_e32 v114, -1, v116
	v_cndmask_b32_e64 v112, 0, v114, s10
	v_lshrrev_b32_e32 v114, 23, v115
	s_mov_b32 s10, exec_lo
	s_delay_alu instid0(VALU_DEP_2) | instskip(NEXT) | instid1(VALU_DEP_2)
	v_add_nc_u32_e32 v112, v112, v115
	v_xor_b32_e32 v114, 1, v114
	s_delay_alu instid0(VALU_DEP_2) | instskip(NEXT) | instid1(VALU_DEP_1)
	v_and_b32_e32 v102, 0xfffff, v112
	v_add_nc_u32_e32 v112, v102, v115
                                        ; implicit-def: $vgpr102
	s_delay_alu instid0(VALU_DEP_3)
	v_cmpx_ne_u32_e64 v113, v114
	s_xor_b32 s10, exec_lo, s10
; %bb.7228:                             ;   in Loop: Header=BB4_7127 Depth=2
	s_delay_alu instid0(VALU_DEP_2) | instskip(SKIP_2) | instid1(VALU_DEP_2)
	v_cmp_lt_u32_e32 vcc_lo, 0xffffff, v112
	v_sub_nc_u32_e32 v102, v113, v114
	v_cndmask_b32_e64 v113, 0, 1, vcc_lo
	v_add_co_ci_u32_e32 v102, vcc_lo, 0, v102, vcc_lo
	s_delay_alu instid0(VALU_DEP_2)
	v_lshrrev_b32_e32 v112, v113, v112
; %bb.7229:                             ;   in Loop: Header=BB4_7127 Depth=2
	s_and_not1_saveexec_b32 s10, s10
; %bb.7230:                             ;   in Loop: Header=BB4_7127 Depth=2
	s_delay_alu instid0(VALU_DEP_1)
	v_bfe_u32 v102, v112, 23, 1
; %bb.7231:                             ;   in Loop: Header=BB4_7127 Depth=2
	s_or_b32 exec_lo, exec_lo, s10
	v_lshrrev_b32_e32 v112, 20, v112
	s_delay_alu instid0(VALU_DEP_2) | instskip(SKIP_2) | instid1(VALU_DEP_2)
	v_cmp_gt_i32_e32 vcc_lo, 16, v102
	v_lshrrev_b32_e32 v103, 24, v103
	v_min_i32_e32 v113, 15, v102
	v_dual_cndmask_b32 v112, 7, v112 :: v_dual_and_b32 v103, 0x80, v103
	s_delay_alu instid0(VALU_DEP_1) | instskip(SKIP_1) | instid1(VALU_DEP_2)
	v_or_b32_e32 v102, v102, v112
	v_and_b32_e32 v114, 7, v112
	v_cmp_ne_u32_e32 vcc_lo, 0, v102
	v_lshlrev_b32_e32 v113, 3, v113
	s_delay_alu instid0(VALU_DEP_1) | instskip(NEXT) | instid1(VALU_DEP_1)
	v_or3_b32 v103, v113, v103, v114
	v_cndmask_b32_e32 v102, 0, v103, vcc_lo
.LBB4_7232:                             ;   in Loop: Header=BB4_7127 Depth=2
	s_or_b32 exec_lo, exec_lo, s23
.LBB4_7233:                             ;   in Loop: Header=BB4_7127 Depth=2
	s_delay_alu instid0(SALU_CYCLE_1)
	s_or_b32 exec_lo, exec_lo, s22
	flat_load_u8 v103, v[37:38] offset:256 slc dlc
	s_mov_b32 s10, 0
	s_mov_b32 s23, exec_lo
                                        ; implicit-def: $sgpr22
	s_waitcnt vmcnt(0) lgkmcnt(0)
	v_cmpx_lt_i16_e32 0x7f, v103
	s_xor_b32 s23, exec_lo, s23
	s_cbranch_execnz .LBB4_7362
; %bb.7234:                             ;   in Loop: Header=BB4_7127 Depth=2
	s_or_saveexec_b32 s23, s23
	v_mov_b32_e32 v112, s22
	s_xor_b32 exec_lo, exec_lo, s23
	s_cbranch_execnz .LBB4_7365
.LBB4_7235:                             ;   in Loop: Header=BB4_7127 Depth=2
	s_or_b32 exec_lo, exec_lo, s23
	s_and_saveexec_b32 s22, s10
	s_cbranch_execz .LBB4_7237
.LBB4_7236:                             ;   in Loop: Header=BB4_7127 Depth=2
	v_and_b32_e32 v112, 0xffff, v103
	v_lshlrev_b32_e32 v103, 24, v103
	s_delay_alu instid0(VALU_DEP_2) | instskip(NEXT) | instid1(VALU_DEP_2)
	v_and_b32_e32 v113, 7, v112
	v_and_b32_e32 v103, 0x80000000, v103
	s_delay_alu instid0(VALU_DEP_2) | instskip(NEXT) | instid1(VALU_DEP_1)
	v_clz_i32_u32_e32 v114, v113
	v_min_u32_e32 v114, 32, v114
	s_delay_alu instid0(VALU_DEP_1) | instskip(SKIP_1) | instid1(VALU_DEP_2)
	v_subrev_nc_u32_e32 v115, 28, v114
	v_sub_nc_u32_e32 v114, 29, v114
	v_lshlrev_b32_e32 v115, v115, v112
	v_bfe_u32 v112, v112, 3, 4
	s_delay_alu instid0(VALU_DEP_2) | instskip(NEXT) | instid1(VALU_DEP_2)
	v_and_b32_e32 v115, 7, v115
	v_cmp_eq_u32_e32 vcc_lo, 0, v112
	s_delay_alu instid0(VALU_DEP_2) | instskip(NEXT) | instid1(VALU_DEP_1)
	v_dual_cndmask_b32 v112, v112, v114 :: v_dual_cndmask_b32 v113, v113, v115
	v_lshl_add_u32 v112, v112, 23, 0x3b800000
	s_delay_alu instid0(VALU_DEP_2) | instskip(NEXT) | instid1(VALU_DEP_1)
	v_lshlrev_b32_e32 v113, 20, v113
	v_or3_b32 v112, v103, v112, v113
.LBB4_7237:                             ;   in Loop: Header=BB4_7127 Depth=2
	s_or_b32 exec_lo, exec_lo, s22
	s_delay_alu instid0(VALU_DEP_1) | instskip(NEXT) | instid1(VALU_DEP_1)
	v_mul_f32_e32 v112, v86, v112
	v_and_b32_e32 v103, 0x7f800000, v112
	s_delay_alu instid0(VALU_DEP_1)
	v_cmp_ne_u32_e32 vcc_lo, 0x7f800000, v103
	v_mov_b32_e32 v103, 0x80
	s_and_saveexec_b32 s22, vcc_lo
	s_cbranch_execz .LBB4_7245
; %bb.7238:                             ;   in Loop: Header=BB4_7127 Depth=2
	v_mov_b32_e32 v103, 0
	s_mov_b32 s23, exec_lo
	v_cmpx_ne_u32_e32 0, v112
	s_cbranch_execz .LBB4_7244
; %bb.7239:                             ;   in Loop: Header=BB4_7127 Depth=2
	v_bfe_u32 v103, v112, 23, 8
	s_delay_alu instid0(VALU_DEP_1) | instskip(SKIP_1) | instid1(VALU_DEP_2)
	v_sub_nc_u32_e32 v114, 0x78, v103
	v_cmp_gt_u32_e32 vcc_lo, 0x79, v103
	v_dual_cndmask_b32 v114, 0, v114 :: v_dual_and_b32 v113, 0x7fffff, v112
	s_delay_alu instid0(VALU_DEP_1) | instskip(SKIP_2) | instid1(VALU_DEP_4)
	v_or_b32_e32 v115, 0x800000, v113
	v_cmp_eq_u32_e32 vcc_lo, 0, v103
	v_add_nc_u32_e32 v103, 0xffffff89, v103
	v_cndmask_b32_e64 v114, v114, 0x77, vcc_lo
	s_delay_alu instid0(VALU_DEP_2) | instskip(SKIP_1) | instid1(VALU_DEP_3)
	v_cndmask_b32_e64 v103, v103, 0xffffff8a, vcc_lo
	v_cndmask_b32_e32 v113, v115, v113, vcc_lo
	v_lshl_add_u32 v115, 0x100000, v114, -1
	v_lshlrev_b32_e64 v118, v114, 0x80000
	s_delay_alu instid0(VALU_DEP_3) | instskip(SKIP_1) | instid1(VALU_DEP_4)
	v_lshrrev_b32_e32 v116, v114, v113
	v_add_nc_u32_e32 v114, v114, v103
	v_and_b32_e32 v113, v115, v113
	s_delay_alu instid0(VALU_DEP_3) | instskip(NEXT) | instid1(VALU_DEP_2)
	v_bfe_u32 v117, v116, 20, 1
	v_cmp_eq_u32_e64 s10, v113, v118
	s_delay_alu instid0(VALU_DEP_2) | instskip(NEXT) | instid1(VALU_DEP_1)
	v_add_nc_u32_e32 v115, -1, v117
	v_cndmask_b32_e64 v113, 0, v115, s10
	v_lshrrev_b32_e32 v115, 23, v116
	s_mov_b32 s10, exec_lo
	s_delay_alu instid0(VALU_DEP_2) | instskip(NEXT) | instid1(VALU_DEP_2)
	v_add_nc_u32_e32 v113, v113, v116
	v_xor_b32_e32 v115, 1, v115
	s_delay_alu instid0(VALU_DEP_2) | instskip(NEXT) | instid1(VALU_DEP_1)
	v_and_b32_e32 v103, 0xfffff, v113
	v_add_nc_u32_e32 v113, v103, v116
                                        ; implicit-def: $vgpr103
	s_delay_alu instid0(VALU_DEP_3)
	v_cmpx_ne_u32_e64 v114, v115
	s_xor_b32 s10, exec_lo, s10
; %bb.7240:                             ;   in Loop: Header=BB4_7127 Depth=2
	s_delay_alu instid0(VALU_DEP_2) | instskip(SKIP_2) | instid1(VALU_DEP_2)
	v_cmp_lt_u32_e32 vcc_lo, 0xffffff, v113
	v_sub_nc_u32_e32 v103, v114, v115
	v_cndmask_b32_e64 v114, 0, 1, vcc_lo
	v_add_co_ci_u32_e32 v103, vcc_lo, 0, v103, vcc_lo
	s_delay_alu instid0(VALU_DEP_2)
	v_lshrrev_b32_e32 v113, v114, v113
; %bb.7241:                             ;   in Loop: Header=BB4_7127 Depth=2
	s_and_not1_saveexec_b32 s10, s10
; %bb.7242:                             ;   in Loop: Header=BB4_7127 Depth=2
	s_delay_alu instid0(VALU_DEP_1)
	v_bfe_u32 v103, v113, 23, 1
; %bb.7243:                             ;   in Loop: Header=BB4_7127 Depth=2
	s_or_b32 exec_lo, exec_lo, s10
	v_lshrrev_b32_e32 v113, 20, v113
	s_delay_alu instid0(VALU_DEP_2) | instskip(SKIP_2) | instid1(VALU_DEP_2)
	v_cmp_gt_i32_e32 vcc_lo, 16, v103
	v_lshrrev_b32_e32 v112, 24, v112
	v_min_i32_e32 v114, 15, v103
	v_dual_cndmask_b32 v113, 7, v113 :: v_dual_and_b32 v112, 0x80, v112
	s_delay_alu instid0(VALU_DEP_1) | instskip(SKIP_1) | instid1(VALU_DEP_2)
	v_or_b32_e32 v103, v103, v113
	v_and_b32_e32 v115, 7, v113
	v_cmp_ne_u32_e32 vcc_lo, 0, v103
	v_lshlrev_b32_e32 v114, 3, v114
	s_delay_alu instid0(VALU_DEP_1) | instskip(NEXT) | instid1(VALU_DEP_1)
	v_or3_b32 v112, v114, v112, v115
	v_cndmask_b32_e32 v103, 0, v112, vcc_lo
.LBB4_7244:                             ;   in Loop: Header=BB4_7127 Depth=2
	s_or_b32 exec_lo, exec_lo, s23
.LBB4_7245:                             ;   in Loop: Header=BB4_7127 Depth=2
	s_delay_alu instid0(SALU_CYCLE_1)
	s_or_b32 exec_lo, exec_lo, s22
	flat_load_u8 v112, v[37:38] offset:288 slc dlc
	s_mov_b32 s10, 0
	s_mov_b32 s23, exec_lo
                                        ; implicit-def: $sgpr22
	s_waitcnt vmcnt(0) lgkmcnt(0)
	v_cmpx_lt_i16_e32 0x7f, v112
	s_xor_b32 s23, exec_lo, s23
	s_cbranch_execnz .LBB4_7366
; %bb.7246:                             ;   in Loop: Header=BB4_7127 Depth=2
	s_or_saveexec_b32 s23, s23
	v_mov_b32_e32 v113, s22
	s_xor_b32 exec_lo, exec_lo, s23
	s_cbranch_execnz .LBB4_7369
.LBB4_7247:                             ;   in Loop: Header=BB4_7127 Depth=2
	s_or_b32 exec_lo, exec_lo, s23
	s_and_saveexec_b32 s22, s10
	s_cbranch_execz .LBB4_7249
.LBB4_7248:                             ;   in Loop: Header=BB4_7127 Depth=2
	v_and_b32_e32 v113, 0xffff, v112
	v_lshlrev_b32_e32 v112, 24, v112
	s_delay_alu instid0(VALU_DEP_2) | instskip(NEXT) | instid1(VALU_DEP_2)
	v_and_b32_e32 v114, 7, v113
	v_and_b32_e32 v112, 0x80000000, v112
	s_delay_alu instid0(VALU_DEP_2) | instskip(NEXT) | instid1(VALU_DEP_1)
	v_clz_i32_u32_e32 v115, v114
	v_min_u32_e32 v115, 32, v115
	s_delay_alu instid0(VALU_DEP_1) | instskip(SKIP_1) | instid1(VALU_DEP_2)
	v_subrev_nc_u32_e32 v116, 28, v115
	v_sub_nc_u32_e32 v115, 29, v115
	v_lshlrev_b32_e32 v116, v116, v113
	v_bfe_u32 v113, v113, 3, 4
	s_delay_alu instid0(VALU_DEP_2) | instskip(NEXT) | instid1(VALU_DEP_2)
	v_and_b32_e32 v116, 7, v116
	v_cmp_eq_u32_e32 vcc_lo, 0, v113
	s_delay_alu instid0(VALU_DEP_2) | instskip(NEXT) | instid1(VALU_DEP_1)
	v_dual_cndmask_b32 v113, v113, v115 :: v_dual_cndmask_b32 v114, v114, v116
	v_lshl_add_u32 v113, v113, 23, 0x3b800000
	s_delay_alu instid0(VALU_DEP_2) | instskip(NEXT) | instid1(VALU_DEP_1)
	v_lshlrev_b32_e32 v114, 20, v114
	v_or3_b32 v113, v112, v113, v114
.LBB4_7249:                             ;   in Loop: Header=BB4_7127 Depth=2
	s_or_b32 exec_lo, exec_lo, s22
	s_delay_alu instid0(VALU_DEP_1) | instskip(NEXT) | instid1(VALU_DEP_1)
	v_mul_f32_e32 v113, v86, v113
	v_and_b32_e32 v112, 0x7f800000, v113
	s_delay_alu instid0(VALU_DEP_1)
	v_cmp_ne_u32_e32 vcc_lo, 0x7f800000, v112
	v_mov_b32_e32 v112, 0x80
	s_and_saveexec_b32 s22, vcc_lo
	s_cbranch_execz .LBB4_7257
; %bb.7250:                             ;   in Loop: Header=BB4_7127 Depth=2
	v_mov_b32_e32 v112, 0
	s_mov_b32 s23, exec_lo
	v_cmpx_ne_u32_e32 0, v113
	s_cbranch_execz .LBB4_7256
; %bb.7251:                             ;   in Loop: Header=BB4_7127 Depth=2
	v_bfe_u32 v112, v113, 23, 8
	s_delay_alu instid0(VALU_DEP_1) | instskip(SKIP_1) | instid1(VALU_DEP_2)
	v_sub_nc_u32_e32 v115, 0x78, v112
	v_cmp_gt_u32_e32 vcc_lo, 0x79, v112
	v_dual_cndmask_b32 v115, 0, v115 :: v_dual_and_b32 v114, 0x7fffff, v113
	s_delay_alu instid0(VALU_DEP_1) | instskip(SKIP_2) | instid1(VALU_DEP_4)
	v_or_b32_e32 v116, 0x800000, v114
	v_cmp_eq_u32_e32 vcc_lo, 0, v112
	v_add_nc_u32_e32 v112, 0xffffff89, v112
	v_cndmask_b32_e64 v115, v115, 0x77, vcc_lo
	s_delay_alu instid0(VALU_DEP_2) | instskip(SKIP_1) | instid1(VALU_DEP_3)
	v_cndmask_b32_e64 v112, v112, 0xffffff8a, vcc_lo
	v_cndmask_b32_e32 v114, v116, v114, vcc_lo
	v_lshl_add_u32 v116, 0x100000, v115, -1
	v_lshlrev_b32_e64 v119, v115, 0x80000
	s_delay_alu instid0(VALU_DEP_3) | instskip(SKIP_1) | instid1(VALU_DEP_4)
	v_lshrrev_b32_e32 v117, v115, v114
	v_add_nc_u32_e32 v115, v115, v112
	v_and_b32_e32 v114, v116, v114
	s_delay_alu instid0(VALU_DEP_3) | instskip(NEXT) | instid1(VALU_DEP_2)
	v_bfe_u32 v118, v117, 20, 1
	v_cmp_eq_u32_e64 s10, v114, v119
	s_delay_alu instid0(VALU_DEP_2) | instskip(NEXT) | instid1(VALU_DEP_1)
	v_add_nc_u32_e32 v116, -1, v118
	v_cndmask_b32_e64 v114, 0, v116, s10
	v_lshrrev_b32_e32 v116, 23, v117
	s_mov_b32 s10, exec_lo
	s_delay_alu instid0(VALU_DEP_2) | instskip(NEXT) | instid1(VALU_DEP_2)
	v_add_nc_u32_e32 v114, v114, v117
	v_xor_b32_e32 v116, 1, v116
	s_delay_alu instid0(VALU_DEP_2) | instskip(NEXT) | instid1(VALU_DEP_1)
	v_and_b32_e32 v112, 0xfffff, v114
	v_add_nc_u32_e32 v114, v112, v117
                                        ; implicit-def: $vgpr112
	s_delay_alu instid0(VALU_DEP_3)
	v_cmpx_ne_u32_e64 v115, v116
	s_xor_b32 s10, exec_lo, s10
; %bb.7252:                             ;   in Loop: Header=BB4_7127 Depth=2
	s_delay_alu instid0(VALU_DEP_2) | instskip(SKIP_2) | instid1(VALU_DEP_2)
	v_cmp_lt_u32_e32 vcc_lo, 0xffffff, v114
	v_sub_nc_u32_e32 v112, v115, v116
	v_cndmask_b32_e64 v115, 0, 1, vcc_lo
	v_add_co_ci_u32_e32 v112, vcc_lo, 0, v112, vcc_lo
	s_delay_alu instid0(VALU_DEP_2)
	v_lshrrev_b32_e32 v114, v115, v114
; %bb.7253:                             ;   in Loop: Header=BB4_7127 Depth=2
	s_and_not1_saveexec_b32 s10, s10
; %bb.7254:                             ;   in Loop: Header=BB4_7127 Depth=2
	s_delay_alu instid0(VALU_DEP_1)
	v_bfe_u32 v112, v114, 23, 1
; %bb.7255:                             ;   in Loop: Header=BB4_7127 Depth=2
	s_or_b32 exec_lo, exec_lo, s10
	v_lshrrev_b32_e32 v114, 20, v114
	s_delay_alu instid0(VALU_DEP_2) | instskip(SKIP_2) | instid1(VALU_DEP_2)
	v_cmp_gt_i32_e32 vcc_lo, 16, v112
	v_lshrrev_b32_e32 v113, 24, v113
	v_min_i32_e32 v115, 15, v112
	v_dual_cndmask_b32 v114, 7, v114 :: v_dual_and_b32 v113, 0x80, v113
	s_delay_alu instid0(VALU_DEP_1) | instskip(SKIP_1) | instid1(VALU_DEP_2)
	v_or_b32_e32 v112, v112, v114
	v_and_b32_e32 v116, 7, v114
	v_cmp_ne_u32_e32 vcc_lo, 0, v112
	v_lshlrev_b32_e32 v115, 3, v115
	s_delay_alu instid0(VALU_DEP_1) | instskip(NEXT) | instid1(VALU_DEP_1)
	v_or3_b32 v113, v115, v113, v116
	v_cndmask_b32_e32 v112, 0, v113, vcc_lo
.LBB4_7256:                             ;   in Loop: Header=BB4_7127 Depth=2
	s_or_b32 exec_lo, exec_lo, s23
.LBB4_7257:                             ;   in Loop: Header=BB4_7127 Depth=2
	s_delay_alu instid0(SALU_CYCLE_1)
	s_or_b32 exec_lo, exec_lo, s22
	flat_load_u8 v113, v[37:38] offset:320 slc dlc
	s_mov_b32 s10, 0
	s_mov_b32 s23, exec_lo
                                        ; implicit-def: $sgpr22
	s_waitcnt vmcnt(0) lgkmcnt(0)
	v_cmpx_lt_i16_e32 0x7f, v113
	s_xor_b32 s23, exec_lo, s23
	s_cbranch_execnz .LBB4_7370
; %bb.7258:                             ;   in Loop: Header=BB4_7127 Depth=2
	s_or_saveexec_b32 s23, s23
	v_mov_b32_e32 v114, s22
	s_xor_b32 exec_lo, exec_lo, s23
	s_cbranch_execnz .LBB4_7373
.LBB4_7259:                             ;   in Loop: Header=BB4_7127 Depth=2
	s_or_b32 exec_lo, exec_lo, s23
	s_and_saveexec_b32 s22, s10
	s_cbranch_execz .LBB4_7261
.LBB4_7260:                             ;   in Loop: Header=BB4_7127 Depth=2
	v_and_b32_e32 v114, 0xffff, v113
	v_lshlrev_b32_e32 v113, 24, v113
	s_delay_alu instid0(VALU_DEP_2) | instskip(NEXT) | instid1(VALU_DEP_2)
	v_and_b32_e32 v115, 7, v114
	v_and_b32_e32 v113, 0x80000000, v113
	s_delay_alu instid0(VALU_DEP_2) | instskip(NEXT) | instid1(VALU_DEP_1)
	v_clz_i32_u32_e32 v116, v115
	v_min_u32_e32 v116, 32, v116
	s_delay_alu instid0(VALU_DEP_1) | instskip(SKIP_1) | instid1(VALU_DEP_2)
	v_subrev_nc_u32_e32 v117, 28, v116
	v_sub_nc_u32_e32 v116, 29, v116
	v_lshlrev_b32_e32 v117, v117, v114
	v_bfe_u32 v114, v114, 3, 4
	s_delay_alu instid0(VALU_DEP_2) | instskip(NEXT) | instid1(VALU_DEP_2)
	v_and_b32_e32 v117, 7, v117
	v_cmp_eq_u32_e32 vcc_lo, 0, v114
	s_delay_alu instid0(VALU_DEP_2) | instskip(NEXT) | instid1(VALU_DEP_1)
	v_dual_cndmask_b32 v114, v114, v116 :: v_dual_cndmask_b32 v115, v115, v117
	v_lshl_add_u32 v114, v114, 23, 0x3b800000
	s_delay_alu instid0(VALU_DEP_2) | instskip(NEXT) | instid1(VALU_DEP_1)
	v_lshlrev_b32_e32 v115, 20, v115
	v_or3_b32 v114, v113, v114, v115
.LBB4_7261:                             ;   in Loop: Header=BB4_7127 Depth=2
	s_or_b32 exec_lo, exec_lo, s22
	s_delay_alu instid0(VALU_DEP_1) | instskip(NEXT) | instid1(VALU_DEP_1)
	v_mul_f32_e32 v114, v86, v114
	v_and_b32_e32 v113, 0x7f800000, v114
	s_delay_alu instid0(VALU_DEP_1)
	v_cmp_ne_u32_e32 vcc_lo, 0x7f800000, v113
	v_mov_b32_e32 v113, 0x80
	s_and_saveexec_b32 s22, vcc_lo
	s_cbranch_execz .LBB4_7269
; %bb.7262:                             ;   in Loop: Header=BB4_7127 Depth=2
	v_mov_b32_e32 v113, 0
	s_mov_b32 s23, exec_lo
	v_cmpx_ne_u32_e32 0, v114
	s_cbranch_execz .LBB4_7268
; %bb.7263:                             ;   in Loop: Header=BB4_7127 Depth=2
	v_bfe_u32 v113, v114, 23, 8
	s_delay_alu instid0(VALU_DEP_1) | instskip(SKIP_1) | instid1(VALU_DEP_2)
	v_sub_nc_u32_e32 v116, 0x78, v113
	v_cmp_gt_u32_e32 vcc_lo, 0x79, v113
	v_dual_cndmask_b32 v116, 0, v116 :: v_dual_and_b32 v115, 0x7fffff, v114
	s_delay_alu instid0(VALU_DEP_1) | instskip(SKIP_2) | instid1(VALU_DEP_4)
	v_or_b32_e32 v117, 0x800000, v115
	v_cmp_eq_u32_e32 vcc_lo, 0, v113
	v_add_nc_u32_e32 v113, 0xffffff89, v113
	v_cndmask_b32_e64 v116, v116, 0x77, vcc_lo
	s_delay_alu instid0(VALU_DEP_2) | instskip(SKIP_1) | instid1(VALU_DEP_3)
	v_cndmask_b32_e64 v113, v113, 0xffffff8a, vcc_lo
	v_cndmask_b32_e32 v115, v117, v115, vcc_lo
	v_lshl_add_u32 v117, 0x100000, v116, -1
	v_lshlrev_b32_e64 v128, v116, 0x80000
	s_delay_alu instid0(VALU_DEP_3) | instskip(SKIP_1) | instid1(VALU_DEP_4)
	v_lshrrev_b32_e32 v118, v116, v115
	v_add_nc_u32_e32 v116, v116, v113
	v_and_b32_e32 v115, v117, v115
	s_delay_alu instid0(VALU_DEP_3) | instskip(NEXT) | instid1(VALU_DEP_2)
	v_bfe_u32 v119, v118, 20, 1
	v_cmp_eq_u32_e64 s10, v115, v128
	s_delay_alu instid0(VALU_DEP_2) | instskip(NEXT) | instid1(VALU_DEP_1)
	v_add_nc_u32_e32 v117, -1, v119
	v_cndmask_b32_e64 v115, 0, v117, s10
	v_lshrrev_b32_e32 v117, 23, v118
	s_mov_b32 s10, exec_lo
	s_delay_alu instid0(VALU_DEP_2) | instskip(NEXT) | instid1(VALU_DEP_2)
	v_add_nc_u32_e32 v115, v115, v118
	v_xor_b32_e32 v117, 1, v117
	s_delay_alu instid0(VALU_DEP_2) | instskip(NEXT) | instid1(VALU_DEP_1)
	v_and_b32_e32 v113, 0xfffff, v115
	v_add_nc_u32_e32 v115, v113, v118
                                        ; implicit-def: $vgpr113
	s_delay_alu instid0(VALU_DEP_3)
	v_cmpx_ne_u32_e64 v116, v117
	s_xor_b32 s10, exec_lo, s10
; %bb.7264:                             ;   in Loop: Header=BB4_7127 Depth=2
	s_delay_alu instid0(VALU_DEP_2) | instskip(SKIP_2) | instid1(VALU_DEP_2)
	v_cmp_lt_u32_e32 vcc_lo, 0xffffff, v115
	v_sub_nc_u32_e32 v113, v116, v117
	v_cndmask_b32_e64 v116, 0, 1, vcc_lo
	v_add_co_ci_u32_e32 v113, vcc_lo, 0, v113, vcc_lo
	s_delay_alu instid0(VALU_DEP_2)
	v_lshrrev_b32_e32 v115, v116, v115
; %bb.7265:                             ;   in Loop: Header=BB4_7127 Depth=2
	s_and_not1_saveexec_b32 s10, s10
; %bb.7266:                             ;   in Loop: Header=BB4_7127 Depth=2
	s_delay_alu instid0(VALU_DEP_1)
	v_bfe_u32 v113, v115, 23, 1
; %bb.7267:                             ;   in Loop: Header=BB4_7127 Depth=2
	s_or_b32 exec_lo, exec_lo, s10
	v_lshrrev_b32_e32 v115, 20, v115
	s_delay_alu instid0(VALU_DEP_2) | instskip(SKIP_2) | instid1(VALU_DEP_2)
	v_cmp_gt_i32_e32 vcc_lo, 16, v113
	v_lshrrev_b32_e32 v114, 24, v114
	v_min_i32_e32 v116, 15, v113
	v_dual_cndmask_b32 v115, 7, v115 :: v_dual_and_b32 v114, 0x80, v114
	s_delay_alu instid0(VALU_DEP_1) | instskip(SKIP_1) | instid1(VALU_DEP_2)
	v_or_b32_e32 v113, v113, v115
	v_and_b32_e32 v117, 7, v115
	v_cmp_ne_u32_e32 vcc_lo, 0, v113
	v_lshlrev_b32_e32 v116, 3, v116
	s_delay_alu instid0(VALU_DEP_1) | instskip(NEXT) | instid1(VALU_DEP_1)
	v_or3_b32 v114, v116, v114, v117
	v_cndmask_b32_e32 v113, 0, v114, vcc_lo
.LBB4_7268:                             ;   in Loop: Header=BB4_7127 Depth=2
	s_or_b32 exec_lo, exec_lo, s23
.LBB4_7269:                             ;   in Loop: Header=BB4_7127 Depth=2
	s_delay_alu instid0(SALU_CYCLE_1)
	s_or_b32 exec_lo, exec_lo, s22
	flat_load_u8 v114, v[37:38] offset:352 slc dlc
	s_mov_b32 s10, 0
	s_mov_b32 s23, exec_lo
                                        ; implicit-def: $sgpr22
	s_waitcnt vmcnt(0) lgkmcnt(0)
	v_cmpx_lt_i16_e32 0x7f, v114
	s_xor_b32 s23, exec_lo, s23
	s_cbranch_execnz .LBB4_7374
; %bb.7270:                             ;   in Loop: Header=BB4_7127 Depth=2
	s_or_saveexec_b32 s23, s23
	v_mov_b32_e32 v115, s22
	s_xor_b32 exec_lo, exec_lo, s23
	s_cbranch_execnz .LBB4_7377
.LBB4_7271:                             ;   in Loop: Header=BB4_7127 Depth=2
	s_or_b32 exec_lo, exec_lo, s23
	s_and_saveexec_b32 s22, s10
	s_cbranch_execz .LBB4_7273
.LBB4_7272:                             ;   in Loop: Header=BB4_7127 Depth=2
	v_and_b32_e32 v115, 0xffff, v114
	v_lshlrev_b32_e32 v114, 24, v114
	s_delay_alu instid0(VALU_DEP_2) | instskip(NEXT) | instid1(VALU_DEP_2)
	v_and_b32_e32 v116, 7, v115
	v_and_b32_e32 v114, 0x80000000, v114
	s_delay_alu instid0(VALU_DEP_2) | instskip(NEXT) | instid1(VALU_DEP_1)
	v_clz_i32_u32_e32 v117, v116
	v_min_u32_e32 v117, 32, v117
	s_delay_alu instid0(VALU_DEP_1) | instskip(SKIP_1) | instid1(VALU_DEP_2)
	v_subrev_nc_u32_e32 v118, 28, v117
	v_sub_nc_u32_e32 v117, 29, v117
	v_lshlrev_b32_e32 v118, v118, v115
	v_bfe_u32 v115, v115, 3, 4
	s_delay_alu instid0(VALU_DEP_2) | instskip(NEXT) | instid1(VALU_DEP_2)
	v_and_b32_e32 v118, 7, v118
	v_cmp_eq_u32_e32 vcc_lo, 0, v115
	s_delay_alu instid0(VALU_DEP_2) | instskip(NEXT) | instid1(VALU_DEP_1)
	v_dual_cndmask_b32 v115, v115, v117 :: v_dual_cndmask_b32 v116, v116, v118
	v_lshl_add_u32 v115, v115, 23, 0x3b800000
	s_delay_alu instid0(VALU_DEP_2) | instskip(NEXT) | instid1(VALU_DEP_1)
	v_lshlrev_b32_e32 v116, 20, v116
	v_or3_b32 v115, v114, v115, v116
.LBB4_7273:                             ;   in Loop: Header=BB4_7127 Depth=2
	s_or_b32 exec_lo, exec_lo, s22
	s_delay_alu instid0(VALU_DEP_1) | instskip(NEXT) | instid1(VALU_DEP_1)
	v_mul_f32_e32 v115, v86, v115
	v_and_b32_e32 v114, 0x7f800000, v115
	s_delay_alu instid0(VALU_DEP_1)
	v_cmp_ne_u32_e32 vcc_lo, 0x7f800000, v114
	v_mov_b32_e32 v114, 0x80
	s_and_saveexec_b32 s22, vcc_lo
	s_cbranch_execz .LBB4_7281
; %bb.7274:                             ;   in Loop: Header=BB4_7127 Depth=2
	v_mov_b32_e32 v114, 0
	s_mov_b32 s23, exec_lo
	v_cmpx_ne_u32_e32 0, v115
	s_cbranch_execz .LBB4_7280
; %bb.7275:                             ;   in Loop: Header=BB4_7127 Depth=2
	v_bfe_u32 v114, v115, 23, 8
	s_delay_alu instid0(VALU_DEP_1) | instskip(SKIP_1) | instid1(VALU_DEP_2)
	v_sub_nc_u32_e32 v117, 0x78, v114
	v_cmp_gt_u32_e32 vcc_lo, 0x79, v114
	v_dual_cndmask_b32 v117, 0, v117 :: v_dual_and_b32 v116, 0x7fffff, v115
	s_delay_alu instid0(VALU_DEP_1) | instskip(SKIP_2) | instid1(VALU_DEP_4)
	v_or_b32_e32 v118, 0x800000, v116
	v_cmp_eq_u32_e32 vcc_lo, 0, v114
	v_add_nc_u32_e32 v114, 0xffffff89, v114
	v_cndmask_b32_e64 v117, v117, 0x77, vcc_lo
	s_delay_alu instid0(VALU_DEP_2) | instskip(SKIP_1) | instid1(VALU_DEP_3)
	v_cndmask_b32_e64 v114, v114, 0xffffff8a, vcc_lo
	v_cndmask_b32_e32 v116, v118, v116, vcc_lo
	v_lshl_add_u32 v118, 0x100000, v117, -1
	v_lshlrev_b32_e64 v129, v117, 0x80000
	s_delay_alu instid0(VALU_DEP_3) | instskip(SKIP_1) | instid1(VALU_DEP_4)
	v_lshrrev_b32_e32 v119, v117, v116
	v_add_nc_u32_e32 v117, v117, v114
	v_and_b32_e32 v116, v118, v116
	s_delay_alu instid0(VALU_DEP_3) | instskip(NEXT) | instid1(VALU_DEP_2)
	v_bfe_u32 v128, v119, 20, 1
	v_cmp_eq_u32_e64 s10, v116, v129
	s_delay_alu instid0(VALU_DEP_2) | instskip(NEXT) | instid1(VALU_DEP_1)
	v_add_nc_u32_e32 v118, -1, v128
	v_cndmask_b32_e64 v116, 0, v118, s10
	v_lshrrev_b32_e32 v118, 23, v119
	s_mov_b32 s10, exec_lo
	s_delay_alu instid0(VALU_DEP_2) | instskip(NEXT) | instid1(VALU_DEP_2)
	v_add_nc_u32_e32 v116, v116, v119
	v_xor_b32_e32 v118, 1, v118
	s_delay_alu instid0(VALU_DEP_2) | instskip(NEXT) | instid1(VALU_DEP_1)
	v_and_b32_e32 v114, 0xfffff, v116
	v_add_nc_u32_e32 v116, v114, v119
                                        ; implicit-def: $vgpr114
	s_delay_alu instid0(VALU_DEP_3)
	v_cmpx_ne_u32_e64 v117, v118
	s_xor_b32 s10, exec_lo, s10
; %bb.7276:                             ;   in Loop: Header=BB4_7127 Depth=2
	s_delay_alu instid0(VALU_DEP_2) | instskip(SKIP_2) | instid1(VALU_DEP_2)
	v_cmp_lt_u32_e32 vcc_lo, 0xffffff, v116
	v_sub_nc_u32_e32 v114, v117, v118
	v_cndmask_b32_e64 v117, 0, 1, vcc_lo
	v_add_co_ci_u32_e32 v114, vcc_lo, 0, v114, vcc_lo
	s_delay_alu instid0(VALU_DEP_2)
	v_lshrrev_b32_e32 v116, v117, v116
; %bb.7277:                             ;   in Loop: Header=BB4_7127 Depth=2
	s_and_not1_saveexec_b32 s10, s10
; %bb.7278:                             ;   in Loop: Header=BB4_7127 Depth=2
	s_delay_alu instid0(VALU_DEP_1)
	v_bfe_u32 v114, v116, 23, 1
; %bb.7279:                             ;   in Loop: Header=BB4_7127 Depth=2
	s_or_b32 exec_lo, exec_lo, s10
	v_lshrrev_b32_e32 v116, 20, v116
	s_delay_alu instid0(VALU_DEP_2) | instskip(SKIP_2) | instid1(VALU_DEP_2)
	v_cmp_gt_i32_e32 vcc_lo, 16, v114
	v_lshrrev_b32_e32 v115, 24, v115
	v_min_i32_e32 v117, 15, v114
	v_dual_cndmask_b32 v116, 7, v116 :: v_dual_and_b32 v115, 0x80, v115
	s_delay_alu instid0(VALU_DEP_1) | instskip(SKIP_1) | instid1(VALU_DEP_2)
	v_or_b32_e32 v114, v114, v116
	v_and_b32_e32 v118, 7, v116
	v_cmp_ne_u32_e32 vcc_lo, 0, v114
	v_lshlrev_b32_e32 v117, 3, v117
	s_delay_alu instid0(VALU_DEP_1) | instskip(NEXT) | instid1(VALU_DEP_1)
	v_or3_b32 v115, v117, v115, v118
	v_cndmask_b32_e32 v114, 0, v115, vcc_lo
.LBB4_7280:                             ;   in Loop: Header=BB4_7127 Depth=2
	s_or_b32 exec_lo, exec_lo, s23
.LBB4_7281:                             ;   in Loop: Header=BB4_7127 Depth=2
	s_delay_alu instid0(SALU_CYCLE_1)
	s_or_b32 exec_lo, exec_lo, s22
	flat_load_u8 v115, v[37:38] offset:384 slc dlc
	s_mov_b32 s10, 0
	s_mov_b32 s23, exec_lo
                                        ; implicit-def: $sgpr22
	s_waitcnt vmcnt(0) lgkmcnt(0)
	v_cmpx_lt_i16_e32 0x7f, v115
	s_xor_b32 s23, exec_lo, s23
	s_cbranch_execnz .LBB4_7378
; %bb.7282:                             ;   in Loop: Header=BB4_7127 Depth=2
	s_or_saveexec_b32 s23, s23
	v_mov_b32_e32 v116, s22
	s_xor_b32 exec_lo, exec_lo, s23
	s_cbranch_execnz .LBB4_7381
.LBB4_7283:                             ;   in Loop: Header=BB4_7127 Depth=2
	s_or_b32 exec_lo, exec_lo, s23
	s_and_saveexec_b32 s22, s10
	s_cbranch_execz .LBB4_7285
.LBB4_7284:                             ;   in Loop: Header=BB4_7127 Depth=2
	v_and_b32_e32 v116, 0xffff, v115
	v_lshlrev_b32_e32 v115, 24, v115
	s_delay_alu instid0(VALU_DEP_2) | instskip(NEXT) | instid1(VALU_DEP_2)
	v_and_b32_e32 v117, 7, v116
	v_and_b32_e32 v115, 0x80000000, v115
	s_delay_alu instid0(VALU_DEP_2) | instskip(NEXT) | instid1(VALU_DEP_1)
	v_clz_i32_u32_e32 v118, v117
	v_min_u32_e32 v118, 32, v118
	s_delay_alu instid0(VALU_DEP_1) | instskip(SKIP_1) | instid1(VALU_DEP_2)
	v_subrev_nc_u32_e32 v119, 28, v118
	v_sub_nc_u32_e32 v118, 29, v118
	v_lshlrev_b32_e32 v119, v119, v116
	v_bfe_u32 v116, v116, 3, 4
	s_delay_alu instid0(VALU_DEP_2) | instskip(NEXT) | instid1(VALU_DEP_2)
	v_and_b32_e32 v119, 7, v119
	v_cmp_eq_u32_e32 vcc_lo, 0, v116
	s_delay_alu instid0(VALU_DEP_2) | instskip(NEXT) | instid1(VALU_DEP_1)
	v_dual_cndmask_b32 v116, v116, v118 :: v_dual_cndmask_b32 v117, v117, v119
	v_lshl_add_u32 v116, v116, 23, 0x3b800000
	s_delay_alu instid0(VALU_DEP_2) | instskip(NEXT) | instid1(VALU_DEP_1)
	v_lshlrev_b32_e32 v117, 20, v117
	v_or3_b32 v116, v115, v116, v117
.LBB4_7285:                             ;   in Loop: Header=BB4_7127 Depth=2
	s_or_b32 exec_lo, exec_lo, s22
	s_delay_alu instid0(VALU_DEP_1) | instskip(NEXT) | instid1(VALU_DEP_1)
	v_mul_f32_e32 v116, v86, v116
	v_and_b32_e32 v115, 0x7f800000, v116
	s_delay_alu instid0(VALU_DEP_1)
	v_cmp_ne_u32_e32 vcc_lo, 0x7f800000, v115
	v_mov_b32_e32 v115, 0x80
	s_and_saveexec_b32 s22, vcc_lo
	s_cbranch_execz .LBB4_7293
; %bb.7286:                             ;   in Loop: Header=BB4_7127 Depth=2
	v_mov_b32_e32 v115, 0
	s_mov_b32 s23, exec_lo
	v_cmpx_ne_u32_e32 0, v116
	s_cbranch_execz .LBB4_7292
; %bb.7287:                             ;   in Loop: Header=BB4_7127 Depth=2
	v_bfe_u32 v115, v116, 23, 8
	s_delay_alu instid0(VALU_DEP_1) | instskip(SKIP_1) | instid1(VALU_DEP_2)
	v_sub_nc_u32_e32 v118, 0x78, v115
	v_cmp_gt_u32_e32 vcc_lo, 0x79, v115
	v_dual_cndmask_b32 v118, 0, v118 :: v_dual_and_b32 v117, 0x7fffff, v116
	s_delay_alu instid0(VALU_DEP_1) | instskip(SKIP_2) | instid1(VALU_DEP_4)
	v_or_b32_e32 v119, 0x800000, v117
	v_cmp_eq_u32_e32 vcc_lo, 0, v115
	v_add_nc_u32_e32 v115, 0xffffff89, v115
	v_cndmask_b32_e64 v118, v118, 0x77, vcc_lo
	s_delay_alu instid0(VALU_DEP_2) | instskip(SKIP_1) | instid1(VALU_DEP_3)
	v_cndmask_b32_e64 v115, v115, 0xffffff8a, vcc_lo
	v_cndmask_b32_e32 v117, v119, v117, vcc_lo
	v_lshl_add_u32 v119, 0x100000, v118, -1
	v_lshlrev_b32_e64 v130, v118, 0x80000
	s_delay_alu instid0(VALU_DEP_3) | instskip(SKIP_1) | instid1(VALU_DEP_4)
	v_lshrrev_b32_e32 v128, v118, v117
	v_add_nc_u32_e32 v118, v118, v115
	v_and_b32_e32 v117, v119, v117
	s_delay_alu instid0(VALU_DEP_3) | instskip(NEXT) | instid1(VALU_DEP_2)
	v_bfe_u32 v129, v128, 20, 1
	v_cmp_eq_u32_e64 s10, v117, v130
	s_delay_alu instid0(VALU_DEP_2) | instskip(NEXT) | instid1(VALU_DEP_1)
	v_add_nc_u32_e32 v119, -1, v129
	v_cndmask_b32_e64 v117, 0, v119, s10
	v_lshrrev_b32_e32 v119, 23, v128
	s_mov_b32 s10, exec_lo
	s_delay_alu instid0(VALU_DEP_2) | instskip(NEXT) | instid1(VALU_DEP_2)
	v_add_nc_u32_e32 v117, v117, v128
	v_xor_b32_e32 v119, 1, v119
	s_delay_alu instid0(VALU_DEP_2) | instskip(NEXT) | instid1(VALU_DEP_1)
	v_and_b32_e32 v115, 0xfffff, v117
	v_add_nc_u32_e32 v117, v115, v128
                                        ; implicit-def: $vgpr115
	s_delay_alu instid0(VALU_DEP_3)
	v_cmpx_ne_u32_e64 v118, v119
	s_xor_b32 s10, exec_lo, s10
; %bb.7288:                             ;   in Loop: Header=BB4_7127 Depth=2
	s_delay_alu instid0(VALU_DEP_2) | instskip(SKIP_2) | instid1(VALU_DEP_2)
	v_cmp_lt_u32_e32 vcc_lo, 0xffffff, v117
	v_sub_nc_u32_e32 v115, v118, v119
	v_cndmask_b32_e64 v118, 0, 1, vcc_lo
	v_add_co_ci_u32_e32 v115, vcc_lo, 0, v115, vcc_lo
	s_delay_alu instid0(VALU_DEP_2)
	v_lshrrev_b32_e32 v117, v118, v117
; %bb.7289:                             ;   in Loop: Header=BB4_7127 Depth=2
	s_and_not1_saveexec_b32 s10, s10
; %bb.7290:                             ;   in Loop: Header=BB4_7127 Depth=2
	s_delay_alu instid0(VALU_DEP_1)
	v_bfe_u32 v115, v117, 23, 1
; %bb.7291:                             ;   in Loop: Header=BB4_7127 Depth=2
	s_or_b32 exec_lo, exec_lo, s10
	v_lshrrev_b32_e32 v117, 20, v117
	s_delay_alu instid0(VALU_DEP_2) | instskip(SKIP_2) | instid1(VALU_DEP_2)
	v_cmp_gt_i32_e32 vcc_lo, 16, v115
	v_lshrrev_b32_e32 v116, 24, v116
	v_min_i32_e32 v118, 15, v115
	v_dual_cndmask_b32 v117, 7, v117 :: v_dual_and_b32 v116, 0x80, v116
	s_delay_alu instid0(VALU_DEP_1) | instskip(SKIP_1) | instid1(VALU_DEP_2)
	v_or_b32_e32 v115, v115, v117
	v_and_b32_e32 v119, 7, v117
	v_cmp_ne_u32_e32 vcc_lo, 0, v115
	v_lshlrev_b32_e32 v118, 3, v118
	s_delay_alu instid0(VALU_DEP_1) | instskip(NEXT) | instid1(VALU_DEP_1)
	v_or3_b32 v116, v118, v116, v119
	v_cndmask_b32_e32 v115, 0, v116, vcc_lo
.LBB4_7292:                             ;   in Loop: Header=BB4_7127 Depth=2
	s_or_b32 exec_lo, exec_lo, s23
.LBB4_7293:                             ;   in Loop: Header=BB4_7127 Depth=2
	s_delay_alu instid0(SALU_CYCLE_1)
	s_or_b32 exec_lo, exec_lo, s22
	flat_load_u8 v116, v[37:38] offset:416 slc dlc
	s_mov_b32 s10, 0
	s_mov_b32 s23, exec_lo
                                        ; implicit-def: $sgpr22
	s_waitcnt vmcnt(0) lgkmcnt(0)
	v_cmpx_lt_i16_e32 0x7f, v116
	s_xor_b32 s23, exec_lo, s23
	s_cbranch_execnz .LBB4_7382
; %bb.7294:                             ;   in Loop: Header=BB4_7127 Depth=2
	s_or_saveexec_b32 s23, s23
	v_mov_b32_e32 v117, s22
	s_xor_b32 exec_lo, exec_lo, s23
	s_cbranch_execnz .LBB4_7385
.LBB4_7295:                             ;   in Loop: Header=BB4_7127 Depth=2
	s_or_b32 exec_lo, exec_lo, s23
	s_and_saveexec_b32 s22, s10
	s_cbranch_execz .LBB4_7297
.LBB4_7296:                             ;   in Loop: Header=BB4_7127 Depth=2
	v_and_b32_e32 v117, 0xffff, v116
	v_lshlrev_b32_e32 v116, 24, v116
	s_delay_alu instid0(VALU_DEP_2) | instskip(NEXT) | instid1(VALU_DEP_2)
	v_and_b32_e32 v118, 7, v117
	v_and_b32_e32 v116, 0x80000000, v116
	s_delay_alu instid0(VALU_DEP_2) | instskip(NEXT) | instid1(VALU_DEP_1)
	v_clz_i32_u32_e32 v119, v118
	v_min_u32_e32 v119, 32, v119
	s_delay_alu instid0(VALU_DEP_1) | instskip(SKIP_1) | instid1(VALU_DEP_2)
	v_subrev_nc_u32_e32 v128, 28, v119
	v_sub_nc_u32_e32 v119, 29, v119
	v_lshlrev_b32_e32 v128, v128, v117
	v_bfe_u32 v117, v117, 3, 4
	s_delay_alu instid0(VALU_DEP_2) | instskip(NEXT) | instid1(VALU_DEP_2)
	v_and_b32_e32 v128, 7, v128
	v_cmp_eq_u32_e32 vcc_lo, 0, v117
	s_delay_alu instid0(VALU_DEP_2) | instskip(NEXT) | instid1(VALU_DEP_1)
	v_dual_cndmask_b32 v117, v117, v119 :: v_dual_cndmask_b32 v118, v118, v128
	v_lshl_add_u32 v117, v117, 23, 0x3b800000
	s_delay_alu instid0(VALU_DEP_2) | instskip(NEXT) | instid1(VALU_DEP_1)
	v_lshlrev_b32_e32 v118, 20, v118
	v_or3_b32 v117, v116, v117, v118
.LBB4_7297:                             ;   in Loop: Header=BB4_7127 Depth=2
	s_or_b32 exec_lo, exec_lo, s22
	s_delay_alu instid0(VALU_DEP_1) | instskip(NEXT) | instid1(VALU_DEP_1)
	v_mul_f32_e32 v117, v86, v117
	v_and_b32_e32 v116, 0x7f800000, v117
	s_delay_alu instid0(VALU_DEP_1)
	v_cmp_ne_u32_e32 vcc_lo, 0x7f800000, v116
	v_mov_b32_e32 v116, 0x80
	s_and_saveexec_b32 s22, vcc_lo
	s_cbranch_execz .LBB4_7305
; %bb.7298:                             ;   in Loop: Header=BB4_7127 Depth=2
	v_mov_b32_e32 v116, 0
	s_mov_b32 s23, exec_lo
	v_cmpx_ne_u32_e32 0, v117
	s_cbranch_execz .LBB4_7304
; %bb.7299:                             ;   in Loop: Header=BB4_7127 Depth=2
	v_bfe_u32 v116, v117, 23, 8
	s_delay_alu instid0(VALU_DEP_1) | instskip(SKIP_1) | instid1(VALU_DEP_2)
	v_sub_nc_u32_e32 v119, 0x78, v116
	v_cmp_gt_u32_e32 vcc_lo, 0x79, v116
	v_dual_cndmask_b32 v119, 0, v119 :: v_dual_and_b32 v118, 0x7fffff, v117
	s_delay_alu instid0(VALU_DEP_1) | instskip(SKIP_2) | instid1(VALU_DEP_4)
	v_or_b32_e32 v128, 0x800000, v118
	v_cmp_eq_u32_e32 vcc_lo, 0, v116
	v_add_nc_u32_e32 v116, 0xffffff89, v116
	v_cndmask_b32_e64 v119, v119, 0x77, vcc_lo
	s_delay_alu instid0(VALU_DEP_2) | instskip(SKIP_1) | instid1(VALU_DEP_3)
	v_cndmask_b32_e64 v116, v116, 0xffffff8a, vcc_lo
	v_cndmask_b32_e32 v118, v128, v118, vcc_lo
	v_lshl_add_u32 v128, 0x100000, v119, -1
	v_lshlrev_b32_e64 v131, v119, 0x80000
	s_delay_alu instid0(VALU_DEP_3) | instskip(SKIP_1) | instid1(VALU_DEP_4)
	v_lshrrev_b32_e32 v129, v119, v118
	v_add_nc_u32_e32 v119, v119, v116
	v_and_b32_e32 v118, v128, v118
	s_delay_alu instid0(VALU_DEP_3) | instskip(NEXT) | instid1(VALU_DEP_2)
	v_bfe_u32 v130, v129, 20, 1
	v_cmp_eq_u32_e64 s10, v118, v131
	s_delay_alu instid0(VALU_DEP_2) | instskip(NEXT) | instid1(VALU_DEP_1)
	v_add_nc_u32_e32 v128, -1, v130
	v_cndmask_b32_e64 v118, 0, v128, s10
	v_lshrrev_b32_e32 v128, 23, v129
	s_mov_b32 s10, exec_lo
	s_delay_alu instid0(VALU_DEP_2) | instskip(NEXT) | instid1(VALU_DEP_2)
	v_add_nc_u32_e32 v118, v118, v129
	v_xor_b32_e32 v128, 1, v128
	s_delay_alu instid0(VALU_DEP_2) | instskip(NEXT) | instid1(VALU_DEP_1)
	v_and_b32_e32 v116, 0xfffff, v118
	v_add_nc_u32_e32 v118, v116, v129
                                        ; implicit-def: $vgpr116
	s_delay_alu instid0(VALU_DEP_3)
	v_cmpx_ne_u32_e64 v119, v128
	s_xor_b32 s10, exec_lo, s10
; %bb.7300:                             ;   in Loop: Header=BB4_7127 Depth=2
	s_delay_alu instid0(VALU_DEP_2) | instskip(SKIP_2) | instid1(VALU_DEP_2)
	v_cmp_lt_u32_e32 vcc_lo, 0xffffff, v118
	v_sub_nc_u32_e32 v116, v119, v128
	v_cndmask_b32_e64 v119, 0, 1, vcc_lo
	v_add_co_ci_u32_e32 v116, vcc_lo, 0, v116, vcc_lo
	s_delay_alu instid0(VALU_DEP_2)
	v_lshrrev_b32_e32 v118, v119, v118
; %bb.7301:                             ;   in Loop: Header=BB4_7127 Depth=2
	s_and_not1_saveexec_b32 s10, s10
; %bb.7302:                             ;   in Loop: Header=BB4_7127 Depth=2
	s_delay_alu instid0(VALU_DEP_1)
	v_bfe_u32 v116, v118, 23, 1
; %bb.7303:                             ;   in Loop: Header=BB4_7127 Depth=2
	s_or_b32 exec_lo, exec_lo, s10
	v_lshrrev_b32_e32 v118, 20, v118
	s_delay_alu instid0(VALU_DEP_2) | instskip(SKIP_2) | instid1(VALU_DEP_2)
	v_cmp_gt_i32_e32 vcc_lo, 16, v116
	v_lshrrev_b32_e32 v117, 24, v117
	v_min_i32_e32 v119, 15, v116
	v_dual_cndmask_b32 v118, 7, v118 :: v_dual_and_b32 v117, 0x80, v117
	s_delay_alu instid0(VALU_DEP_1) | instskip(SKIP_1) | instid1(VALU_DEP_2)
	v_or_b32_e32 v116, v116, v118
	v_and_b32_e32 v128, 7, v118
	v_cmp_ne_u32_e32 vcc_lo, 0, v116
	v_lshlrev_b32_e32 v119, 3, v119
	s_delay_alu instid0(VALU_DEP_1) | instskip(NEXT) | instid1(VALU_DEP_1)
	v_or3_b32 v117, v119, v117, v128
	v_cndmask_b32_e32 v116, 0, v117, vcc_lo
.LBB4_7304:                             ;   in Loop: Header=BB4_7127 Depth=2
	s_or_b32 exec_lo, exec_lo, s23
.LBB4_7305:                             ;   in Loop: Header=BB4_7127 Depth=2
	s_delay_alu instid0(SALU_CYCLE_1)
	s_or_b32 exec_lo, exec_lo, s22
	flat_load_u8 v117, v[37:38] offset:448 slc dlc
	s_mov_b32 s10, 0
	s_mov_b32 s23, exec_lo
                                        ; implicit-def: $sgpr22
	s_waitcnt vmcnt(0) lgkmcnt(0)
	v_cmpx_lt_i16_e32 0x7f, v117
	s_xor_b32 s23, exec_lo, s23
	s_cbranch_execnz .LBB4_7386
; %bb.7306:                             ;   in Loop: Header=BB4_7127 Depth=2
	s_or_saveexec_b32 s23, s23
	v_mov_b32_e32 v118, s22
	s_xor_b32 exec_lo, exec_lo, s23
	s_cbranch_execnz .LBB4_7389
.LBB4_7307:                             ;   in Loop: Header=BB4_7127 Depth=2
	s_or_b32 exec_lo, exec_lo, s23
	s_and_saveexec_b32 s22, s10
	s_cbranch_execz .LBB4_7309
.LBB4_7308:                             ;   in Loop: Header=BB4_7127 Depth=2
	v_and_b32_e32 v118, 0xffff, v117
	v_lshlrev_b32_e32 v117, 24, v117
	s_delay_alu instid0(VALU_DEP_2) | instskip(NEXT) | instid1(VALU_DEP_2)
	v_and_b32_e32 v119, 7, v118
	v_and_b32_e32 v117, 0x80000000, v117
	s_delay_alu instid0(VALU_DEP_2) | instskip(NEXT) | instid1(VALU_DEP_1)
	v_clz_i32_u32_e32 v128, v119
	v_min_u32_e32 v128, 32, v128
	s_delay_alu instid0(VALU_DEP_1) | instskip(SKIP_1) | instid1(VALU_DEP_2)
	v_subrev_nc_u32_e32 v129, 28, v128
	v_sub_nc_u32_e32 v128, 29, v128
	v_lshlrev_b32_e32 v129, v129, v118
	v_bfe_u32 v118, v118, 3, 4
	s_delay_alu instid0(VALU_DEP_2) | instskip(NEXT) | instid1(VALU_DEP_2)
	v_and_b32_e32 v129, 7, v129
	v_cmp_eq_u32_e32 vcc_lo, 0, v118
	s_delay_alu instid0(VALU_DEP_2) | instskip(NEXT) | instid1(VALU_DEP_1)
	v_dual_cndmask_b32 v118, v118, v128 :: v_dual_cndmask_b32 v119, v119, v129
	v_lshl_add_u32 v118, v118, 23, 0x3b800000
	s_delay_alu instid0(VALU_DEP_2) | instskip(NEXT) | instid1(VALU_DEP_1)
	v_lshlrev_b32_e32 v119, 20, v119
	v_or3_b32 v118, v117, v118, v119
.LBB4_7309:                             ;   in Loop: Header=BB4_7127 Depth=2
	s_or_b32 exec_lo, exec_lo, s22
	s_delay_alu instid0(VALU_DEP_1) | instskip(NEXT) | instid1(VALU_DEP_1)
	v_mul_f32_e32 v118, v86, v118
	v_and_b32_e32 v117, 0x7f800000, v118
	s_delay_alu instid0(VALU_DEP_1)
	v_cmp_ne_u32_e32 vcc_lo, 0x7f800000, v117
	v_mov_b32_e32 v117, 0x80
	s_and_saveexec_b32 s22, vcc_lo
	s_cbranch_execz .LBB4_7317
; %bb.7310:                             ;   in Loop: Header=BB4_7127 Depth=2
	v_mov_b32_e32 v117, 0
	s_mov_b32 s23, exec_lo
	v_cmpx_ne_u32_e32 0, v118
	s_cbranch_execz .LBB4_7316
; %bb.7311:                             ;   in Loop: Header=BB4_7127 Depth=2
	v_bfe_u32 v117, v118, 23, 8
	s_delay_alu instid0(VALU_DEP_1) | instskip(SKIP_1) | instid1(VALU_DEP_2)
	v_sub_nc_u32_e32 v128, 0x78, v117
	v_cmp_gt_u32_e32 vcc_lo, 0x79, v117
	v_dual_cndmask_b32 v128, 0, v128 :: v_dual_and_b32 v119, 0x7fffff, v118
	s_delay_alu instid0(VALU_DEP_1) | instskip(SKIP_2) | instid1(VALU_DEP_4)
	v_or_b32_e32 v129, 0x800000, v119
	v_cmp_eq_u32_e32 vcc_lo, 0, v117
	v_add_nc_u32_e32 v117, 0xffffff89, v117
	v_cndmask_b32_e64 v128, v128, 0x77, vcc_lo
	s_delay_alu instid0(VALU_DEP_2) | instskip(SKIP_1) | instid1(VALU_DEP_3)
	v_cndmask_b32_e64 v117, v117, 0xffffff8a, vcc_lo
	v_cndmask_b32_e32 v119, v129, v119, vcc_lo
	v_lshl_add_u32 v129, 0x100000, v128, -1
	v_lshlrev_b32_e64 v132, v128, 0x80000
	s_delay_alu instid0(VALU_DEP_3) | instskip(SKIP_1) | instid1(VALU_DEP_4)
	v_lshrrev_b32_e32 v130, v128, v119
	v_add_nc_u32_e32 v128, v128, v117
	v_and_b32_e32 v119, v129, v119
	s_delay_alu instid0(VALU_DEP_3) | instskip(NEXT) | instid1(VALU_DEP_2)
	v_bfe_u32 v131, v130, 20, 1
	v_cmp_eq_u32_e64 s10, v119, v132
	s_delay_alu instid0(VALU_DEP_2) | instskip(NEXT) | instid1(VALU_DEP_1)
	v_add_nc_u32_e32 v129, -1, v131
	v_cndmask_b32_e64 v119, 0, v129, s10
	v_lshrrev_b32_e32 v129, 23, v130
	s_mov_b32 s10, exec_lo
	s_delay_alu instid0(VALU_DEP_2) | instskip(NEXT) | instid1(VALU_DEP_2)
	v_add_nc_u32_e32 v119, v119, v130
	v_xor_b32_e32 v129, 1, v129
	s_delay_alu instid0(VALU_DEP_2) | instskip(NEXT) | instid1(VALU_DEP_1)
	v_and_b32_e32 v117, 0xfffff, v119
	v_add_nc_u32_e32 v119, v117, v130
                                        ; implicit-def: $vgpr117
	s_delay_alu instid0(VALU_DEP_3)
	v_cmpx_ne_u32_e64 v128, v129
	s_xor_b32 s10, exec_lo, s10
; %bb.7312:                             ;   in Loop: Header=BB4_7127 Depth=2
	s_delay_alu instid0(VALU_DEP_2) | instskip(SKIP_2) | instid1(VALU_DEP_2)
	v_cmp_lt_u32_e32 vcc_lo, 0xffffff, v119
	v_sub_nc_u32_e32 v117, v128, v129
	v_cndmask_b32_e64 v128, 0, 1, vcc_lo
	v_add_co_ci_u32_e32 v117, vcc_lo, 0, v117, vcc_lo
	s_delay_alu instid0(VALU_DEP_2)
	v_lshrrev_b32_e32 v119, v128, v119
; %bb.7313:                             ;   in Loop: Header=BB4_7127 Depth=2
	s_and_not1_saveexec_b32 s10, s10
; %bb.7314:                             ;   in Loop: Header=BB4_7127 Depth=2
	s_delay_alu instid0(VALU_DEP_1)
	v_bfe_u32 v117, v119, 23, 1
; %bb.7315:                             ;   in Loop: Header=BB4_7127 Depth=2
	s_or_b32 exec_lo, exec_lo, s10
	v_lshrrev_b32_e32 v119, 20, v119
	s_delay_alu instid0(VALU_DEP_2) | instskip(SKIP_2) | instid1(VALU_DEP_2)
	v_cmp_gt_i32_e32 vcc_lo, 16, v117
	v_lshrrev_b32_e32 v118, 24, v118
	v_min_i32_e32 v128, 15, v117
	v_dual_cndmask_b32 v119, 7, v119 :: v_dual_and_b32 v118, 0x80, v118
	s_delay_alu instid0(VALU_DEP_1) | instskip(SKIP_1) | instid1(VALU_DEP_2)
	v_or_b32_e32 v117, v117, v119
	v_and_b32_e32 v129, 7, v119
	v_cmp_ne_u32_e32 vcc_lo, 0, v117
	v_lshlrev_b32_e32 v128, 3, v128
	s_delay_alu instid0(VALU_DEP_1) | instskip(NEXT) | instid1(VALU_DEP_1)
	v_or3_b32 v118, v128, v118, v129
	v_cndmask_b32_e32 v117, 0, v118, vcc_lo
.LBB4_7316:                             ;   in Loop: Header=BB4_7127 Depth=2
	s_or_b32 exec_lo, exec_lo, s23
.LBB4_7317:                             ;   in Loop: Header=BB4_7127 Depth=2
	s_delay_alu instid0(SALU_CYCLE_1)
	s_or_b32 exec_lo, exec_lo, s22
	flat_load_u8 v37, v[37:38] offset:480 slc dlc
	s_mov_b32 s10, 0
	s_mov_b32 s23, exec_lo
                                        ; implicit-def: $sgpr22
	s_waitcnt vmcnt(0) lgkmcnt(0)
	v_cmpx_lt_i16_e32 0x7f, v37
	s_xor_b32 s23, exec_lo, s23
	s_cbranch_execnz .LBB4_7390
; %bb.7318:                             ;   in Loop: Header=BB4_7127 Depth=2
	s_or_saveexec_b32 s23, s23
	v_mov_b32_e32 v38, s22
	s_xor_b32 exec_lo, exec_lo, s23
	s_cbranch_execnz .LBB4_7393
.LBB4_7319:                             ;   in Loop: Header=BB4_7127 Depth=2
	s_or_b32 exec_lo, exec_lo, s23
	s_and_saveexec_b32 s22, s10
	s_cbranch_execz .LBB4_7321
.LBB4_7320:                             ;   in Loop: Header=BB4_7127 Depth=2
	v_and_b32_e32 v38, 0xffff, v37
	s_delay_alu instid0(VALU_DEP_1) | instskip(NEXT) | instid1(VALU_DEP_1)
	v_and_b32_e32 v118, 7, v38
	v_clz_i32_u32_e32 v119, v118
	s_delay_alu instid0(VALU_DEP_1) | instskip(NEXT) | instid1(VALU_DEP_1)
	v_min_u32_e32 v119, 32, v119
	v_subrev_nc_u32_e32 v128, 28, v119
	v_sub_nc_u32_e32 v119, 29, v119
	s_delay_alu instid0(VALU_DEP_2) | instskip(SKIP_1) | instid1(VALU_DEP_2)
	v_lshlrev_b32_e32 v128, v128, v38
	v_bfe_u32 v38, v38, 3, 4
	v_and_b32_e32 v128, 7, v128
	s_delay_alu instid0(VALU_DEP_2) | instskip(SKIP_1) | instid1(VALU_DEP_1)
	v_cmp_eq_u32_e32 vcc_lo, 0, v38
	v_dual_cndmask_b32 v38, v38, v119 :: v_dual_lshlrev_b32 v37, 24, v37
	v_dual_cndmask_b32 v118, v118, v128 :: v_dual_and_b32 v37, 0x80000000, v37
	s_delay_alu instid0(VALU_DEP_2) | instskip(NEXT) | instid1(VALU_DEP_2)
	v_lshl_add_u32 v38, v38, 23, 0x3b800000
	v_lshlrev_b32_e32 v118, 20, v118
	s_delay_alu instid0(VALU_DEP_1)
	v_or3_b32 v38, v37, v38, v118
.LBB4_7321:                             ;   in Loop: Header=BB4_7127 Depth=2
	s_or_b32 exec_lo, exec_lo, s22
	s_delay_alu instid0(VALU_DEP_1) | instskip(NEXT) | instid1(VALU_DEP_1)
	v_mul_f32_e32 v37, v86, v38
	v_and_b32_e32 v38, 0x7f800000, v37
	s_delay_alu instid0(VALU_DEP_1)
	v_cmp_ne_u32_e32 vcc_lo, 0x7f800000, v38
	v_mov_b32_e32 v38, 0x80
	s_and_saveexec_b32 s22, vcc_lo
	s_cbranch_execz .LBB4_7329
; %bb.7322:                             ;   in Loop: Header=BB4_7127 Depth=2
	v_mov_b32_e32 v38, 0
	s_mov_b32 s23, exec_lo
	v_cmpx_ne_u32_e32 0, v37
	s_cbranch_execz .LBB4_7328
; %bb.7323:                             ;   in Loop: Header=BB4_7127 Depth=2
	v_bfe_u32 v38, v37, 23, 8
	v_and_b32_e32 v86, 0x7fffff, v37
	s_delay_alu instid0(VALU_DEP_2) | instskip(SKIP_1) | instid1(VALU_DEP_3)
	v_sub_nc_u32_e32 v118, 0x78, v38
	v_cmp_gt_u32_e32 vcc_lo, 0x79, v38
	v_or_b32_e32 v119, 0x800000, v86
	s_delay_alu instid0(VALU_DEP_3) | instskip(SKIP_2) | instid1(VALU_DEP_3)
	v_cndmask_b32_e32 v118, 0, v118, vcc_lo
	v_cmp_eq_u32_e32 vcc_lo, 0, v38
	v_add_nc_u32_e32 v38, 0xffffff89, v38
	v_cndmask_b32_e64 v118, v118, 0x77, vcc_lo
	v_cndmask_b32_e32 v86, v119, v86, vcc_lo
	s_delay_alu instid0(VALU_DEP_3) | instskip(NEXT) | instid1(VALU_DEP_3)
	v_cndmask_b32_e64 v38, v38, 0xffffff8a, vcc_lo
	v_lshl_add_u32 v119, 0x100000, v118, -1
	s_delay_alu instid0(VALU_DEP_3) | instskip(SKIP_1) | instid1(VALU_DEP_4)
	v_lshrrev_b32_e32 v128, v118, v86
	v_lshlrev_b32_e64 v130, v118, 0x80000
	v_add_nc_u32_e32 v118, v118, v38
	s_delay_alu instid0(VALU_DEP_4) | instskip(NEXT) | instid1(VALU_DEP_4)
	v_and_b32_e32 v86, v119, v86
	v_bfe_u32 v129, v128, 20, 1
	s_delay_alu instid0(VALU_DEP_2) | instskip(NEXT) | instid1(VALU_DEP_2)
	v_cmp_eq_u32_e64 s10, v86, v130
	v_add_nc_u32_e32 v119, -1, v129
	s_delay_alu instid0(VALU_DEP_1) | instskip(SKIP_2) | instid1(VALU_DEP_2)
	v_cndmask_b32_e64 v86, 0, v119, s10
	v_lshrrev_b32_e32 v119, 23, v128
	s_mov_b32 s10, exec_lo
	v_add_nc_u32_e32 v86, v86, v128
	s_delay_alu instid0(VALU_DEP_2) | instskip(NEXT) | instid1(VALU_DEP_2)
	v_xor_b32_e32 v119, 1, v119
	v_and_b32_e32 v38, 0xfffff, v86
	s_delay_alu instid0(VALU_DEP_1) | instskip(NEXT) | instid1(VALU_DEP_3)
	v_add_nc_u32_e32 v86, v38, v128
                                        ; implicit-def: $vgpr38
	v_cmpx_ne_u32_e64 v118, v119
	s_xor_b32 s10, exec_lo, s10
; %bb.7324:                             ;   in Loop: Header=BB4_7127 Depth=2
	s_delay_alu instid0(VALU_DEP_2) | instskip(SKIP_2) | instid1(VALU_DEP_2)
	v_cmp_lt_u32_e32 vcc_lo, 0xffffff, v86
	v_sub_nc_u32_e32 v38, v118, v119
	v_cndmask_b32_e64 v118, 0, 1, vcc_lo
	v_add_co_ci_u32_e32 v38, vcc_lo, 0, v38, vcc_lo
	s_delay_alu instid0(VALU_DEP_2)
	v_lshrrev_b32_e32 v86, v118, v86
; %bb.7325:                             ;   in Loop: Header=BB4_7127 Depth=2
	s_and_not1_saveexec_b32 s10, s10
; %bb.7326:                             ;   in Loop: Header=BB4_7127 Depth=2
	s_delay_alu instid0(VALU_DEP_1)
	v_bfe_u32 v38, v86, 23, 1
; %bb.7327:                             ;   in Loop: Header=BB4_7127 Depth=2
	s_or_b32 exec_lo, exec_lo, s10
	v_lshrrev_b32_e32 v86, 20, v86
	s_delay_alu instid0(VALU_DEP_2) | instskip(SKIP_2) | instid1(VALU_DEP_2)
	v_cmp_gt_i32_e32 vcc_lo, 16, v38
	v_lshrrev_b32_e32 v37, 24, v37
	v_min_i32_e32 v118, 15, v38
	v_dual_cndmask_b32 v86, 7, v86 :: v_dual_and_b32 v37, 0x80, v37
	s_delay_alu instid0(VALU_DEP_2) | instskip(NEXT) | instid1(VALU_DEP_2)
	v_lshlrev_b32_e32 v118, 3, v118
	v_or_b32_e32 v38, v38, v86
	s_delay_alu instid0(VALU_DEP_1) | instskip(SKIP_1) | instid1(VALU_DEP_1)
	v_cmp_ne_u32_e32 vcc_lo, 0, v38
	v_and_b32_e32 v119, 7, v86
	v_or3_b32 v37, v118, v37, v119
	s_delay_alu instid0(VALU_DEP_1)
	v_cndmask_b32_e32 v38, 0, v37, vcc_lo
.LBB4_7328:                             ;   in Loop: Header=BB4_7127 Depth=2
	s_or_b32 exec_lo, exec_lo, s23
.LBB4_7329:                             ;   in Loop: Header=BB4_7127 Depth=2
	s_delay_alu instid0(SALU_CYCLE_1)
	s_or_b32 exec_lo, exec_lo, s22
	v_add_co_u32 v118, vcc_lo, v84, v10
	v_sub_nc_u32_e32 v51, v51, v39
	v_add_co_ci_u32_e32 v119, vcc_lo, v85, v11, vcc_lo
	v_add_co_u32 v12, vcc_lo, v12, v70
	v_add_co_ci_u32_e32 v13, vcc_lo, v13, v71, vcc_lo
	s_delay_alu instid0(VALU_DEP_4) | instskip(SKIP_1) | instid1(VALU_DEP_1)
	v_cmp_gt_i32_e32 vcc_lo, 1, v51
	v_add_co_u32 v10, s10, v10, v70
	v_add_co_ci_u32_e64 v11, s10, v11, v71, s10
	s_or_b32 s21, vcc_lo, s21
	s_clause 0xf
	flat_store_b8 v[118:119], v87 glc slc dlc
	flat_store_b8 v[118:119], v96 offset:32 glc slc dlc
	flat_store_b8 v[118:119], v97 offset:64 glc slc dlc
	;; [unrolled: 1-line block ×15, first 2 shown]
	s_and_not1_b32 exec_lo, exec_lo, s21
	s_cbranch_execnz .LBB4_7127
	s_branch .LBB4_7394
.LBB4_7330:                             ;   in Loop: Header=BB4_7127 Depth=2
	s_mov_b32 s10, -1
	s_mov_b32 s24, exec_lo
                                        ; implicit-def: $sgpr22
	v_cmpx_eq_u16_e32 0x80, v87
; %bb.7331:                             ;   in Loop: Header=BB4_7127 Depth=2
	s_mov_b32 s22, 0x7f800001
	s_xor_b32 s10, exec_lo, -1
; %bb.7332:                             ;   in Loop: Header=BB4_7127 Depth=2
	s_or_b32 exec_lo, exec_lo, s24
	s_delay_alu instid0(SALU_CYCLE_1)
	s_and_b32 s10, s10, exec_lo
	s_or_saveexec_b32 s23, s23
	v_mov_b32_e32 v96, s22
	s_xor_b32 exec_lo, exec_lo, s23
	s_cbranch_execz .LBB4_7139
.LBB4_7333:                             ;   in Loop: Header=BB4_7127 Depth=2
	v_cmp_ne_u16_e32 vcc_lo, 0, v87
	v_mov_b32_e32 v96, 0
	s_and_not1_b32 s10, s10, exec_lo
	s_and_b32 s22, vcc_lo, exec_lo
	s_delay_alu instid0(SALU_CYCLE_1)
	s_or_b32 s10, s10, s22
	s_or_b32 exec_lo, exec_lo, s23
	s_and_saveexec_b32 s22, s10
	s_cbranch_execnz .LBB4_7140
	s_branch .LBB4_7141
.LBB4_7334:                             ;   in Loop: Header=BB4_7127 Depth=2
	s_mov_b32 s10, -1
	s_mov_b32 s24, exec_lo
                                        ; implicit-def: $sgpr22
	v_cmpx_eq_u16_e32 0x80, v96
; %bb.7335:                             ;   in Loop: Header=BB4_7127 Depth=2
	s_mov_b32 s22, 0x7f800001
	s_xor_b32 s10, exec_lo, -1
; %bb.7336:                             ;   in Loop: Header=BB4_7127 Depth=2
	s_or_b32 exec_lo, exec_lo, s24
	s_delay_alu instid0(SALU_CYCLE_1)
	s_and_b32 s10, s10, exec_lo
	s_or_saveexec_b32 s23, s23
	v_mov_b32_e32 v97, s22
	s_xor_b32 exec_lo, exec_lo, s23
	s_cbranch_execz .LBB4_7151
.LBB4_7337:                             ;   in Loop: Header=BB4_7127 Depth=2
	v_cmp_ne_u16_e32 vcc_lo, 0, v96
	v_mov_b32_e32 v97, 0
	s_and_not1_b32 s10, s10, exec_lo
	s_and_b32 s22, vcc_lo, exec_lo
	s_delay_alu instid0(SALU_CYCLE_1)
	s_or_b32 s10, s10, s22
	s_or_b32 exec_lo, exec_lo, s23
	s_and_saveexec_b32 s22, s10
	s_cbranch_execnz .LBB4_7152
	s_branch .LBB4_7153
.LBB4_7338:                             ;   in Loop: Header=BB4_7127 Depth=2
	s_mov_b32 s10, -1
	s_mov_b32 s24, exec_lo
                                        ; implicit-def: $sgpr22
	v_cmpx_eq_u16_e32 0x80, v97
; %bb.7339:                             ;   in Loop: Header=BB4_7127 Depth=2
	s_mov_b32 s22, 0x7f800001
	s_xor_b32 s10, exec_lo, -1
; %bb.7340:                             ;   in Loop: Header=BB4_7127 Depth=2
	s_or_b32 exec_lo, exec_lo, s24
	s_delay_alu instid0(SALU_CYCLE_1)
	s_and_b32 s10, s10, exec_lo
	s_or_saveexec_b32 s23, s23
	v_mov_b32_e32 v98, s22
	s_xor_b32 exec_lo, exec_lo, s23
	s_cbranch_execz .LBB4_7163
.LBB4_7341:                             ;   in Loop: Header=BB4_7127 Depth=2
	v_cmp_ne_u16_e32 vcc_lo, 0, v97
	v_mov_b32_e32 v98, 0
	s_and_not1_b32 s10, s10, exec_lo
	s_and_b32 s22, vcc_lo, exec_lo
	s_delay_alu instid0(SALU_CYCLE_1)
	s_or_b32 s10, s10, s22
	s_or_b32 exec_lo, exec_lo, s23
	s_and_saveexec_b32 s22, s10
	s_cbranch_execnz .LBB4_7164
	s_branch .LBB4_7165
.LBB4_7342:                             ;   in Loop: Header=BB4_7127 Depth=2
	s_mov_b32 s10, -1
	s_mov_b32 s24, exec_lo
                                        ; implicit-def: $sgpr22
	v_cmpx_eq_u16_e32 0x80, v98
; %bb.7343:                             ;   in Loop: Header=BB4_7127 Depth=2
	s_mov_b32 s22, 0x7f800001
	s_xor_b32 s10, exec_lo, -1
; %bb.7344:                             ;   in Loop: Header=BB4_7127 Depth=2
	s_or_b32 exec_lo, exec_lo, s24
	s_delay_alu instid0(SALU_CYCLE_1)
	s_and_b32 s10, s10, exec_lo
	s_or_saveexec_b32 s23, s23
	v_mov_b32_e32 v99, s22
	s_xor_b32 exec_lo, exec_lo, s23
	s_cbranch_execz .LBB4_7175
.LBB4_7345:                             ;   in Loop: Header=BB4_7127 Depth=2
	v_cmp_ne_u16_e32 vcc_lo, 0, v98
	v_mov_b32_e32 v99, 0
	s_and_not1_b32 s10, s10, exec_lo
	s_and_b32 s22, vcc_lo, exec_lo
	s_delay_alu instid0(SALU_CYCLE_1)
	s_or_b32 s10, s10, s22
	s_or_b32 exec_lo, exec_lo, s23
	s_and_saveexec_b32 s22, s10
	s_cbranch_execnz .LBB4_7176
	s_branch .LBB4_7177
.LBB4_7346:                             ;   in Loop: Header=BB4_7127 Depth=2
	s_mov_b32 s10, -1
	s_mov_b32 s24, exec_lo
                                        ; implicit-def: $sgpr22
	v_cmpx_eq_u16_e32 0x80, v99
; %bb.7347:                             ;   in Loop: Header=BB4_7127 Depth=2
	s_mov_b32 s22, 0x7f800001
	s_xor_b32 s10, exec_lo, -1
; %bb.7348:                             ;   in Loop: Header=BB4_7127 Depth=2
	s_or_b32 exec_lo, exec_lo, s24
	s_delay_alu instid0(SALU_CYCLE_1)
	s_and_b32 s10, s10, exec_lo
	s_or_saveexec_b32 s23, s23
	v_mov_b32_e32 v100, s22
	s_xor_b32 exec_lo, exec_lo, s23
	s_cbranch_execz .LBB4_7187
.LBB4_7349:                             ;   in Loop: Header=BB4_7127 Depth=2
	v_cmp_ne_u16_e32 vcc_lo, 0, v99
	v_mov_b32_e32 v100, 0
	s_and_not1_b32 s10, s10, exec_lo
	s_and_b32 s22, vcc_lo, exec_lo
	s_delay_alu instid0(SALU_CYCLE_1)
	s_or_b32 s10, s10, s22
	s_or_b32 exec_lo, exec_lo, s23
	s_and_saveexec_b32 s22, s10
	s_cbranch_execnz .LBB4_7188
	s_branch .LBB4_7189
.LBB4_7350:                             ;   in Loop: Header=BB4_7127 Depth=2
	s_mov_b32 s10, -1
	s_mov_b32 s24, exec_lo
                                        ; implicit-def: $sgpr22
	v_cmpx_eq_u16_e32 0x80, v100
; %bb.7351:                             ;   in Loop: Header=BB4_7127 Depth=2
	s_mov_b32 s22, 0x7f800001
	s_xor_b32 s10, exec_lo, -1
; %bb.7352:                             ;   in Loop: Header=BB4_7127 Depth=2
	s_or_b32 exec_lo, exec_lo, s24
	s_delay_alu instid0(SALU_CYCLE_1)
	s_and_b32 s10, s10, exec_lo
	s_or_saveexec_b32 s23, s23
	v_mov_b32_e32 v101, s22
	s_xor_b32 exec_lo, exec_lo, s23
	s_cbranch_execz .LBB4_7199
.LBB4_7353:                             ;   in Loop: Header=BB4_7127 Depth=2
	v_cmp_ne_u16_e32 vcc_lo, 0, v100
	v_mov_b32_e32 v101, 0
	s_and_not1_b32 s10, s10, exec_lo
	s_and_b32 s22, vcc_lo, exec_lo
	s_delay_alu instid0(SALU_CYCLE_1)
	s_or_b32 s10, s10, s22
	s_or_b32 exec_lo, exec_lo, s23
	s_and_saveexec_b32 s22, s10
	s_cbranch_execnz .LBB4_7200
	s_branch .LBB4_7201
.LBB4_7354:                             ;   in Loop: Header=BB4_7127 Depth=2
	s_mov_b32 s10, -1
	s_mov_b32 s24, exec_lo
                                        ; implicit-def: $sgpr22
	v_cmpx_eq_u16_e32 0x80, v101
; %bb.7355:                             ;   in Loop: Header=BB4_7127 Depth=2
	s_mov_b32 s22, 0x7f800001
	s_xor_b32 s10, exec_lo, -1
; %bb.7356:                             ;   in Loop: Header=BB4_7127 Depth=2
	s_or_b32 exec_lo, exec_lo, s24
	s_delay_alu instid0(SALU_CYCLE_1)
	s_and_b32 s10, s10, exec_lo
	s_or_saveexec_b32 s23, s23
	v_mov_b32_e32 v102, s22
	s_xor_b32 exec_lo, exec_lo, s23
	s_cbranch_execz .LBB4_7211
.LBB4_7357:                             ;   in Loop: Header=BB4_7127 Depth=2
	v_cmp_ne_u16_e32 vcc_lo, 0, v101
	v_mov_b32_e32 v102, 0
	s_and_not1_b32 s10, s10, exec_lo
	s_and_b32 s22, vcc_lo, exec_lo
	s_delay_alu instid0(SALU_CYCLE_1)
	s_or_b32 s10, s10, s22
	s_or_b32 exec_lo, exec_lo, s23
	s_and_saveexec_b32 s22, s10
	s_cbranch_execnz .LBB4_7212
	s_branch .LBB4_7213
.LBB4_7358:                             ;   in Loop: Header=BB4_7127 Depth=2
	s_mov_b32 s10, -1
	s_mov_b32 s24, exec_lo
                                        ; implicit-def: $sgpr22
	v_cmpx_eq_u16_e32 0x80, v102
; %bb.7359:                             ;   in Loop: Header=BB4_7127 Depth=2
	s_mov_b32 s22, 0x7f800001
	s_xor_b32 s10, exec_lo, -1
; %bb.7360:                             ;   in Loop: Header=BB4_7127 Depth=2
	s_or_b32 exec_lo, exec_lo, s24
	s_delay_alu instid0(SALU_CYCLE_1)
	s_and_b32 s10, s10, exec_lo
	s_or_saveexec_b32 s23, s23
	v_mov_b32_e32 v103, s22
	s_xor_b32 exec_lo, exec_lo, s23
	s_cbranch_execz .LBB4_7223
.LBB4_7361:                             ;   in Loop: Header=BB4_7127 Depth=2
	v_cmp_ne_u16_e32 vcc_lo, 0, v102
	v_mov_b32_e32 v103, 0
	s_and_not1_b32 s10, s10, exec_lo
	s_and_b32 s22, vcc_lo, exec_lo
	s_delay_alu instid0(SALU_CYCLE_1)
	s_or_b32 s10, s10, s22
	s_or_b32 exec_lo, exec_lo, s23
	s_and_saveexec_b32 s22, s10
	s_cbranch_execnz .LBB4_7224
	s_branch .LBB4_7225
.LBB4_7362:                             ;   in Loop: Header=BB4_7127 Depth=2
	s_mov_b32 s10, -1
	s_mov_b32 s24, exec_lo
                                        ; implicit-def: $sgpr22
	v_cmpx_eq_u16_e32 0x80, v103
; %bb.7363:                             ;   in Loop: Header=BB4_7127 Depth=2
	s_mov_b32 s22, 0x7f800001
	s_xor_b32 s10, exec_lo, -1
; %bb.7364:                             ;   in Loop: Header=BB4_7127 Depth=2
	s_or_b32 exec_lo, exec_lo, s24
	s_delay_alu instid0(SALU_CYCLE_1)
	s_and_b32 s10, s10, exec_lo
	s_or_saveexec_b32 s23, s23
	v_mov_b32_e32 v112, s22
	s_xor_b32 exec_lo, exec_lo, s23
	s_cbranch_execz .LBB4_7235
.LBB4_7365:                             ;   in Loop: Header=BB4_7127 Depth=2
	v_cmp_ne_u16_e32 vcc_lo, 0, v103
	v_mov_b32_e32 v112, 0
	s_and_not1_b32 s10, s10, exec_lo
	s_and_b32 s22, vcc_lo, exec_lo
	s_delay_alu instid0(SALU_CYCLE_1)
	s_or_b32 s10, s10, s22
	s_or_b32 exec_lo, exec_lo, s23
	s_and_saveexec_b32 s22, s10
	s_cbranch_execnz .LBB4_7236
	s_branch .LBB4_7237
.LBB4_7366:                             ;   in Loop: Header=BB4_7127 Depth=2
	s_mov_b32 s10, -1
	s_mov_b32 s24, exec_lo
                                        ; implicit-def: $sgpr22
	v_cmpx_eq_u16_e32 0x80, v112
; %bb.7367:                             ;   in Loop: Header=BB4_7127 Depth=2
	s_mov_b32 s22, 0x7f800001
	s_xor_b32 s10, exec_lo, -1
; %bb.7368:                             ;   in Loop: Header=BB4_7127 Depth=2
	s_or_b32 exec_lo, exec_lo, s24
	s_delay_alu instid0(SALU_CYCLE_1)
	s_and_b32 s10, s10, exec_lo
	s_or_saveexec_b32 s23, s23
	v_mov_b32_e32 v113, s22
	s_xor_b32 exec_lo, exec_lo, s23
	s_cbranch_execz .LBB4_7247
.LBB4_7369:                             ;   in Loop: Header=BB4_7127 Depth=2
	v_cmp_ne_u16_e32 vcc_lo, 0, v112
	v_mov_b32_e32 v113, 0
	s_and_not1_b32 s10, s10, exec_lo
	s_and_b32 s22, vcc_lo, exec_lo
	s_delay_alu instid0(SALU_CYCLE_1)
	s_or_b32 s10, s10, s22
	s_or_b32 exec_lo, exec_lo, s23
	s_and_saveexec_b32 s22, s10
	s_cbranch_execnz .LBB4_7248
	s_branch .LBB4_7249
.LBB4_7370:                             ;   in Loop: Header=BB4_7127 Depth=2
	s_mov_b32 s10, -1
	s_mov_b32 s24, exec_lo
                                        ; implicit-def: $sgpr22
	v_cmpx_eq_u16_e32 0x80, v113
; %bb.7371:                             ;   in Loop: Header=BB4_7127 Depth=2
	s_mov_b32 s22, 0x7f800001
	s_xor_b32 s10, exec_lo, -1
; %bb.7372:                             ;   in Loop: Header=BB4_7127 Depth=2
	s_or_b32 exec_lo, exec_lo, s24
	s_delay_alu instid0(SALU_CYCLE_1)
	s_and_b32 s10, s10, exec_lo
	s_or_saveexec_b32 s23, s23
	v_mov_b32_e32 v114, s22
	s_xor_b32 exec_lo, exec_lo, s23
	s_cbranch_execz .LBB4_7259
.LBB4_7373:                             ;   in Loop: Header=BB4_7127 Depth=2
	v_cmp_ne_u16_e32 vcc_lo, 0, v113
	v_mov_b32_e32 v114, 0
	s_and_not1_b32 s10, s10, exec_lo
	s_and_b32 s22, vcc_lo, exec_lo
	s_delay_alu instid0(SALU_CYCLE_1)
	s_or_b32 s10, s10, s22
	s_or_b32 exec_lo, exec_lo, s23
	s_and_saveexec_b32 s22, s10
	s_cbranch_execnz .LBB4_7260
	s_branch .LBB4_7261
.LBB4_7374:                             ;   in Loop: Header=BB4_7127 Depth=2
	s_mov_b32 s10, -1
	s_mov_b32 s24, exec_lo
                                        ; implicit-def: $sgpr22
	v_cmpx_eq_u16_e32 0x80, v114
; %bb.7375:                             ;   in Loop: Header=BB4_7127 Depth=2
	s_mov_b32 s22, 0x7f800001
	s_xor_b32 s10, exec_lo, -1
; %bb.7376:                             ;   in Loop: Header=BB4_7127 Depth=2
	s_or_b32 exec_lo, exec_lo, s24
	s_delay_alu instid0(SALU_CYCLE_1)
	s_and_b32 s10, s10, exec_lo
	s_or_saveexec_b32 s23, s23
	v_mov_b32_e32 v115, s22
	s_xor_b32 exec_lo, exec_lo, s23
	s_cbranch_execz .LBB4_7271
.LBB4_7377:                             ;   in Loop: Header=BB4_7127 Depth=2
	v_cmp_ne_u16_e32 vcc_lo, 0, v114
	v_mov_b32_e32 v115, 0
	s_and_not1_b32 s10, s10, exec_lo
	s_and_b32 s22, vcc_lo, exec_lo
	s_delay_alu instid0(SALU_CYCLE_1)
	s_or_b32 s10, s10, s22
	s_or_b32 exec_lo, exec_lo, s23
	s_and_saveexec_b32 s22, s10
	s_cbranch_execnz .LBB4_7272
	s_branch .LBB4_7273
.LBB4_7378:                             ;   in Loop: Header=BB4_7127 Depth=2
	s_mov_b32 s10, -1
	s_mov_b32 s24, exec_lo
                                        ; implicit-def: $sgpr22
	v_cmpx_eq_u16_e32 0x80, v115
; %bb.7379:                             ;   in Loop: Header=BB4_7127 Depth=2
	s_mov_b32 s22, 0x7f800001
	s_xor_b32 s10, exec_lo, -1
; %bb.7380:                             ;   in Loop: Header=BB4_7127 Depth=2
	s_or_b32 exec_lo, exec_lo, s24
	s_delay_alu instid0(SALU_CYCLE_1)
	s_and_b32 s10, s10, exec_lo
	s_or_saveexec_b32 s23, s23
	v_mov_b32_e32 v116, s22
	s_xor_b32 exec_lo, exec_lo, s23
	s_cbranch_execz .LBB4_7283
.LBB4_7381:                             ;   in Loop: Header=BB4_7127 Depth=2
	v_cmp_ne_u16_e32 vcc_lo, 0, v115
	v_mov_b32_e32 v116, 0
	s_and_not1_b32 s10, s10, exec_lo
	s_and_b32 s22, vcc_lo, exec_lo
	s_delay_alu instid0(SALU_CYCLE_1)
	s_or_b32 s10, s10, s22
	s_or_b32 exec_lo, exec_lo, s23
	s_and_saveexec_b32 s22, s10
	s_cbranch_execnz .LBB4_7284
	s_branch .LBB4_7285
.LBB4_7382:                             ;   in Loop: Header=BB4_7127 Depth=2
	s_mov_b32 s10, -1
	s_mov_b32 s24, exec_lo
                                        ; implicit-def: $sgpr22
	v_cmpx_eq_u16_e32 0x80, v116
; %bb.7383:                             ;   in Loop: Header=BB4_7127 Depth=2
	s_mov_b32 s22, 0x7f800001
	s_xor_b32 s10, exec_lo, -1
; %bb.7384:                             ;   in Loop: Header=BB4_7127 Depth=2
	s_or_b32 exec_lo, exec_lo, s24
	s_delay_alu instid0(SALU_CYCLE_1)
	s_and_b32 s10, s10, exec_lo
	s_or_saveexec_b32 s23, s23
	v_mov_b32_e32 v117, s22
	s_xor_b32 exec_lo, exec_lo, s23
	s_cbranch_execz .LBB4_7295
.LBB4_7385:                             ;   in Loop: Header=BB4_7127 Depth=2
	v_cmp_ne_u16_e32 vcc_lo, 0, v116
	v_mov_b32_e32 v117, 0
	s_and_not1_b32 s10, s10, exec_lo
	s_and_b32 s22, vcc_lo, exec_lo
	s_delay_alu instid0(SALU_CYCLE_1)
	s_or_b32 s10, s10, s22
	s_or_b32 exec_lo, exec_lo, s23
	s_and_saveexec_b32 s22, s10
	s_cbranch_execnz .LBB4_7296
	s_branch .LBB4_7297
.LBB4_7386:                             ;   in Loop: Header=BB4_7127 Depth=2
	s_mov_b32 s10, -1
	s_mov_b32 s24, exec_lo
                                        ; implicit-def: $sgpr22
	v_cmpx_eq_u16_e32 0x80, v117
; %bb.7387:                             ;   in Loop: Header=BB4_7127 Depth=2
	s_mov_b32 s22, 0x7f800001
	s_xor_b32 s10, exec_lo, -1
; %bb.7388:                             ;   in Loop: Header=BB4_7127 Depth=2
	s_or_b32 exec_lo, exec_lo, s24
	s_delay_alu instid0(SALU_CYCLE_1)
	s_and_b32 s10, s10, exec_lo
	s_or_saveexec_b32 s23, s23
	v_mov_b32_e32 v118, s22
	s_xor_b32 exec_lo, exec_lo, s23
	s_cbranch_execz .LBB4_7307
.LBB4_7389:                             ;   in Loop: Header=BB4_7127 Depth=2
	v_cmp_ne_u16_e32 vcc_lo, 0, v117
	v_mov_b32_e32 v118, 0
	s_and_not1_b32 s10, s10, exec_lo
	s_and_b32 s22, vcc_lo, exec_lo
	s_delay_alu instid0(SALU_CYCLE_1)
	s_or_b32 s10, s10, s22
	s_or_b32 exec_lo, exec_lo, s23
	s_and_saveexec_b32 s22, s10
	s_cbranch_execnz .LBB4_7308
	s_branch .LBB4_7309
.LBB4_7390:                             ;   in Loop: Header=BB4_7127 Depth=2
	s_mov_b32 s10, -1
	s_mov_b32 s24, exec_lo
                                        ; implicit-def: $sgpr22
	v_cmpx_eq_u16_e32 0x80, v37
; %bb.7391:                             ;   in Loop: Header=BB4_7127 Depth=2
	s_mov_b32 s22, 0x7f800001
	s_xor_b32 s10, exec_lo, -1
; %bb.7392:                             ;   in Loop: Header=BB4_7127 Depth=2
	s_or_b32 exec_lo, exec_lo, s24
	s_delay_alu instid0(SALU_CYCLE_1)
	s_and_b32 s10, s10, exec_lo
	s_or_saveexec_b32 s23, s23
	v_mov_b32_e32 v38, s22
	s_xor_b32 exec_lo, exec_lo, s23
	s_cbranch_execz .LBB4_7319
.LBB4_7393:                             ;   in Loop: Header=BB4_7127 Depth=2
	v_cmp_ne_u16_e32 vcc_lo, 0, v37
	v_mov_b32_e32 v38, 0
	s_and_not1_b32 s10, s10, exec_lo
	s_and_b32 s22, vcc_lo, exec_lo
	s_delay_alu instid0(SALU_CYCLE_1)
	s_or_b32 s10, s10, s22
	s_or_b32 exec_lo, exec_lo, s23
	s_and_saveexec_b32 s22, s10
	s_cbranch_execnz .LBB4_7320
	s_branch .LBB4_7321
.LBB4_7394:                             ;   in Loop: Header=BB4_5730 Depth=1
	s_or_b32 exec_lo, exec_lo, s21
.LBB4_7395:                             ;   in Loop: Header=BB4_5730 Depth=1
	s_delay_alu instid0(SALU_CYCLE_1) | instskip(SKIP_1) | instid1(VALU_DEP_1)
	s_or_b32 exec_lo, exec_lo, s20
	v_lshlrev_b32_e32 v10, 9, v83
	v_cmp_ne_u32_e32 vcc_lo, v48, v10
	s_and_b32 exec_lo, exec_lo, vcc_lo
	s_cbranch_execz .LBB4_7426
; %bb.7396:                             ;   in Loop: Header=BB4_5730 Depth=1
	v_ashrrev_i32_e32 v11, 31, v50
	v_lshlrev_b32_e32 v12, 5, v51
	s_delay_alu instid0(VALU_DEP_2) | instskip(NEXT) | instid1(VALU_DEP_1)
	v_lshrrev_b32_e32 v11, 27, v11
	v_add_nc_u32_e32 v11, v50, v11
	s_delay_alu instid0(VALU_DEP_1) | instskip(NEXT) | instid1(VALU_DEP_1)
	v_and_b32_e32 v11, 0xffffffe0, v11
	v_sub_nc_u32_e32 v11, v50, v11
	s_delay_alu instid0(VALU_DEP_1) | instskip(NEXT) | instid1(VALU_DEP_1)
	v_sub_nc_u32_e32 v11, v11, v12
	v_add_nc_u32_e32 v12, v10, v11
	s_delay_alu instid0(VALU_DEP_1) | instskip(NEXT) | instid1(VALU_DEP_1)
	v_sub_nc_u32_e32 v37, v48, v12
	v_cmp_lt_i32_e32 vcc_lo, 0, v37
	s_and_b32 exec_lo, exec_lo, vcc_lo
	s_cbranch_execz .LBB4_7426
; %bb.7397:                             ;   in Loop: Header=BB4_5730 Depth=1
	s_cbranch_execnz .LBB4_7751
; %bb.7398:                             ;   in Loop: Header=BB4_5730 Depth=1
	ds_load_b64 v[10:11], v0
	v_add_nc_u32_e32 v38, v12, v49
	s_mov_b32 s20, 0
	s_delay_alu instid0(VALU_DEP_1)
	v_ashrrev_i32_e32 v48, 31, v38
.LBB4_7399:                             ;   Parent Loop BB4_5730 Depth=1
                                        ; =>  This Inner Loop Header: Depth=2
	s_cbranch_execnz .LBB4_7753
; %bb.7400:                             ;   in Loop: Header=BB4_7399 Depth=2
	ds_load_b64 v[12:13], v0
	s_waitcnt lgkmcnt(0)
	v_and_b32_e32 v13, 0xff, v12
	v_readfirstlane_b32 s10, v12
	s_delay_alu instid0(VALU_DEP_2)
	v_cmp_gt_i16_e32 vcc_lo, 0x80, v13
	s_cbranch_vccnz .LBB4_7404
; %bb.7401:                             ;   in Loop: Header=BB4_7399 Depth=2
	v_cmp_eq_u16_e32 vcc_lo, 0x80, v13
	s_mov_b32 s21, -1
                                        ; implicit-def: $sgpr22
	s_cbranch_vccz .LBB4_7403
; %bb.7402:                             ;   in Loop: Header=BB4_7399 Depth=2
	s_mov_b32 s21, 0
	s_mov_b32 s22, 0x7f800001
.LBB4_7403:                             ;   in Loop: Header=BB4_7399 Depth=2
	s_mov_b32 s23, 0
	s_branch .LBB4_7405
.LBB4_7404:                             ;   in Loop: Header=BB4_7399 Depth=2
	s_mov_b32 s23, -1
	s_mov_b32 s21, 0
                                        ; implicit-def: $sgpr22
.LBB4_7405:                             ;   in Loop: Header=BB4_7399 Depth=2
	s_and_b32 vcc_lo, exec_lo, s23
	s_cbranch_vccz .LBB4_7407
; %bb.7406:                             ;   in Loop: Header=BB4_7399 Depth=2
	v_cmp_ne_u16_e64 s21, 0, v13
	s_mov_b32 s22, 0
.LBB4_7407:                             ;   in Loop: Header=BB4_7399 Depth=2
	s_delay_alu instid0(SALU_CYCLE_1) | instskip(NEXT) | instid1(VALU_DEP_2)
	v_mov_b32_e32 v49, s22
	s_and_not1_b32 vcc_lo, exec_lo, s21
	s_cbranch_vccnz .LBB4_7409
; %bb.7408:                             ;   in Loop: Header=BB4_7399 Depth=2
	s_and_b32 s21, s10, 7
	s_bfe_u32 s23, s10, 0x40003
	s_clz_i32_u32 s22, s21
	v_lshlrev_b32_e32 v12, 24, v12
	s_min_u32 s22, s22, 32
	s_delay_alu instid0(SALU_CYCLE_1)
	s_sub_i32 s24, s22, 28
	s_sub_i32 s22, 29, s22
	s_lshl_b32 s10, s10, s24
	v_and_b32_e32 v12, 0x80000000, v12
	s_and_b32 s10, s10, 7
	s_cmp_eq_u32 s23, 0
	s_cselect_b32 s22, s22, s23
	s_cselect_b32 s10, s10, s21
	s_lshl_b32 s21, s22, 23
	s_lshl_b32 s10, s10, 20
	s_add_i32 s21, s21, 0x3b800000
	s_delay_alu instid0(SALU_CYCLE_1) | instskip(NEXT) | instid1(VALU_DEP_1)
	v_or_b32_e32 v12, s21, v12
	v_or_b32_e32 v49, s10, v12
.LBB4_7409:                             ;   in Loop: Header=BB4_7399 Depth=2
	v_add_co_u32 v12, vcc_lo, v10, v38
	v_add_co_ci_u32_e32 v13, vcc_lo, v11, v48, vcc_lo
	s_mov_b32 s10, 0
	s_mov_b32 s22, exec_lo
                                        ; implicit-def: $sgpr21
	flat_load_u8 v50, v[12:13] slc dlc
	s_waitcnt vmcnt(0) lgkmcnt(0)
	v_cmpx_lt_i16_e32 0x7f, v50
	s_xor_b32 s22, exec_lo, s22
	s_cbranch_execnz .LBB4_7422
; %bb.7410:                             ;   in Loop: Header=BB4_7399 Depth=2
	s_or_saveexec_b32 s22, s22
	v_mov_b32_e32 v51, s21
	s_xor_b32 exec_lo, exec_lo, s22
	s_cbranch_execnz .LBB4_7425
.LBB4_7411:                             ;   in Loop: Header=BB4_7399 Depth=2
	s_or_b32 exec_lo, exec_lo, s22
	s_and_saveexec_b32 s21, s10
	s_cbranch_execz .LBB4_7413
.LBB4_7412:                             ;   in Loop: Header=BB4_7399 Depth=2
	v_and_b32_e32 v51, 0xffff, v50
	s_delay_alu instid0(VALU_DEP_1) | instskip(NEXT) | instid1(VALU_DEP_1)
	v_and_b32_e32 v83, 7, v51
	v_clz_i32_u32_e32 v84, v83
	s_delay_alu instid0(VALU_DEP_1) | instskip(NEXT) | instid1(VALU_DEP_1)
	v_min_u32_e32 v84, 32, v84
	v_subrev_nc_u32_e32 v85, 28, v84
	v_sub_nc_u32_e32 v84, 29, v84
	s_delay_alu instid0(VALU_DEP_2) | instskip(SKIP_1) | instid1(VALU_DEP_2)
	v_lshlrev_b32_e32 v85, v85, v51
	v_bfe_u32 v51, v51, 3, 4
	v_and_b32_e32 v85, 7, v85
	s_delay_alu instid0(VALU_DEP_2) | instskip(SKIP_1) | instid1(VALU_DEP_1)
	v_cmp_eq_u32_e32 vcc_lo, 0, v51
	v_dual_cndmask_b32 v51, v51, v84 :: v_dual_lshlrev_b32 v50, 24, v50
	v_dual_cndmask_b32 v83, v83, v85 :: v_dual_and_b32 v50, 0x80000000, v50
	s_delay_alu instid0(VALU_DEP_2) | instskip(NEXT) | instid1(VALU_DEP_2)
	v_lshl_add_u32 v51, v51, 23, 0x3b800000
	v_lshlrev_b32_e32 v83, 20, v83
	s_delay_alu instid0(VALU_DEP_1)
	v_or3_b32 v51, v50, v51, v83
.LBB4_7413:                             ;   in Loop: Header=BB4_7399 Depth=2
	s_or_b32 exec_lo, exec_lo, s21
	s_delay_alu instid0(VALU_DEP_1) | instskip(NEXT) | instid1(VALU_DEP_1)
	v_mul_f32_e32 v49, v49, v51
	v_and_b32_e32 v50, 0x7f800000, v49
	s_delay_alu instid0(VALU_DEP_1)
	v_cmp_ne_u32_e32 vcc_lo, 0x7f800000, v50
	v_mov_b32_e32 v50, 0x80
	s_and_saveexec_b32 s21, vcc_lo
	s_cbranch_execz .LBB4_7421
; %bb.7414:                             ;   in Loop: Header=BB4_7399 Depth=2
	v_mov_b32_e32 v50, 0
	s_mov_b32 s22, exec_lo
	v_cmpx_ne_u32_e32 0, v49
	s_cbranch_execz .LBB4_7420
; %bb.7415:                             ;   in Loop: Header=BB4_7399 Depth=2
	v_bfe_u32 v50, v49, 23, 8
	v_and_b32_e32 v51, 0x7fffff, v49
	s_delay_alu instid0(VALU_DEP_2) | instskip(SKIP_1) | instid1(VALU_DEP_3)
	v_sub_nc_u32_e32 v83, 0x78, v50
	v_cmp_gt_u32_e32 vcc_lo, 0x79, v50
	v_or_b32_e32 v84, 0x800000, v51
	s_delay_alu instid0(VALU_DEP_3) | instskip(SKIP_2) | instid1(VALU_DEP_3)
	v_cndmask_b32_e32 v83, 0, v83, vcc_lo
	v_cmp_eq_u32_e32 vcc_lo, 0, v50
	v_add_nc_u32_e32 v50, 0xffffff89, v50
	v_cndmask_b32_e64 v83, v83, 0x77, vcc_lo
	v_cndmask_b32_e32 v51, v84, v51, vcc_lo
	s_delay_alu instid0(VALU_DEP_3) | instskip(NEXT) | instid1(VALU_DEP_3)
	v_cndmask_b32_e64 v50, v50, 0xffffff8a, vcc_lo
	v_lshl_add_u32 v84, 0x100000, v83, -1
	s_delay_alu instid0(VALU_DEP_3) | instskip(SKIP_1) | instid1(VALU_DEP_4)
	v_lshrrev_b32_e32 v85, v83, v51
	v_lshlrev_b32_e64 v87, v83, 0x80000
	v_add_nc_u32_e32 v83, v83, v50
	s_delay_alu instid0(VALU_DEP_4) | instskip(NEXT) | instid1(VALU_DEP_4)
	v_and_b32_e32 v51, v84, v51
	v_bfe_u32 v86, v85, 20, 1
	s_delay_alu instid0(VALU_DEP_2) | instskip(NEXT) | instid1(VALU_DEP_2)
	v_cmp_eq_u32_e64 s10, v51, v87
	v_add_nc_u32_e32 v84, -1, v86
	s_delay_alu instid0(VALU_DEP_1) | instskip(SKIP_2) | instid1(VALU_DEP_2)
	v_cndmask_b32_e64 v51, 0, v84, s10
	v_lshrrev_b32_e32 v84, 23, v85
	s_mov_b32 s10, exec_lo
	v_add_nc_u32_e32 v51, v51, v85
	s_delay_alu instid0(VALU_DEP_2) | instskip(NEXT) | instid1(VALU_DEP_2)
	v_xor_b32_e32 v84, 1, v84
	v_and_b32_e32 v50, 0xfffff, v51
	s_delay_alu instid0(VALU_DEP_1) | instskip(NEXT) | instid1(VALU_DEP_3)
	v_add_nc_u32_e32 v51, v50, v85
                                        ; implicit-def: $vgpr50
	v_cmpx_ne_u32_e64 v83, v84
	s_xor_b32 s10, exec_lo, s10
; %bb.7416:                             ;   in Loop: Header=BB4_7399 Depth=2
	s_delay_alu instid0(VALU_DEP_2) | instskip(SKIP_2) | instid1(VALU_DEP_2)
	v_cmp_lt_u32_e32 vcc_lo, 0xffffff, v51
	v_sub_nc_u32_e32 v50, v83, v84
	v_cndmask_b32_e64 v83, 0, 1, vcc_lo
	v_add_co_ci_u32_e32 v50, vcc_lo, 0, v50, vcc_lo
	s_delay_alu instid0(VALU_DEP_2)
	v_lshrrev_b32_e32 v51, v83, v51
; %bb.7417:                             ;   in Loop: Header=BB4_7399 Depth=2
	s_and_not1_saveexec_b32 s10, s10
; %bb.7418:                             ;   in Loop: Header=BB4_7399 Depth=2
	s_delay_alu instid0(VALU_DEP_1)
	v_bfe_u32 v50, v51, 23, 1
; %bb.7419:                             ;   in Loop: Header=BB4_7399 Depth=2
	s_or_b32 exec_lo, exec_lo, s10
	v_lshrrev_b32_e32 v51, 20, v51
	s_delay_alu instid0(VALU_DEP_2) | instskip(SKIP_2) | instid1(VALU_DEP_4)
	v_cmp_gt_i32_e32 vcc_lo, 16, v50
	v_lshrrev_b32_e32 v49, 24, v49
	v_min_i32_e32 v83, 15, v50
	v_cndmask_b32_e32 v51, 7, v51, vcc_lo
	s_delay_alu instid0(VALU_DEP_3) | instskip(NEXT) | instid1(VALU_DEP_3)
	v_and_b32_e32 v49, 0x80, v49
	v_lshlrev_b32_e32 v83, 3, v83
	s_delay_alu instid0(VALU_DEP_3) | instskip(SKIP_1) | instid1(VALU_DEP_2)
	v_and_b32_e32 v84, 7, v51
	v_or_b32_e32 v50, v50, v51
	v_or3_b32 v49, v83, v49, v84
	s_delay_alu instid0(VALU_DEP_2) | instskip(NEXT) | instid1(VALU_DEP_2)
	v_cmp_ne_u32_e32 vcc_lo, 0, v50
	v_cndmask_b32_e32 v50, 0, v49, vcc_lo
.LBB4_7420:                             ;   in Loop: Header=BB4_7399 Depth=2
	s_or_b32 exec_lo, exec_lo, s22
.LBB4_7421:                             ;   in Loop: Header=BB4_7399 Depth=2
	s_delay_alu instid0(SALU_CYCLE_1) | instskip(SKIP_2) | instid1(VALU_DEP_1)
	s_or_b32 exec_lo, exec_lo, s21
	v_sub_nc_u32_e32 v37, v37, v52
	v_add_co_u32 v38, s10, v38, v52
	v_add_co_ci_u32_e64 v48, s10, v48, v80, s10
	s_delay_alu instid0(VALU_DEP_3) | instskip(SKIP_2) | instid1(SALU_CYCLE_1)
	v_cmp_gt_i32_e32 vcc_lo, 1, v37
	flat_store_b8 v[12:13], v50 glc slc dlc
	s_or_b32 s20, vcc_lo, s20
	s_and_not1_b32 exec_lo, exec_lo, s20
	s_cbranch_execnz .LBB4_7399
	s_branch .LBB4_7426
.LBB4_7422:                             ;   in Loop: Header=BB4_7399 Depth=2
	s_mov_b32 s10, -1
	s_mov_b32 s23, exec_lo
                                        ; implicit-def: $sgpr21
	v_cmpx_eq_u16_e32 0x80, v50
; %bb.7423:                             ;   in Loop: Header=BB4_7399 Depth=2
	s_mov_b32 s21, 0x7f800001
	s_xor_b32 s10, exec_lo, -1
; %bb.7424:                             ;   in Loop: Header=BB4_7399 Depth=2
	s_or_b32 exec_lo, exec_lo, s23
	s_delay_alu instid0(SALU_CYCLE_1)
	s_and_b32 s10, s10, exec_lo
	s_or_saveexec_b32 s22, s22
	v_mov_b32_e32 v51, s21
	s_xor_b32 exec_lo, exec_lo, s22
	s_cbranch_execz .LBB4_7411
.LBB4_7425:                             ;   in Loop: Header=BB4_7399 Depth=2
	v_cmp_ne_u16_e32 vcc_lo, 0, v50
	v_mov_b32_e32 v51, 0
	s_and_not1_b32 s10, s10, exec_lo
	s_and_b32 s21, vcc_lo, exec_lo
	s_delay_alu instid0(SALU_CYCLE_1)
	s_or_b32 s10, s10, s21
	s_or_b32 exec_lo, exec_lo, s22
	s_and_saveexec_b32 s21, s10
	s_cbranch_execnz .LBB4_7412
	s_branch .LBB4_7413
.LBB4_7426:                             ;   in Loop: Header=BB4_5730 Depth=1
	s_or_b32 exec_lo, exec_lo, s11
	v_cmp_ne_u32_e64 s10, 0, v82
.LBB4_7427:                             ;   in Loop: Header=BB4_5730 Depth=1
	s_and_saveexec_b32 s11, s2
	s_cbranch_execz .LBB4_7449
; %bb.7428:                             ;   in Loop: Header=BB4_5730 Depth=1
	s_and_saveexec_b32 s20, s3
	s_delay_alu instid0(SALU_CYCLE_1)
	s_xor_b32 s20, exec_lo, s20
	s_cbranch_execz .LBB4_7446
; %bb.7429:                             ;   in Loop: Header=BB4_5730 Depth=1
	s_and_saveexec_b32 s21, s4
	s_cbranch_execz .LBB4_7445
; %bb.7430:                             ;   in Loop: Header=BB4_5730 Depth=1
	s_mov_b32 s23, exec_lo
	s_mov_b32 s22, exec_lo
	v_mbcnt_lo_u32_b32 v10, s23, 0
	s_waitcnt lgkmcnt(0)
	s_waitcnt_vscnt null, 0x0
	buffer_gl1_inv
	buffer_gl0_inv
	v_cmpx_eq_u32_e32 0, v10
	s_cbranch_execz .LBB4_7432
; %bb.7431:                             ;   in Loop: Header=BB4_5730 Depth=1
	s_bcnt1_i32_b32 s23, s23
	s_delay_alu instid0(SALU_CYCLE_1)
	v_dual_mov_b32 v11, v15 :: v_dual_mov_b32 v10, s23
	ds_add_u64 v0, v[10:11]
	s_cbranch_execnz .LBB4_7711
.LBB4_7432:                             ;   in Loop: Header=BB4_5730 Depth=1
	s_or_b32 exec_lo, exec_lo, s22
	s_cbranch_execnz .LBB4_7693
; %bb.7433:                             ;   in Loop: Header=BB4_5730 Depth=1
	ds_load_b64 v[10:11], v0
	v_add_co_u32 v28, vcc_lo, v28, v39
	v_add_co_ci_u32_e32 v29, vcc_lo, 0, v29, vcc_lo
	s_mov_b32 s22, exec_lo
	s_waitcnt lgkmcnt(0)
	s_delay_alu instid0(VALU_DEP_1)
	v_cmpx_lt_u64_e64 v[10:11], v[28:29]
	s_cbranch_execz .LBB4_7444
; %bb.7434:                             ;   in Loop: Header=BB4_5730 Depth=1
	s_mov_b32 s23, 0
	s_mov_b32 s26, 0
                                        ; implicit-def: $sgpr24
                                        ; implicit-def: $sgpr25
	s_branch .LBB4_7436
.LBB4_7435:                             ;   in Loop: Header=BB4_7436 Depth=2
	s_or_b32 exec_lo, exec_lo, s29
	s_delay_alu instid0(SALU_CYCLE_1) | instskip(NEXT) | instid1(SALU_CYCLE_1)
	s_and_b32 s27, exec_lo, s28
	s_or_b32 s23, s27, s23
	s_and_not1_b32 s24, s24, exec_lo
	s_and_b32 s27, s25, exec_lo
	s_delay_alu instid0(SALU_CYCLE_1)
	s_or_b32 s24, s24, s27
	s_and_not1_b32 exec_lo, exec_lo, s23
	s_cbranch_execz .LBB4_7442
.LBB4_7436:                             ;   Parent Loop BB4_5730 Depth=1
                                        ; =>  This Inner Loop Header: Depth=2
	s_add_i32 s26, s26, 1
                                        ; implicit-def: $sgpr28
	s_delay_alu instid0(SALU_CYCLE_1) | instskip(SKIP_1) | instid1(SALU_CYCLE_1)
	s_cmpk_lg_i32 s26, 0x2710
	s_cselect_b32 s27, -1, 0
	s_and_b32 vcc_lo, exec_lo, s27
	s_cbranch_vccz .LBB4_7440
.LBB4_7437:                             ;   in Loop: Header=BB4_7436 Depth=2
	s_and_not1_b32 s25, s25, exec_lo
	s_and_b32 s29, s28, exec_lo
	s_mov_b32 s28, -1
	s_or_b32 s25, s25, s29
	s_and_saveexec_b32 s29, s27
	s_cbranch_execz .LBB4_7435
; %bb.7438:                             ;   in Loop: Header=BB4_7436 Depth=2
	s_sleep 1
	s_cbranch_execnz .LBB4_7767
; %bb.7439:                             ;   in Loop: Header=BB4_7436 Depth=2
	ds_load_b64 v[10:11], v0
	s_and_not1_b32 s25, s25, exec_lo
	s_waitcnt lgkmcnt(0)
	v_cmp_ge_u64_e32 vcc_lo, v[10:11], v[28:29]
	s_or_not1_b32 s28, vcc_lo, exec_lo
	s_branch .LBB4_7435
.LBB4_7440:                             ;   in Loop: Header=BB4_7436 Depth=2
	s_cbranch_execnz .LBB4_7773
; %bb.7441:                             ;   in Loop: Header=BB4_7436 Depth=2
	ds_load_b64 v[10:11], v0
	s_and_not1_b32 s27, s27, exec_lo
	s_mov_b32 s26, 0
	s_mov_b32 s28, -1
	s_waitcnt lgkmcnt(0)
	flat_load_b32 v10, v[10:11] glc
	s_waitcnt vmcnt(0) lgkmcnt(0)
	buffer_gl1_inv
	buffer_gl0_inv
	v_cmp_eq_u32_e32 vcc_lo, 0, v10
	s_and_b32 s29, vcc_lo, exec_lo
	s_delay_alu instid0(SALU_CYCLE_1)
	s_or_b32 s27, s27, s29
	s_branch .LBB4_7437
.LBB4_7442:                             ;   in Loop: Header=BB4_5730 Depth=1
	s_or_b32 exec_lo, exec_lo, s23
	s_and_saveexec_b32 s23, s24
	s_delay_alu instid0(SALU_CYCLE_1)
	s_xor_b32 s23, exec_lo, s23
	s_cbranch_execz .LBB4_7444
; %bb.7443:                             ;   in Loop: Header=BB4_5730 Depth=1
	ds_store_b32 v0, v81
	s_cbranch_execnz .LBB4_7811
.LBB4_7444:                             ;   in Loop: Header=BB4_5730 Depth=1
	s_or_b32 exec_lo, exec_lo, s22
	;;#ASMSTART
	s_wakeup
	;;#ASMEND
.LBB4_7445:                             ;   in Loop: Header=BB4_5730 Depth=1
	s_or_b32 exec_lo, exec_lo, s21
.LBB4_7446:                             ;   in Loop: Header=BB4_5730 Depth=1
	s_and_not1_saveexec_b32 s20, s20
	s_cbranch_execz .LBB4_7448
; %bb.7447:                             ;   in Loop: Header=BB4_5730 Depth=1
	s_waitcnt lgkmcnt(0)
	s_waitcnt_vscnt null, 0x0
	buffer_gl1_inv
	buffer_gl0_inv
	s_barrier
.LBB4_7448:                             ;   in Loop: Header=BB4_5730 Depth=1
	s_or_b32 exec_lo, exec_lo, s20
.LBB4_7449:                             ;   in Loop: Header=BB4_5730 Depth=1
	s_delay_alu instid0(SALU_CYCLE_1) | instskip(SKIP_1) | instid1(VALU_DEP_1)
	s_or_b32 exec_lo, exec_lo, s11
	v_and_b32_e32 v10, 16, v64
	v_cmp_ne_u32_e32 vcc_lo, 0, v10
	s_and_b32 s11, vcc_lo, s10
	s_delay_alu instid0(SALU_CYCLE_1)
	s_and_saveexec_b32 s10, s11
	s_cbranch_execz .LBB4_7451
; %bb.7450:                             ;   in Loop: Header=BB4_5730 Depth=1
	s_waitcnt lgkmcnt(0)
	s_waitcnt_vscnt null, 0x0
	buffer_gl1_inv
	buffer_gl0_inv
.LBB4_7451:                             ;   in Loop: Header=BB4_5730 Depth=1
	s_or_b32 exec_lo, exec_lo, s10
	s_delay_alu instid0(SALU_CYCLE_1)
	s_mov_b32 s10, exec_lo
	v_cmpx_ne_u32_e32 0, v10
	s_cbranch_execz .LBB4_7455
; %bb.7452:                             ;   in Loop: Header=BB4_5730 Depth=1
	s_and_saveexec_b32 s11, s7
	s_cbranch_execz .LBB4_7454
; %bb.7453:                             ;   in Loop: Header=BB4_5730 Depth=1
	s_waitcnt lgkmcnt(0)
	s_waitcnt_vscnt null, 0x0
	flat_store_b32 v[34:35], v81
.LBB4_7454:                             ;   in Loop: Header=BB4_5730 Depth=1
	s_or_b32 exec_lo, exec_lo, s11
	v_add_co_u32 v8, vcc_lo, v8, 1
	v_add_co_ci_u32_e32 v9, vcc_lo, 0, v9, vcc_lo
	s_waitcnt lgkmcnt(0)
	s_waitcnt_vscnt null, 0x0
	flat_store_b64 v[22:23], v[8:9]
.LBB4_7455:                             ;   in Loop: Header=BB4_5730 Depth=1
	s_or_b32 exec_lo, exec_lo, s10
	v_mov_b32_e32 v12, v14
.LBB4_7456:                             ;   in Loop: Header=BB4_5730 Depth=1
	s_or_b32 exec_lo, exec_lo, s19
	s_and_saveexec_b32 s11, s18
	s_cbranch_execz .LBB4_7511
; %bb.7457:                             ;   in Loop: Header=BB4_5730 Depth=1
	v_and_b32_e32 v10, 8, v64
	s_mov_b32 s18, -1
	s_mov_b32 s10, exec_lo
	s_delay_alu instid0(VALU_DEP_1)
	v_cmpx_ne_u32_e32 0, v10
	s_cbranch_execz .LBB4_7471
; %bb.7458:                             ;   in Loop: Header=BB4_5730 Depth=1
	v_add_co_u32 v37, vcc_lo, v26, 8
	v_add_co_ci_u32_e32 v38, vcc_lo, 0, v27, vcc_lo
	v_add_co_u32 v10, vcc_lo, v8, 1
	v_add_co_ci_u32_e32 v11, vcc_lo, 0, v9, vcc_lo
	v_mov_b32_e32 v13, 1
	s_mov_b32 s18, exec_lo
	s_delay_alu instid0(VALU_DEP_2)
	v_cmpx_lt_u64_e64 v[37:38], v[10:11]
	s_cbranch_execz .LBB4_7470
; %bb.7459:                             ;   in Loop: Header=BB4_5730 Depth=1
	v_mov_b32_e32 v13, 0
	s_mov_b32 s19, 0
                                        ; implicit-def: $sgpr20
	s_branch .LBB4_7463
.LBB4_7460:                             ;   in Loop: Header=BB4_7463 Depth=2
	s_or_b32 exec_lo, exec_lo, s24
	v_mov_b32_e32 v37, 0
	s_or_not1_b32 s23, s23, exec_lo
.LBB4_7461:                             ;   in Loop: Header=BB4_7463 Depth=2
	s_or_b32 exec_lo, exec_lo, s22
	s_delay_alu instid0(VALU_DEP_1) | instskip(SKIP_2) | instid1(SALU_CYCLE_1)
	v_mov_b32_e32 v13, v37
	s_and_not1_b32 s20, s20, exec_lo
	s_and_b32 s22, s23, exec_lo
	s_or_b32 s20, s20, s22
.LBB4_7462:                             ;   in Loop: Header=BB4_7463 Depth=2
	s_or_b32 exec_lo, exec_lo, s21
	s_waitcnt vmcnt(0) lgkmcnt(0)
	v_add_co_u32 v37, vcc_lo, v26, 8
	v_add_co_ci_u32_e32 v38, vcc_lo, 0, v27, vcc_lo
	s_xor_b32 s21, s20, -1
	s_delay_alu instid0(VALU_DEP_1) | instskip(SKIP_1) | instid1(SALU_CYCLE_1)
	v_cmp_ge_u64_e32 vcc_lo, v[37:38], v[10:11]
	s_or_b32 s21, s21, vcc_lo
	s_and_b32 s21, exec_lo, s21
	s_delay_alu instid0(SALU_CYCLE_1) | instskip(NEXT) | instid1(SALU_CYCLE_1)
	s_or_b32 s19, s21, s19
	s_and_not1_b32 exec_lo, exec_lo, s19
	s_cbranch_execz .LBB4_7469
.LBB4_7463:                             ;   Parent Loop BB4_5730 Depth=1
                                        ; =>  This Inner Loop Header: Depth=2
	s_sleep 1
	flat_load_b64 v[26:27], v[22:23] glc
	v_and_b32_e32 v37, 64, v64
	s_and_not1_b32 s20, s20, exec_lo
	s_mov_b32 s21, exec_lo
	s_delay_alu instid0(VALU_DEP_1)
	v_cmpx_eq_u32_e32 0, v37
	s_cbranch_execz .LBB4_7462
; %bb.7464:                             ;   in Loop: Header=BB4_7463 Depth=2
	v_add_nc_u32_e32 v37, 1, v13
	s_mov_b32 s23, -1
	s_mov_b32 s22, exec_lo
	v_cmpx_lt_i32_e32 0x270e, v13
	s_cbranch_execz .LBB4_7461
; %bb.7465:                             ;   in Loop: Header=BB4_7463 Depth=2
	s_cbranch_execnz .LBB4_7600
; %bb.7466:                             ;   in Loop: Header=BB4_7463 Depth=2
	ds_load_b64 v[37:38], v0
	s_mov_b32 s24, exec_lo
	s_waitcnt vmcnt(0) lgkmcnt(0)
	s_waitcnt_vscnt null, 0x0
	flat_load_b32 v13, v[37:38] glc
	s_waitcnt vmcnt(0) lgkmcnt(0)
	buffer_gl1_inv
	buffer_gl0_inv
	v_cmpx_ne_u32_e32 0, v13
	s_cbranch_execz .LBB4_7460
; %bb.7467:                             ;   in Loop: Header=BB4_7463 Depth=2
	ds_store_b32 v0, v13
	s_cbranch_execnz .LBB4_7637
; %bb.7468:                             ;   in Loop: Header=BB4_7463 Depth=2
	v_or_b32_e32 v64, 64, v64
	s_xor_b32 s23, exec_lo, -1
	s_branch .LBB4_7460
.LBB4_7469:                             ;   in Loop: Header=BB4_5730 Depth=1
	s_or_b32 exec_lo, exec_lo, s19
	v_and_b32_e32 v13, 8, v64
.LBB4_7470:                             ;   in Loop: Header=BB4_5730 Depth=1
	s_or_b32 exec_lo, exec_lo, s18
	s_delay_alu instid0(VALU_DEP_1)
	v_cmp_eq_u32_e32 vcc_lo, 0, v13
	;;#ASMSTART
	s_wakeup
	;;#ASMEND
	s_or_not1_b32 s18, vcc_lo, exec_lo
.LBB4_7471:                             ;   in Loop: Header=BB4_5730 Depth=1
	s_or_b32 exec_lo, exec_lo, s10
	v_sub_nc_u32_e32 v10, v36, v12
	s_xor_b32 s10, s18, -1
	s_delay_alu instid0(VALU_DEP_1)
	v_min_i32_e32 v10, v14, v10
	s_and_saveexec_b32 s18, s10
	s_cbranch_execz .LBB4_7481
; %bb.7472:                             ;   in Loop: Header=BB4_5730 Depth=1
	v_and_b32_e32 v11, 0x100, v64
	v_and_b32_e32 v36, 7, v8
	s_mov_b32 s10, -1
	s_delay_alu instid0(VALU_DEP_2)
	v_cmp_ne_u32_e32 vcc_lo, 0, v11
                                        ; implicit-def: $vgpr11_vgpr12
	s_and_saveexec_b32 s19, vcc_lo
	s_cbranch_execz .LBB4_7476
; %bb.7473:                             ;   in Loop: Header=BB4_5730 Depth=1
	v_mad_u64_u32 v[13:14], null, v36, 24, v[6:7]
	v_ashrrev_i32_e32 v11, 31, v10
	flat_load_b32 v12, v[13:14]
	flat_store_b64 v[13:14], v[10:11] offset:8
	s_waitcnt vmcnt(0) lgkmcnt(1)
	v_cmp_ne_u32_e32 vcc_lo, 1, v12
	v_cmp_eq_u32_e64 s10, 1, v12
                                        ; implicit-def: $vgpr11_vgpr12
	s_delay_alu instid0(VALU_DEP_1)
	s_and_saveexec_b32 s20, s10
	s_cbranch_execz .LBB4_7475
; %bb.7474:                             ;   in Loop: Header=BB4_5730 Depth=1
	flat_load_b32 v11, v[13:14] offset:4 glc
	s_waitcnt vmcnt(0) lgkmcnt(0)
	v_ashrrev_i32_e32 v12, 31, v11
.LBB4_7475:                             ;   in Loop: Header=BB4_5730 Depth=1
	s_or_b32 exec_lo, exec_lo, s20
	s_delay_alu instid0(SALU_CYCLE_1)
	s_or_not1_b32 s10, vcc_lo, exec_lo
.LBB4_7476:                             ;   in Loop: Header=BB4_5730 Depth=1
	s_or_b32 exec_lo, exec_lo, s19
	s_and_saveexec_b32 s19, s10
; %bb.7477:                             ;   in Loop: Header=BB4_5730 Depth=1
	v_mad_i64_i32 v[11:12], null, v36, v65, 0
; %bb.7478:                             ;   in Loop: Header=BB4_5730 Depth=1
	s_or_b32 exec_lo, exec_lo, s19
	s_delay_alu instid0(VALU_DEP_1) | instskip(SKIP_1) | instid1(VALU_DEP_3)
	v_add_co_u32 v11, vcc_lo, v24, v11
	v_and_b32_e32 v13, 0x2000, v64
	v_add_co_ci_u32_e32 v12, vcc_lo, v25, v12, vcc_lo
	s_mov_b32 s10, exec_lo
	ds_store_b64 v0, v[11:12] offset:784
	v_cmpx_ne_u32_e32 0, v13
	s_cbranch_execz .LBB4_7480
; %bb.7479:                             ;   in Loop: Header=BB4_5730 Depth=1
	ds_load_b64 v[11:12], v0 offset:584
	s_waitcnt lgkmcnt(0)
	v_add_co_u32 v11, vcc_lo, v11, 1
	v_add_co_ci_u32_e32 v12, vcc_lo, 0, v12, vcc_lo
	ds_store_b64 v0, v[11:12] offset:584
.LBB4_7480:                             ;   in Loop: Header=BB4_5730 Depth=1
	s_or_b32 exec_lo, exec_lo, s10
	v_add_co_u32 v8, vcc_lo, v8, 1
	v_add_co_ci_u32_e32 v9, vcc_lo, 0, v9, vcc_lo
.LBB4_7481:                             ;   in Loop: Header=BB4_5730 Depth=1
	s_or_b32 exec_lo, exec_lo, s18
	s_and_saveexec_b32 s10, s2
	s_cbranch_execz .LBB4_7503
; %bb.7482:                             ;   in Loop: Header=BB4_5730 Depth=1
	s_and_saveexec_b32 s18, s3
	s_delay_alu instid0(SALU_CYCLE_1)
	s_xor_b32 s18, exec_lo, s18
	s_cbranch_execz .LBB4_7500
; %bb.7483:                             ;   in Loop: Header=BB4_5730 Depth=1
	s_and_saveexec_b32 s19, s4
	s_cbranch_execz .LBB4_7499
; %bb.7484:                             ;   in Loop: Header=BB4_5730 Depth=1
	s_mov_b32 s21, exec_lo
	s_mov_b32 s20, exec_lo
	v_mbcnt_lo_u32_b32 v11, s21, 0
	s_waitcnt lgkmcnt(0)
	s_waitcnt_vscnt null, 0x0
	buffer_gl1_inv
	buffer_gl0_inv
	v_cmpx_eq_u32_e32 0, v11
	s_cbranch_execz .LBB4_7486
; %bb.7485:                             ;   in Loop: Header=BB4_5730 Depth=1
	s_bcnt1_i32_b32 s21, s21
	s_delay_alu instid0(SALU_CYCLE_1)
	v_mov_b32_e32 v14, s21
	ds_add_u64 v0, v[14:15]
	s_cbranch_execnz .LBB4_7653
.LBB4_7486:                             ;   in Loop: Header=BB4_5730 Depth=1
	s_or_b32 exec_lo, exec_lo, s20
	s_cbranch_execnz .LBB4_7641
; %bb.7487:                             ;   in Loop: Header=BB4_5730 Depth=1
	ds_load_b64 v[11:12], v0
	v_add_co_u32 v28, vcc_lo, v28, v39
	v_add_co_ci_u32_e32 v29, vcc_lo, 0, v29, vcc_lo
	s_mov_b32 s20, exec_lo
	s_waitcnt lgkmcnt(0)
	s_delay_alu instid0(VALU_DEP_1)
	v_cmpx_lt_u64_e64 v[11:12], v[28:29]
	s_cbranch_execz .LBB4_7498
; %bb.7488:                             ;   in Loop: Header=BB4_5730 Depth=1
	s_mov_b32 s21, 0
	s_mov_b32 s24, 0
                                        ; implicit-def: $sgpr22
                                        ; implicit-def: $sgpr23
	s_branch .LBB4_7490
.LBB4_7489:                             ;   in Loop: Header=BB4_7490 Depth=2
	s_or_b32 exec_lo, exec_lo, s27
	s_delay_alu instid0(SALU_CYCLE_1) | instskip(NEXT) | instid1(SALU_CYCLE_1)
	s_and_b32 s25, exec_lo, s26
	s_or_b32 s21, s25, s21
	s_and_not1_b32 s22, s22, exec_lo
	s_and_b32 s25, s23, exec_lo
	s_delay_alu instid0(SALU_CYCLE_1)
	s_or_b32 s22, s22, s25
	s_and_not1_b32 exec_lo, exec_lo, s21
	s_cbranch_execz .LBB4_7496
.LBB4_7490:                             ;   Parent Loop BB4_5730 Depth=1
                                        ; =>  This Inner Loop Header: Depth=2
	s_add_i32 s24, s24, 1
                                        ; implicit-def: $sgpr26
	s_delay_alu instid0(SALU_CYCLE_1) | instskip(SKIP_1) | instid1(SALU_CYCLE_1)
	s_cmpk_lg_i32 s24, 0x2710
	s_cselect_b32 s25, -1, 0
	s_and_b32 vcc_lo, exec_lo, s25
	s_cbranch_vccz .LBB4_7494
.LBB4_7491:                             ;   in Loop: Header=BB4_7490 Depth=2
	s_and_not1_b32 s23, s23, exec_lo
	s_and_b32 s27, s26, exec_lo
	s_mov_b32 s26, -1
	s_or_b32 s23, s23, s27
	s_and_saveexec_b32 s27, s25
	s_cbranch_execz .LBB4_7489
; %bb.7492:                             ;   in Loop: Header=BB4_7490 Depth=2
	s_sleep 1
	s_cbranch_execnz .LBB4_7691
; %bb.7493:                             ;   in Loop: Header=BB4_7490 Depth=2
	ds_load_b64 v[11:12], v0
	s_and_not1_b32 s23, s23, exec_lo
	s_waitcnt lgkmcnt(0)
	v_cmp_ge_u64_e32 vcc_lo, v[11:12], v[28:29]
	s_or_not1_b32 s26, vcc_lo, exec_lo
	s_branch .LBB4_7489
.LBB4_7494:                             ;   in Loop: Header=BB4_7490 Depth=2
	s_cbranch_execnz .LBB4_7695
; %bb.7495:                             ;   in Loop: Header=BB4_7490 Depth=2
	ds_load_b64 v[11:12], v0
	s_and_not1_b32 s25, s25, exec_lo
	s_mov_b32 s24, 0
	s_mov_b32 s26, -1
	s_waitcnt lgkmcnt(0)
	flat_load_b32 v11, v[11:12] glc
	s_waitcnt vmcnt(0) lgkmcnt(0)
	buffer_gl1_inv
	buffer_gl0_inv
	v_cmp_eq_u32_e32 vcc_lo, 0, v11
	s_and_b32 s27, vcc_lo, exec_lo
	s_delay_alu instid0(SALU_CYCLE_1)
	s_or_b32 s25, s25, s27
	s_branch .LBB4_7491
.LBB4_7496:                             ;   in Loop: Header=BB4_5730 Depth=1
	s_or_b32 exec_lo, exec_lo, s21
	s_and_saveexec_b32 s21, s22
	s_delay_alu instid0(SALU_CYCLE_1)
	s_xor_b32 s21, exec_lo, s21
	s_cbranch_execz .LBB4_7498
; %bb.7497:                             ;   in Loop: Header=BB4_5730 Depth=1
	ds_store_b32 v0, v81
	s_cbranch_execnz .LBB4_7795
.LBB4_7498:                             ;   in Loop: Header=BB4_5730 Depth=1
	s_or_b32 exec_lo, exec_lo, s20
	;;#ASMSTART
	s_wakeup
	;;#ASMEND
.LBB4_7499:                             ;   in Loop: Header=BB4_5730 Depth=1
	s_or_b32 exec_lo, exec_lo, s19
.LBB4_7500:                             ;   in Loop: Header=BB4_5730 Depth=1
	s_and_not1_saveexec_b32 s18, s18
	s_cbranch_execz .LBB4_7502
; %bb.7501:                             ;   in Loop: Header=BB4_5730 Depth=1
	s_waitcnt lgkmcnt(0)
	s_waitcnt_vscnt null, 0x0
	buffer_gl1_inv
	buffer_gl0_inv
	s_barrier
.LBB4_7502:                             ;   in Loop: Header=BB4_5730 Depth=1
	s_or_b32 exec_lo, exec_lo, s18
.LBB4_7503:                             ;   in Loop: Header=BB4_5730 Depth=1
	s_delay_alu instid0(SALU_CYCLE_1)
	s_or_b32 exec_lo, exec_lo, s10
	s_cbranch_execnz .LBB4_7586
; %bb.7504:                             ;   in Loop: Header=BB4_5730 Depth=1
	ds_load_b32 v11, v0
	v_cmp_lt_i32_e32 vcc_lo, 0, v10
	s_waitcnt lgkmcnt(0)
	v_readfirstlane_b32 s10, v11
	v_and_b32_e32 v11, 16, v64
	s_delay_alu instid0(VALU_DEP_2) | instskip(NEXT) | instid1(VALU_DEP_1)
	s_cmp_eq_u32 s10, 0
	v_cmp_ne_u32_e64 s10, 0, v11
	s_cselect_b32 s18, -1, 0
	s_delay_alu instid0(SALU_CYCLE_1)
	s_and_b32 s18, vcc_lo, s18
	s_delay_alu instid0(VALU_DEP_1) | instid1(SALU_CYCLE_1)
	s_and_b32 s18, s10, s18
	s_delay_alu instid0(SALU_CYCLE_1)
	s_and_saveexec_b32 s10, s18
	s_cbranch_execz .LBB4_7506
; %bb.7505:                             ;   in Loop: Header=BB4_5730 Depth=1
	s_waitcnt_vscnt null, 0x0
	buffer_gl1_inv
	buffer_gl0_inv
.LBB4_7506:                             ;   in Loop: Header=BB4_5730 Depth=1
	s_or_b32 exec_lo, exec_lo, s10
	s_delay_alu instid0(SALU_CYCLE_1)
	s_mov_b32 s10, exec_lo
	v_cmpx_ne_u32_e32 0, v11
	s_cbranch_execz .LBB4_7510
; %bb.7507:                             ;   in Loop: Header=BB4_5730 Depth=1
	s_and_saveexec_b32 s18, s7
	s_cbranch_execz .LBB4_7509
; %bb.7508:                             ;   in Loop: Header=BB4_5730 Depth=1
	s_waitcnt_vscnt null, 0x0
	flat_store_b32 v[34:35], v81
.LBB4_7509:                             ;   in Loop: Header=BB4_5730 Depth=1
	s_or_b32 exec_lo, exec_lo, s18
	v_add_co_u32 v8, vcc_lo, v8, 1
	v_add_co_ci_u32_e32 v9, vcc_lo, 0, v9, vcc_lo
	s_waitcnt lgkmcnt(0)
	s_waitcnt_vscnt null, 0x0
	flat_store_b64 v[22:23], v[8:9]
.LBB4_7510:                             ;   in Loop: Header=BB4_5730 Depth=1
	s_or_b32 exec_lo, exec_lo, s10
.LBB4_7511:                             ;   in Loop: Header=BB4_5730 Depth=1
	s_delay_alu instid0(SALU_CYCLE_1) | instskip(SKIP_2) | instid1(VALU_DEP_1)
	s_or_b32 exec_lo, exec_lo, s11
	v_add_co_u32 v16, vcc_lo, v16, v32
	v_add_co_ci_u32_e32 v17, vcc_lo, 0, v17, vcc_lo
	v_cmp_ge_u64_e32 vcc_lo, v[16:17], v[4:5]
	s_or_b32 s14, vcc_lo, s14
	s_delay_alu instid0(SALU_CYCLE_1)
	s_and_not1_b32 exec_lo, exec_lo, s14
	s_cbranch_execnz .LBB4_5730
; %bb.7512:
	s_or_b32 exec_lo, exec_lo, s14
.LBB4_7513:
	s_delay_alu instid0(SALU_CYCLE_1)
	s_or_b32 exec_lo, exec_lo, s15
.LBB4_7514:
	s_delay_alu instid0(SALU_CYCLE_1) | instskip(SKIP_2) | instid1(VALU_DEP_1)
	s_or_b32 exec_lo, exec_lo, s12
	v_and_b32_e32 v0, 0x800, v64
	s_mov_b32 s0, exec_lo
	v_cmpx_eq_u32_e32 0, v0
	s_cbranch_execz .LBB4_7739
; %bb.7515:
	v_and_b32_e32 v0, 48, v64
	s_mov_b32 s1, exec_lo
	s_delay_alu instid0(VALU_DEP_1)
	v_cmpx_ne_u32_e32 0, v0
	s_cbranch_execz .LBB4_7517
; %bb.7516:
	flat_store_b64 v[20:21], v[8:9] offset:104
.LBB4_7517:
	s_or_b32 exec_lo, exec_lo, s1
	v_and_b32_e32 v0, 0x88, v64
	s_mov_b32 s1, exec_lo
	s_delay_alu instid0(VALU_DEP_1)
	v_cmpx_eq_u32_e32 0x88, v0
	s_cbranch_execz .LBB4_7567
; %bb.7518:
	v_add_nc_u32_e32 v0, -1, v8
	s_mov_b32 s2, 0
                                        ; implicit-def: $sgpr3
	s_delay_alu instid0(VALU_DEP_1) | instskip(NEXT) | instid1(VALU_DEP_1)
	v_and_b32_e32 v0, 7, v0
	v_mad_u64_u32 v[4:5], null, v0, 24, v[6:7]
	v_mov_b32_e32 v0, 0
	s_delay_alu instid0(VALU_DEP_2) | instskip(NEXT) | instid1(VALU_DEP_3)
	v_add_co_u32 v4, vcc_lo, v4, 8
	v_add_co_ci_u32_e32 v5, vcc_lo, 0, v5, vcc_lo
	s_branch .LBB4_7551
.LBB4_7519:
	s_trap 2
	s_sendmsg_rtn_b32 s0, sendmsg(MSG_RTN_GET_DOORBELL)
	s_mov_b32 ttmp2, m0
	s_waitcnt lgkmcnt(0)
	s_and_b32 s0, s0, 0x3ff
	s_delay_alu instid0(SALU_CYCLE_1) | instskip(NEXT) | instid1(SALU_CYCLE_1)
	s_bitset1_b32 s0, 10
	s_mov_b32 m0, s0
	s_sendmsg sendmsg(MSG_INTERRUPT)
	s_mov_b32 m0, ttmp2
.LBB4_7520:                             ; =>This Inner Loop Header: Depth=1
	s_sethalt 5
	s_branch .LBB4_7520
.LBB4_7521:
	v_bfe_u32 v10, v6, 8, 8
	v_not_b32_e32 v8, v8
	s_mov_b32 s1, exec_lo
                                        ; implicit-def: $vgpr28_vgpr29
                                        ; implicit-def: $vgpr4_vgpr5
                                        ; implicit-def: $vgpr18_vgpr19
	s_delay_alu instid0(VALU_DEP_2)
	v_cmpx_ne_u32_e64 v10, v9
	s_xor_b32 s1, exec_lo, s1
	s_cbranch_execz .LBB4_7523
; %bb.7522:
	s_clause 0x1
	flat_load_b128 v[4:7], v[2:3] offset:72
	flat_load_b64 v[10:11], v[2:3] offset:96
	v_add_nc_u32_e32 v8, v9, v8
	s_delay_alu instid0(VALU_DEP_1) | instskip(SKIP_1) | instid1(VALU_DEP_1)
	v_ashrrev_i32_e32 v9, 31, v8
	s_waitcnt vmcnt(1) lgkmcnt(1)
	v_mul_lo_u32 v9, v6, v9
	v_mad_u64_u32 v[18:19], null, v6, v8, v[4:5]
	v_mul_lo_u32 v4, v7, v8
	s_waitcnt vmcnt(0) lgkmcnt(0)
	v_lshrrev_b64 v[28:29], 12, v[10:11]
                                        ; implicit-def: $vgpr10
                                        ; implicit-def: $vgpr8
	s_delay_alu instid0(VALU_DEP_2)
	v_add3_u32 v19, v4, v19, v9
	v_dual_mov_b32 v4, v6 :: v_dual_mov_b32 v5, v7
.LBB4_7523:
	s_and_not1_saveexec_b32 s1, s1
	s_cbranch_execz .LBB4_7525
; %bb.7524:
	s_clause 0x1
	flat_load_b128 v[20:23], v[2:3] offset:72
	flat_load_b128 v[4:7], v[2:3] offset:88
	s_waitcnt vmcnt(0) lgkmcnt(0)
	v_add_nc_u32_e32 v6, v10, v8
	s_delay_alu instid0(VALU_DEP_1) | instskip(NEXT) | instid1(VALU_DEP_1)
	v_ashrrev_i32_e32 v8, 31, v6
	v_mul_lo_u32 v8, v22, v8
	v_mad_u64_u32 v[18:19], null, v22, v6, v[20:21]
	v_mul_lo_u32 v6, v23, v6
	v_lshrrev_b32_e32 v28, 1, v7
	s_delay_alu instid0(VALU_DEP_2)
	v_add3_u32 v19, v6, v19, v8
.LBB4_7525:
	s_or_b32 exec_lo, exec_lo, s1
	s_and_not1_saveexec_b32 s0, s0
	s_cbranch_execnz .LBB4_7526
; %bb.7961:
	s_getpc_b64 s[34:35]
.Lpost_getpc116:
	s_add_u32 s34, s34, (.LBB4_3-.Lpost_getpc116)&4294967295
	s_addc_u32 s35, s35, (.LBB4_3-.Lpost_getpc116)>>32
	s_setpc_b64 s[34:35]
.LBB4_7526:
	s_clause 0x1
	flat_load_b64 v[6:7], v[2:3] offset:96
	flat_load_b64 v[4:5], v[2:3] offset:72
	v_mov_b32_e32 v18, 0
	v_mov_b32_e32 v19, 0
	s_waitcnt vmcnt(1) lgkmcnt(1)
	v_lshlrev_b64 v[28:29], 9, v[6:7]
	s_or_b32 exec_lo, exec_lo, s0
	s_cbranch_execnz .LBB4_7527
; %bb.7963:
	s_getpc_b64 s[34:35]
.Lpost_getpc117:
	s_add_u32 s34, s34, (.LBB4_4-.Lpost_getpc117)&4294967295
	s_addc_u32 s35, s35, (.LBB4_4-.Lpost_getpc117)>>32
	s_setpc_b64 s[34:35]
.LBB4_7527:
	s_trap 2
	s_sendmsg_rtn_b32 s0, sendmsg(MSG_RTN_GET_DOORBELL)
	s_mov_b32 ttmp2, m0
	s_waitcnt lgkmcnt(0)
	s_and_b32 s0, s0, 0x3ff
	s_delay_alu instid0(SALU_CYCLE_1) | instskip(NEXT) | instid1(SALU_CYCLE_1)
	s_bitset1_b32 s0, 10
	s_mov_b32 m0, s0
	s_sendmsg sendmsg(MSG_INTERRUPT)
	s_mov_b32 m0, ttmp2
.LBB4_7528:                             ; =>This Inner Loop Header: Depth=1
	s_sethalt 5
	s_branch .LBB4_7528
.LBB4_7529:
	s_trap 2
	s_sendmsg_rtn_b32 s0, sendmsg(MSG_RTN_GET_DOORBELL)
	s_mov_b32 ttmp2, m0
	s_waitcnt lgkmcnt(0)
	s_and_b32 s0, s0, 0x3ff
	s_delay_alu instid0(SALU_CYCLE_1) | instskip(NEXT) | instid1(SALU_CYCLE_1)
	s_bitset1_b32 s0, 10
	s_mov_b32 m0, s0
	s_sendmsg sendmsg(MSG_INTERRUPT)
	s_mov_b32 m0, ttmp2
.LBB4_7530:                             ; =>This Inner Loop Header: Depth=1
	s_sethalt 5
	s_branch .LBB4_7530
.LBB4_7531:
	s_trap 2
	s_sendmsg_rtn_b32 s0, sendmsg(MSG_RTN_GET_DOORBELL)
	s_mov_b32 ttmp2, m0
	s_waitcnt lgkmcnt(0)
	s_and_b32 s0, s0, 0x3ff
	s_delay_alu instid0(SALU_CYCLE_1) | instskip(NEXT) | instid1(SALU_CYCLE_1)
	s_bitset1_b32 s0, 10
	s_mov_b32 m0, s0
	s_sendmsg sendmsg(MSG_INTERRUPT)
	s_mov_b32 m0, ttmp2
.LBB4_7532:                             ; =>This Inner Loop Header: Depth=1
	s_sethalt 5
	s_branch .LBB4_7532
.LBB4_7533:
	s_trap 2
	s_sendmsg_rtn_b32 s0, sendmsg(MSG_RTN_GET_DOORBELL)
	s_mov_b32 ttmp2, m0
	s_waitcnt lgkmcnt(0)
	s_and_b32 s0, s0, 0x3ff
	s_delay_alu instid0(SALU_CYCLE_1) | instskip(NEXT) | instid1(SALU_CYCLE_1)
	s_bitset1_b32 s0, 10
	s_mov_b32 m0, s0
	s_sendmsg sendmsg(MSG_INTERRUPT)
	s_mov_b32 m0, ttmp2
.LBB4_7534:                             ; =>This Inner Loop Header: Depth=1
	s_sethalt 5
	s_branch .LBB4_7534
.LBB4_7535:
	s_trap 2
	s_sendmsg_rtn_b32 s0, sendmsg(MSG_RTN_GET_DOORBELL)
	s_mov_b32 ttmp2, m0
	s_waitcnt lgkmcnt(0)
	s_and_b32 s0, s0, 0x3ff
	s_delay_alu instid0(SALU_CYCLE_1) | instskip(NEXT) | instid1(SALU_CYCLE_1)
	s_bitset1_b32 s0, 10
	s_mov_b32 m0, s0
	s_sendmsg sendmsg(MSG_INTERRUPT)
	s_mov_b32 m0, ttmp2
.LBB4_7536:                             ; =>This Inner Loop Header: Depth=1
	s_sethalt 5
	s_branch .LBB4_7536
.LBB4_7537:
	s_trap 2
	s_sendmsg_rtn_b32 s0, sendmsg(MSG_RTN_GET_DOORBELL)
	s_mov_b32 ttmp2, m0
	s_waitcnt lgkmcnt(0)
	s_and_b32 s0, s0, 0x3ff
	s_delay_alu instid0(SALU_CYCLE_1) | instskip(NEXT) | instid1(SALU_CYCLE_1)
	s_bitset1_b32 s0, 10
	s_mov_b32 m0, s0
	s_sendmsg sendmsg(MSG_INTERRUPT)
	s_mov_b32 m0, ttmp2
.LBB4_7538:                             ; =>This Inner Loop Header: Depth=1
	s_sethalt 5
	s_branch .LBB4_7538
.LBB4_7539:
	s_trap 2
	s_sendmsg_rtn_b32 s0, sendmsg(MSG_RTN_GET_DOORBELL)
	s_mov_b32 ttmp2, m0
	s_waitcnt lgkmcnt(0)
	s_and_b32 s0, s0, 0x3ff
	s_delay_alu instid0(SALU_CYCLE_1) | instskip(NEXT) | instid1(SALU_CYCLE_1)
	s_bitset1_b32 s0, 10
	s_mov_b32 m0, s0
	s_sendmsg sendmsg(MSG_INTERRUPT)
	s_mov_b32 m0, ttmp2
.LBB4_7540:                             ; =>This Inner Loop Header: Depth=1
	s_sethalt 5
	s_branch .LBB4_7540
.LBB4_7541:
	s_trap 2
	s_sendmsg_rtn_b32 s0, sendmsg(MSG_RTN_GET_DOORBELL)
	s_mov_b32 ttmp2, m0
	s_waitcnt lgkmcnt(0)
	s_and_b32 s0, s0, 0x3ff
	s_delay_alu instid0(SALU_CYCLE_1) | instskip(NEXT) | instid1(SALU_CYCLE_1)
	s_bitset1_b32 s0, 10
	s_mov_b32 m0, s0
	s_sendmsg sendmsg(MSG_INTERRUPT)
	s_mov_b32 m0, ttmp2
.LBB4_7542:                             ; =>This Inner Loop Header: Depth=1
	s_sethalt 5
	s_branch .LBB4_7542
.LBB4_7543:
	s_trap 2
	s_sendmsg_rtn_b32 s0, sendmsg(MSG_RTN_GET_DOORBELL)
	s_mov_b32 ttmp2, m0
	s_waitcnt lgkmcnt(0)
	s_and_b32 s0, s0, 0x3ff
	s_delay_alu instid0(SALU_CYCLE_1) | instskip(NEXT) | instid1(SALU_CYCLE_1)
	s_bitset1_b32 s0, 10
	s_mov_b32 m0, s0
	s_sendmsg sendmsg(MSG_INTERRUPT)
	s_mov_b32 m0, ttmp2
.LBB4_7544:                             ; =>This Inner Loop Header: Depth=1
	s_sethalt 5
	s_branch .LBB4_7544
.LBB4_7545:
	s_trap 2
	s_sendmsg_rtn_b32 s0, sendmsg(MSG_RTN_GET_DOORBELL)
	s_mov_b32 ttmp2, m0
	s_waitcnt lgkmcnt(0)
	s_and_b32 s0, s0, 0x3ff
	s_delay_alu instid0(SALU_CYCLE_1) | instskip(NEXT) | instid1(SALU_CYCLE_1)
	s_bitset1_b32 s0, 10
	s_mov_b32 m0, s0
	s_sendmsg sendmsg(MSG_INTERRUPT)
	s_mov_b32 m0, ttmp2
.LBB4_7546:                             ; =>This Inner Loop Header: Depth=1
	s_sethalt 5
	s_branch .LBB4_7546
.LBB4_7547:                             ;   in Loop: Header=BB4_7551 Depth=1
	s_or_b32 exec_lo, exec_lo, s10
	v_mov_b32_e32 v6, 0
	s_or_not1_b32 s7, s7, exec_lo
.LBB4_7548:                             ;   in Loop: Header=BB4_7551 Depth=1
	s_or_b32 exec_lo, exec_lo, s6
	s_delay_alu instid0(VALU_DEP_1)
	v_mov_b32_e32 v0, v6
	s_and_b32 s6, s7, exec_lo
.LBB4_7549:                             ;   in Loop: Header=BB4_7551 Depth=1
	s_or_b32 exec_lo, exec_lo, s5
	s_xor_b32 s5, s6, -1
	s_and_not1_b32 s3, s3, exec_lo
	s_and_b32 s5, s5, exec_lo
	s_delay_alu instid0(SALU_CYCLE_1)
	s_or_b32 s3, s3, s5
.LBB4_7550:                             ;   in Loop: Header=BB4_7551 Depth=1
	s_or_b32 exec_lo, exec_lo, s4
	s_delay_alu instid0(SALU_CYCLE_1) | instskip(NEXT) | instid1(SALU_CYCLE_1)
	s_and_b32 s4, exec_lo, s3
	s_or_b32 s2, s4, s2
	s_delay_alu instid0(SALU_CYCLE_1)
	s_and_not1_b32 exec_lo, exec_lo, s2
	s_cbranch_execz .LBB4_7566
.LBB4_7551:                             ; =>This Inner Loop Header: Depth=1
	flat_load_b64 v[6:7], v[4:5] glc dlc
	s_waitcnt vmcnt(0)
	s_or_b32 s3, s3, exec_lo
	s_mov_b32 s4, exec_lo
	s_waitcnt lgkmcnt(0)
	v_cmpx_ne_u64_e32 -1, v[6:7]
	s_cbranch_execz .LBB4_7550
; %bb.7552:                             ;   in Loop: Header=BB4_7551 Depth=1
	v_and_b32_e32 v6, 64, v64
	s_mov_b32 s6, 0
	s_mov_b32 s5, exec_lo
	s_delay_alu instid0(VALU_DEP_1)
	v_cmpx_eq_u32_e32 0, v6
	s_cbranch_execz .LBB4_7549
; %bb.7553:                             ;   in Loop: Header=BB4_7551 Depth=1
	v_add_nc_u32_e32 v6, 1, v0
	s_mov_b32 s7, -1
	s_mov_b32 s6, exec_lo
	v_cmpx_lt_i32_e32 0x270e, v0
	s_cbranch_execz .LBB4_7548
; %bb.7554:                             ;   in Loop: Header=BB4_7551 Depth=1
	s_cbranch_execnz .LBB4_7558
; %bb.7555:                             ;   in Loop: Header=BB4_7551 Depth=1
	ds_load_b64 v[6:7], v0
	s_mov_b32 s10, exec_lo
	s_waitcnt lgkmcnt(0)
	s_waitcnt_vscnt null, 0x0
	flat_load_b32 v0, v[6:7] glc
	s_waitcnt vmcnt(0) lgkmcnt(0)
	buffer_gl1_inv
	buffer_gl0_inv
	v_cmpx_ne_u32_e32 0, v0
	s_cbranch_execz .LBB4_7547
; %bb.7556:                             ;   in Loop: Header=BB4_7551 Depth=1
	ds_store_b32 v0, v0
	s_cbranch_execnz .LBB4_7580
; %bb.7557:                             ;   in Loop: Header=BB4_7551 Depth=1
	v_or_b32_e32 v64, 64, v64
	s_xor_b32 s7, exec_lo, -1
	s_branch .LBB4_7547
.LBB4_7558:
	s_trap 2
	s_sendmsg_rtn_b32 s0, sendmsg(MSG_RTN_GET_DOORBELL)
	s_mov_b32 ttmp2, m0
	s_waitcnt lgkmcnt(0)
	s_and_b32 s0, s0, 0x3ff
	s_delay_alu instid0(SALU_CYCLE_1) | instskip(NEXT) | instid1(SALU_CYCLE_1)
	s_bitset1_b32 s0, 10
	s_mov_b32 m0, s0
	s_sendmsg sendmsg(MSG_INTERRUPT)
	s_mov_b32 m0, ttmp2
.LBB4_7559:                             ; =>This Inner Loop Header: Depth=1
	s_sethalt 5
	s_branch .LBB4_7559
.LBB4_7560:
	s_trap 2
	s_sendmsg_rtn_b32 s0, sendmsg(MSG_RTN_GET_DOORBELL)
	s_mov_b32 ttmp2, m0
	s_waitcnt lgkmcnt(0)
	s_and_b32 s0, s0, 0x3ff
	s_delay_alu instid0(SALU_CYCLE_1) | instskip(NEXT) | instid1(SALU_CYCLE_1)
	s_bitset1_b32 s0, 10
	s_mov_b32 m0, s0
	s_sendmsg sendmsg(MSG_INTERRUPT)
	s_mov_b32 m0, ttmp2
.LBB4_7561:                             ; =>This Inner Loop Header: Depth=1
	s_sethalt 5
	s_branch .LBB4_7561
.LBB4_7562:
	s_trap 2
	s_sendmsg_rtn_b32 s0, sendmsg(MSG_RTN_GET_DOORBELL)
	s_mov_b32 ttmp2, m0
	s_waitcnt lgkmcnt(0)
	s_and_b32 s0, s0, 0x3ff
	s_delay_alu instid0(SALU_CYCLE_1) | instskip(NEXT) | instid1(SALU_CYCLE_1)
	s_bitset1_b32 s0, 10
	s_mov_b32 m0, s0
	s_sendmsg sendmsg(MSG_INTERRUPT)
	s_mov_b32 m0, ttmp2
.LBB4_7563:                             ; =>This Inner Loop Header: Depth=1
	s_sethalt 5
	s_branch .LBB4_7563
.LBB4_7564:
	s_trap 2
	s_sendmsg_rtn_b32 s0, sendmsg(MSG_RTN_GET_DOORBELL)
	s_mov_b32 ttmp2, m0
	s_waitcnt lgkmcnt(0)
	s_and_b32 s0, s0, 0x3ff
	s_delay_alu instid0(SALU_CYCLE_1) | instskip(NEXT) | instid1(SALU_CYCLE_1)
	s_bitset1_b32 s0, 10
	s_mov_b32 m0, s0
	s_sendmsg sendmsg(MSG_INTERRUPT)
	s_mov_b32 m0, ttmp2
.LBB4_7565:                             ; =>This Inner Loop Header: Depth=1
	s_sethalt 5
	s_branch .LBB4_7565
.LBB4_7566:
	s_or_b32 exec_lo, exec_lo, s2
.LBB4_7567:
	s_delay_alu instid0(SALU_CYCLE_1) | instskip(SKIP_2) | instid1(VALU_DEP_1)
	s_or_b32 exec_lo, exec_lo, s1
	v_and_b32_e32 v0, 0x2000, v64
	s_mov_b32 s1, exec_lo
	v_cmpx_ne_u32_e32 0, v0
	s_cbranch_execz .LBB4_7570
; %bb.7568:
	s_cbranch_execnz .LBB4_7578
; %bb.7569:
	ds_load_b64 v[4:5], v0
	s_waitcnt lgkmcnt(0)
	flat_store_b64 v[2:3], v[4:5] offset:16
.LBB4_7570:
	s_or_b32 exec_lo, exec_lo, s1
	v_cmp_ne_u32_e32 vcc_lo, 32, v1
	s_and_b32 exec_lo, exec_lo, vcc_lo
	s_cbranch_execz .LBB4_7739
; %bb.7571:
	s_mov_b32 s1, exec_lo
	v_cmpx_ne_u32_e64 v30, v1
	s_xor_b32 s1, exec_lo, s1
	s_cbranch_execz .LBB4_7737
; %bb.7572:
	v_and_b32_e32 v0, 31, v31
	s_mov_b32 s2, exec_lo
	s_delay_alu instid0(VALU_DEP_1)
	v_cmpx_eq_u32_e32 0, v0
	s_cbranch_execz .LBB4_7736
; %bb.7573:
	s_mov_b32 s4, exec_lo
	s_mov_b32 s3, exec_lo
	v_mbcnt_lo_u32_b32 v0, s4, 0
	s_waitcnt lgkmcnt(0)
	s_waitcnt_vscnt null, 0x0
	buffer_gl1_inv
	buffer_gl0_inv
	v_cmpx_eq_u32_e32 0, v0
	s_cbranch_execz .LBB4_7575
; %bb.7574:
	s_bcnt1_i32_b32 s4, s4
	s_delay_alu instid0(SALU_CYCLE_1)
	v_dual_mov_b32 v3, 0 :: v_dual_mov_b32 v2, s4
	ds_add_u64 v0, v[2:3]
	s_cbranch_execnz .LBB4_7623
.LBB4_7575:
	s_or_b32 exec_lo, exec_lo, s3
	s_cbranch_execnz .LBB4_7606
; %bb.7576:
	v_ashrrev_i32_e32 v0, 31, v1
	s_mov_b32 s3, exec_lo
	s_delay_alu instid0(VALU_DEP_1) | instskip(NEXT) | instid1(VALU_DEP_1)
	v_lshrrev_b32_e32 v0, 27, v0
	v_add_nc_u32_e32 v0, v1, v0
	ds_load_b64 v[2:3], v0
	v_ashrrev_i32_e32 v0, 5, v0
	s_delay_alu instid0(VALU_DEP_1) | instskip(SKIP_1) | instid1(VALU_DEP_2)
	v_ashrrev_i32_e32 v1, 31, v0
	v_add_co_u32 v0, vcc_lo, v28, v0
	v_add_co_ci_u32_e32 v1, vcc_lo, v29, v1, vcc_lo
	s_waitcnt lgkmcnt(0)
	s_delay_alu instid0(VALU_DEP_1)
	v_cmpx_lt_u64_e64 v[2:3], v[0:1]
	s_cbranch_execz .LBB4_7735
; %bb.7577:
	s_mov_b32 s4, 0
	s_mov_b32 s7, 0
                                        ; implicit-def: $sgpr5
                                        ; implicit-def: $sgpr6
	s_branch .LBB4_7613
.LBB4_7578:
	s_trap 2
	s_sendmsg_rtn_b32 s0, sendmsg(MSG_RTN_GET_DOORBELL)
	s_mov_b32 ttmp2, m0
	s_waitcnt lgkmcnt(0)
	s_and_b32 s0, s0, 0x3ff
	s_delay_alu instid0(SALU_CYCLE_1) | instskip(NEXT) | instid1(SALU_CYCLE_1)
	s_bitset1_b32 s0, 10
	s_mov_b32 m0, s0
	s_sendmsg sendmsg(MSG_INTERRUPT)
	s_mov_b32 m0, ttmp2
.LBB4_7579:                             ; =>This Inner Loop Header: Depth=1
	s_sethalt 5
	s_branch .LBB4_7579
.LBB4_7580:
	s_trap 2
	s_sendmsg_rtn_b32 s0, sendmsg(MSG_RTN_GET_DOORBELL)
	s_mov_b32 ttmp2, m0
	s_waitcnt lgkmcnt(0)
	s_and_b32 s0, s0, 0x3ff
	s_delay_alu instid0(SALU_CYCLE_1) | instskip(NEXT) | instid1(SALU_CYCLE_1)
	s_bitset1_b32 s0, 10
	s_mov_b32 m0, s0
	s_sendmsg sendmsg(MSG_INTERRUPT)
	s_mov_b32 m0, ttmp2
.LBB4_7581:                             ; =>This Inner Loop Header: Depth=1
	s_sethalt 5
	s_branch .LBB4_7581
.LBB4_7582:
	s_trap 2
	s_sendmsg_rtn_b32 s0, sendmsg(MSG_RTN_GET_DOORBELL)
	s_mov_b32 ttmp2, m0
	s_waitcnt lgkmcnt(0)
	s_and_b32 s0, s0, 0x3ff
	s_delay_alu instid0(SALU_CYCLE_1) | instskip(NEXT) | instid1(SALU_CYCLE_1)
	s_bitset1_b32 s0, 10
	s_mov_b32 m0, s0
	s_sendmsg sendmsg(MSG_INTERRUPT)
	s_mov_b32 m0, ttmp2
.LBB4_7583:                             ; =>This Inner Loop Header: Depth=1
	s_sethalt 5
	s_branch .LBB4_7583
.LBB4_7584:
	s_trap 2
	s_sendmsg_rtn_b32 s0, sendmsg(MSG_RTN_GET_DOORBELL)
	s_mov_b32 ttmp2, m0
	s_waitcnt lgkmcnt(0)
	s_and_b32 s0, s0, 0x3ff
	s_delay_alu instid0(SALU_CYCLE_1) | instskip(NEXT) | instid1(SALU_CYCLE_1)
	s_bitset1_b32 s0, 10
	s_mov_b32 m0, s0
	s_sendmsg sendmsg(MSG_INTERRUPT)
	s_mov_b32 m0, ttmp2
.LBB4_7585:                             ; =>This Inner Loop Header: Depth=1
	s_sethalt 5
	s_branch .LBB4_7585
.LBB4_7586:
	s_trap 2
	s_sendmsg_rtn_b32 s0, sendmsg(MSG_RTN_GET_DOORBELL)
	s_mov_b32 ttmp2, m0
	s_waitcnt lgkmcnt(0)
	s_and_b32 s0, s0, 0x3ff
	s_delay_alu instid0(SALU_CYCLE_1) | instskip(NEXT) | instid1(SALU_CYCLE_1)
	s_bitset1_b32 s0, 10
	s_mov_b32 m0, s0
	s_sendmsg sendmsg(MSG_INTERRUPT)
	s_mov_b32 m0, ttmp2
.LBB4_7587:                             ; =>This Inner Loop Header: Depth=1
	s_sethalt 5
	s_branch .LBB4_7587
.LBB4_7588:
	s_trap 2
	s_sendmsg_rtn_b32 s0, sendmsg(MSG_RTN_GET_DOORBELL)
	s_mov_b32 ttmp2, m0
	s_waitcnt lgkmcnt(0)
	s_and_b32 s0, s0, 0x3ff
	s_delay_alu instid0(SALU_CYCLE_1) | instskip(NEXT) | instid1(SALU_CYCLE_1)
	s_bitset1_b32 s0, 10
	s_mov_b32 m0, s0
	s_sendmsg sendmsg(MSG_INTERRUPT)
	s_mov_b32 m0, ttmp2
.LBB4_7589:                             ; =>This Inner Loop Header: Depth=1
	s_sethalt 5
	s_branch .LBB4_7589
.LBB4_7590:
	s_trap 2
	s_sendmsg_rtn_b32 s0, sendmsg(MSG_RTN_GET_DOORBELL)
	s_mov_b32 ttmp2, m0
	s_waitcnt lgkmcnt(0)
	s_and_b32 s0, s0, 0x3ff
	s_delay_alu instid0(SALU_CYCLE_1) | instskip(NEXT) | instid1(SALU_CYCLE_1)
	s_bitset1_b32 s0, 10
	s_mov_b32 m0, s0
	s_sendmsg sendmsg(MSG_INTERRUPT)
	s_mov_b32 m0, ttmp2
.LBB4_7591:                             ; =>This Inner Loop Header: Depth=1
	s_sethalt 5
	s_branch .LBB4_7591
.LBB4_7592:
	s_trap 2
	s_sendmsg_rtn_b32 s0, sendmsg(MSG_RTN_GET_DOORBELL)
	s_mov_b32 ttmp2, m0
	s_waitcnt lgkmcnt(0)
	s_and_b32 s0, s0, 0x3ff
	s_delay_alu instid0(SALU_CYCLE_1) | instskip(NEXT) | instid1(SALU_CYCLE_1)
	s_bitset1_b32 s0, 10
	s_mov_b32 m0, s0
	s_sendmsg sendmsg(MSG_INTERRUPT)
	s_mov_b32 m0, ttmp2
.LBB4_7593:                             ; =>This Inner Loop Header: Depth=1
	s_sethalt 5
	s_branch .LBB4_7593
.LBB4_7594:
	s_trap 2
	s_sendmsg_rtn_b32 s0, sendmsg(MSG_RTN_GET_DOORBELL)
	s_mov_b32 ttmp2, m0
	s_waitcnt lgkmcnt(0)
	s_and_b32 s0, s0, 0x3ff
	s_delay_alu instid0(SALU_CYCLE_1) | instskip(NEXT) | instid1(SALU_CYCLE_1)
	s_bitset1_b32 s0, 10
	s_mov_b32 m0, s0
	s_sendmsg sendmsg(MSG_INTERRUPT)
	s_mov_b32 m0, ttmp2
.LBB4_7595:                             ; =>This Inner Loop Header: Depth=1
	s_sethalt 5
	s_branch .LBB4_7595
.LBB4_7596:
	s_trap 2
	s_sendmsg_rtn_b32 s0, sendmsg(MSG_RTN_GET_DOORBELL)
	s_mov_b32 ttmp2, m0
	s_waitcnt lgkmcnt(0)
	s_and_b32 s0, s0, 0x3ff
	s_delay_alu instid0(SALU_CYCLE_1) | instskip(NEXT) | instid1(SALU_CYCLE_1)
	s_bitset1_b32 s0, 10
	s_mov_b32 m0, s0
	s_sendmsg sendmsg(MSG_INTERRUPT)
	s_mov_b32 m0, ttmp2
.LBB4_7597:                             ; =>This Inner Loop Header: Depth=1
	s_sethalt 5
	s_branch .LBB4_7597
.LBB4_7598:
	s_trap 2
	s_sendmsg_rtn_b32 s0, sendmsg(MSG_RTN_GET_DOORBELL)
	s_mov_b32 ttmp2, m0
	s_waitcnt lgkmcnt(0)
	s_and_b32 s0, s0, 0x3ff
	s_delay_alu instid0(SALU_CYCLE_1) | instskip(NEXT) | instid1(SALU_CYCLE_1)
	s_bitset1_b32 s0, 10
	s_mov_b32 m0, s0
	s_sendmsg sendmsg(MSG_INTERRUPT)
	s_mov_b32 m0, ttmp2
.LBB4_7599:                             ; =>This Inner Loop Header: Depth=1
	s_sethalt 5
	s_branch .LBB4_7599
.LBB4_7600:
	s_trap 2
	s_sendmsg_rtn_b32 s0, sendmsg(MSG_RTN_GET_DOORBELL)
	s_mov_b32 ttmp2, m0
	s_waitcnt lgkmcnt(0)
	s_and_b32 s0, s0, 0x3ff
	s_delay_alu instid0(SALU_CYCLE_1) | instskip(NEXT) | instid1(SALU_CYCLE_1)
	s_bitset1_b32 s0, 10
	s_mov_b32 m0, s0
	s_sendmsg sendmsg(MSG_INTERRUPT)
	s_mov_b32 m0, ttmp2
.LBB4_7601:                             ; =>This Inner Loop Header: Depth=1
	s_sethalt 5
	s_branch .LBB4_7601
.LBB4_7602:
	s_trap 2
	s_sendmsg_rtn_b32 s0, sendmsg(MSG_RTN_GET_DOORBELL)
	s_mov_b32 ttmp2, m0
	s_waitcnt lgkmcnt(0)
	s_and_b32 s0, s0, 0x3ff
	s_delay_alu instid0(SALU_CYCLE_1) | instskip(NEXT) | instid1(SALU_CYCLE_1)
	s_bitset1_b32 s0, 10
	s_mov_b32 m0, s0
	s_sendmsg sendmsg(MSG_INTERRUPT)
	s_mov_b32 m0, ttmp2
.LBB4_7603:                             ; =>This Inner Loop Header: Depth=1
	s_sethalt 5
	s_branch .LBB4_7603
.LBB4_7604:
	s_trap 2
	s_sendmsg_rtn_b32 s0, sendmsg(MSG_RTN_GET_DOORBELL)
	s_mov_b32 ttmp2, m0
	s_waitcnt lgkmcnt(0)
	s_and_b32 s0, s0, 0x3ff
	s_delay_alu instid0(SALU_CYCLE_1) | instskip(NEXT) | instid1(SALU_CYCLE_1)
	s_bitset1_b32 s0, 10
	s_mov_b32 m0, s0
	s_sendmsg sendmsg(MSG_INTERRUPT)
	s_mov_b32 m0, ttmp2
.LBB4_7605:                             ; =>This Inner Loop Header: Depth=1
	s_sethalt 5
	s_branch .LBB4_7605
.LBB4_7606:
	s_trap 2
	s_sendmsg_rtn_b32 s0, sendmsg(MSG_RTN_GET_DOORBELL)
	s_mov_b32 ttmp2, m0
	s_waitcnt lgkmcnt(0)
	s_and_b32 s0, s0, 0x3ff
	s_delay_alu instid0(SALU_CYCLE_1) | instskip(NEXT) | instid1(SALU_CYCLE_1)
	s_bitset1_b32 s0, 10
	s_mov_b32 m0, s0
	s_sendmsg sendmsg(MSG_INTERRUPT)
	s_mov_b32 m0, ttmp2
.LBB4_7607:                             ; =>This Inner Loop Header: Depth=1
	s_sethalt 5
	s_branch .LBB4_7607
.LBB4_7608:
	s_trap 2
	s_sendmsg_rtn_b32 s0, sendmsg(MSG_RTN_GET_DOORBELL)
	s_mov_b32 ttmp2, m0
	s_waitcnt lgkmcnt(0)
	s_and_b32 s0, s0, 0x3ff
	s_delay_alu instid0(SALU_CYCLE_1) | instskip(NEXT) | instid1(SALU_CYCLE_1)
	s_bitset1_b32 s0, 10
	s_mov_b32 m0, s0
	s_sendmsg sendmsg(MSG_INTERRUPT)
	s_mov_b32 m0, ttmp2
.LBB4_7609:                             ; =>This Inner Loop Header: Depth=1
	s_sethalt 5
	s_branch .LBB4_7609
.LBB4_7610:
	s_trap 2
	s_sendmsg_rtn_b32 s0, sendmsg(MSG_RTN_GET_DOORBELL)
	s_mov_b32 ttmp2, m0
	s_waitcnt lgkmcnt(0)
	s_and_b32 s0, s0, 0x3ff
	s_delay_alu instid0(SALU_CYCLE_1) | instskip(NEXT) | instid1(SALU_CYCLE_1)
	s_bitset1_b32 s0, 10
	s_mov_b32 m0, s0
	s_sendmsg sendmsg(MSG_INTERRUPT)
	s_mov_b32 m0, ttmp2
.LBB4_7611:                             ; =>This Inner Loop Header: Depth=1
	s_sethalt 5
	s_branch .LBB4_7611
.LBB4_7612:                             ;   in Loop: Header=BB4_7613 Depth=1
	s_or_b32 exec_lo, exec_lo, s12
	s_delay_alu instid0(SALU_CYCLE_1) | instskip(NEXT) | instid1(SALU_CYCLE_1)
	s_and_b32 s10, exec_lo, s11
	s_or_b32 s4, s10, s4
	s_and_not1_b32 s5, s5, exec_lo
	s_and_b32 s10, s6, exec_lo
	s_delay_alu instid0(SALU_CYCLE_1)
	s_or_b32 s5, s5, s10
	s_and_not1_b32 exec_lo, exec_lo, s4
	s_cbranch_execz .LBB4_7733
.LBB4_7613:                             ; =>This Inner Loop Header: Depth=1
	s_add_i32 s7, s7, 1
                                        ; implicit-def: $sgpr11
	s_delay_alu instid0(SALU_CYCLE_1) | instskip(SKIP_1) | instid1(SALU_CYCLE_1)
	s_cmpk_lg_i32 s7, 0x2710
	s_cselect_b32 s10, -1, 0
	s_and_b32 vcc_lo, exec_lo, s10
	s_cbranch_vccz .LBB4_7617
.LBB4_7614:                             ;   in Loop: Header=BB4_7613 Depth=1
	s_and_not1_b32 s6, s6, exec_lo
	s_and_b32 s12, s11, exec_lo
	s_mov_b32 s11, -1
	s_or_b32 s6, s6, s12
	s_and_saveexec_b32 s12, s10
	s_cbranch_execz .LBB4_7612
; %bb.7615:                             ;   in Loop: Header=BB4_7613 Depth=1
	s_sleep 1
	s_cbranch_execnz .LBB4_7639
; %bb.7616:                             ;   in Loop: Header=BB4_7613 Depth=1
	ds_load_b64 v[2:3], v0
	s_and_not1_b32 s6, s6, exec_lo
	s_waitcnt lgkmcnt(0)
	v_cmp_ge_u64_e32 vcc_lo, v[2:3], v[0:1]
	s_or_not1_b32 s11, vcc_lo, exec_lo
	s_branch .LBB4_7612
.LBB4_7617:                             ;   in Loop: Header=BB4_7613 Depth=1
	s_cbranch_execnz .LBB4_7647
; %bb.7618:                             ;   in Loop: Header=BB4_7613 Depth=1
	ds_load_b64 v[2:3], v0
	s_and_not1_b32 s10, s10, exec_lo
	s_mov_b32 s7, 0
	s_mov_b32 s11, -1
	s_waitcnt lgkmcnt(0)
	flat_load_b32 v2, v[2:3] glc
	s_waitcnt vmcnt(0) lgkmcnt(0)
	buffer_gl1_inv
	buffer_gl0_inv
	v_cmp_eq_u32_e32 vcc_lo, 0, v2
	s_and_b32 s12, vcc_lo, exec_lo
	s_delay_alu instid0(SALU_CYCLE_1)
	s_or_b32 s10, s10, s12
	s_branch .LBB4_7614
.LBB4_7619:
	s_trap 2
	s_sendmsg_rtn_b32 s0, sendmsg(MSG_RTN_GET_DOORBELL)
	s_mov_b32 ttmp2, m0
	s_waitcnt lgkmcnt(0)
	s_and_b32 s0, s0, 0x3ff
	s_delay_alu instid0(SALU_CYCLE_1) | instskip(NEXT) | instid1(SALU_CYCLE_1)
	s_bitset1_b32 s0, 10
	s_mov_b32 m0, s0
	s_sendmsg sendmsg(MSG_INTERRUPT)
	s_mov_b32 m0, ttmp2
.LBB4_7620:                             ; =>This Inner Loop Header: Depth=1
	s_sethalt 5
	s_branch .LBB4_7620
.LBB4_7621:
	s_trap 2
	s_sendmsg_rtn_b32 s0, sendmsg(MSG_RTN_GET_DOORBELL)
	s_mov_b32 ttmp2, m0
	s_waitcnt lgkmcnt(0)
	s_and_b32 s0, s0, 0x3ff
	s_delay_alu instid0(SALU_CYCLE_1) | instskip(NEXT) | instid1(SALU_CYCLE_1)
	s_bitset1_b32 s0, 10
	s_mov_b32 m0, s0
	s_sendmsg sendmsg(MSG_INTERRUPT)
	s_mov_b32 m0, ttmp2
.LBB4_7622:                             ; =>This Inner Loop Header: Depth=1
	s_sethalt 5
	s_branch .LBB4_7622
.LBB4_7623:
	s_trap 2
	s_sendmsg_rtn_b32 s0, sendmsg(MSG_RTN_GET_DOORBELL)
	s_mov_b32 ttmp2, m0
	s_waitcnt lgkmcnt(0)
	s_and_b32 s0, s0, 0x3ff
	s_delay_alu instid0(SALU_CYCLE_1) | instskip(NEXT) | instid1(SALU_CYCLE_1)
	s_bitset1_b32 s0, 10
	s_mov_b32 m0, s0
	s_sendmsg sendmsg(MSG_INTERRUPT)
	s_mov_b32 m0, ttmp2
.LBB4_7624:                             ; =>This Inner Loop Header: Depth=1
	s_sethalt 5
	s_branch .LBB4_7624
.LBB4_7625:
	s_trap 2
	s_sendmsg_rtn_b32 s0, sendmsg(MSG_RTN_GET_DOORBELL)
	s_mov_b32 ttmp2, m0
	s_waitcnt lgkmcnt(0)
	s_and_b32 s0, s0, 0x3ff
	s_delay_alu instid0(SALU_CYCLE_1) | instskip(NEXT) | instid1(SALU_CYCLE_1)
	s_bitset1_b32 s0, 10
	s_mov_b32 m0, s0
	s_sendmsg sendmsg(MSG_INTERRUPT)
	s_mov_b32 m0, ttmp2
.LBB4_7626:                             ; =>This Inner Loop Header: Depth=1
	s_sethalt 5
	s_branch .LBB4_7626
.LBB4_7627:
	s_trap 2
	s_sendmsg_rtn_b32 s0, sendmsg(MSG_RTN_GET_DOORBELL)
	s_mov_b32 ttmp2, m0
	s_waitcnt lgkmcnt(0)
	s_and_b32 s0, s0, 0x3ff
	s_delay_alu instid0(SALU_CYCLE_1) | instskip(NEXT) | instid1(SALU_CYCLE_1)
	s_bitset1_b32 s0, 10
	s_mov_b32 m0, s0
	s_sendmsg sendmsg(MSG_INTERRUPT)
	s_mov_b32 m0, ttmp2
.LBB4_7628:                             ; =>This Inner Loop Header: Depth=1
	s_sethalt 5
	s_branch .LBB4_7628
.LBB4_7629:
	s_trap 2
	s_sendmsg_rtn_b32 s0, sendmsg(MSG_RTN_GET_DOORBELL)
	s_mov_b32 ttmp2, m0
	s_waitcnt lgkmcnt(0)
	s_and_b32 s0, s0, 0x3ff
	s_delay_alu instid0(SALU_CYCLE_1) | instskip(NEXT) | instid1(SALU_CYCLE_1)
	s_bitset1_b32 s0, 10
	s_mov_b32 m0, s0
	s_sendmsg sendmsg(MSG_INTERRUPT)
	s_mov_b32 m0, ttmp2
.LBB4_7630:                             ; =>This Inner Loop Header: Depth=1
	s_sethalt 5
	s_branch .LBB4_7630
.LBB4_7631:
	s_trap 2
	s_sendmsg_rtn_b32 s0, sendmsg(MSG_RTN_GET_DOORBELL)
	s_mov_b32 ttmp2, m0
	s_waitcnt lgkmcnt(0)
	s_and_b32 s0, s0, 0x3ff
	s_delay_alu instid0(SALU_CYCLE_1) | instskip(NEXT) | instid1(SALU_CYCLE_1)
	s_bitset1_b32 s0, 10
	s_mov_b32 m0, s0
	s_sendmsg sendmsg(MSG_INTERRUPT)
	s_mov_b32 m0, ttmp2
.LBB4_7632:                             ; =>This Inner Loop Header: Depth=1
	s_sethalt 5
	s_branch .LBB4_7632
.LBB4_7633:
	s_trap 2
	s_sendmsg_rtn_b32 s0, sendmsg(MSG_RTN_GET_DOORBELL)
	s_mov_b32 ttmp2, m0
	s_waitcnt lgkmcnt(0)
	s_and_b32 s0, s0, 0x3ff
	s_delay_alu instid0(SALU_CYCLE_1) | instskip(NEXT) | instid1(SALU_CYCLE_1)
	s_bitset1_b32 s0, 10
	s_mov_b32 m0, s0
	s_sendmsg sendmsg(MSG_INTERRUPT)
	s_mov_b32 m0, ttmp2
.LBB4_7634:                             ; =>This Inner Loop Header: Depth=1
	s_sethalt 5
	s_branch .LBB4_7634
.LBB4_7635:
	s_trap 2
	s_sendmsg_rtn_b32 s0, sendmsg(MSG_RTN_GET_DOORBELL)
	s_mov_b32 ttmp2, m0
	s_waitcnt lgkmcnt(0)
	s_and_b32 s0, s0, 0x3ff
	s_delay_alu instid0(SALU_CYCLE_1) | instskip(NEXT) | instid1(SALU_CYCLE_1)
	s_bitset1_b32 s0, 10
	s_mov_b32 m0, s0
	s_sendmsg sendmsg(MSG_INTERRUPT)
	s_mov_b32 m0, ttmp2
.LBB4_7636:                             ; =>This Inner Loop Header: Depth=1
	s_sethalt 5
	s_branch .LBB4_7636
.LBB4_7637:
	s_trap 2
	s_sendmsg_rtn_b32 s0, sendmsg(MSG_RTN_GET_DOORBELL)
	s_mov_b32 ttmp2, m0
	s_waitcnt lgkmcnt(0)
	s_and_b32 s0, s0, 0x3ff
	s_delay_alu instid0(SALU_CYCLE_1) | instskip(NEXT) | instid1(SALU_CYCLE_1)
	s_bitset1_b32 s0, 10
	s_mov_b32 m0, s0
	s_sendmsg sendmsg(MSG_INTERRUPT)
	s_mov_b32 m0, ttmp2
.LBB4_7638:                             ; =>This Inner Loop Header: Depth=1
	s_sethalt 5
	s_branch .LBB4_7638
.LBB4_7639:
	s_trap 2
	s_sendmsg_rtn_b32 s0, sendmsg(MSG_RTN_GET_DOORBELL)
	s_mov_b32 ttmp2, m0
	s_waitcnt lgkmcnt(0)
	s_and_b32 s0, s0, 0x3ff
	s_delay_alu instid0(SALU_CYCLE_1) | instskip(NEXT) | instid1(SALU_CYCLE_1)
	s_bitset1_b32 s0, 10
	s_mov_b32 m0, s0
	s_sendmsg sendmsg(MSG_INTERRUPT)
	s_mov_b32 m0, ttmp2
.LBB4_7640:                             ; =>This Inner Loop Header: Depth=1
	s_sethalt 5
	s_branch .LBB4_7640
.LBB4_7641:
	s_trap 2
	s_sendmsg_rtn_b32 s0, sendmsg(MSG_RTN_GET_DOORBELL)
	s_mov_b32 ttmp2, m0
	s_waitcnt lgkmcnt(0)
	s_and_b32 s0, s0, 0x3ff
	s_delay_alu instid0(SALU_CYCLE_1) | instskip(NEXT) | instid1(SALU_CYCLE_1)
	s_bitset1_b32 s0, 10
	s_mov_b32 m0, s0
	s_sendmsg sendmsg(MSG_INTERRUPT)
	s_mov_b32 m0, ttmp2
.LBB4_7642:                             ; =>This Inner Loop Header: Depth=1
	s_sethalt 5
	s_branch .LBB4_7642
.LBB4_7643:
	s_trap 2
	s_sendmsg_rtn_b32 s0, sendmsg(MSG_RTN_GET_DOORBELL)
	s_mov_b32 ttmp2, m0
	s_waitcnt lgkmcnt(0)
	s_and_b32 s0, s0, 0x3ff
	s_delay_alu instid0(SALU_CYCLE_1) | instskip(NEXT) | instid1(SALU_CYCLE_1)
	s_bitset1_b32 s0, 10
	s_mov_b32 m0, s0
	s_sendmsg sendmsg(MSG_INTERRUPT)
	s_mov_b32 m0, ttmp2
.LBB4_7644:                             ; =>This Inner Loop Header: Depth=1
	s_sethalt 5
	s_branch .LBB4_7644
.LBB4_7645:
	s_trap 2
	s_sendmsg_rtn_b32 s0, sendmsg(MSG_RTN_GET_DOORBELL)
	s_mov_b32 ttmp2, m0
	s_waitcnt lgkmcnt(0)
	s_and_b32 s0, s0, 0x3ff
	s_delay_alu instid0(SALU_CYCLE_1) | instskip(NEXT) | instid1(SALU_CYCLE_1)
	s_bitset1_b32 s0, 10
	s_mov_b32 m0, s0
	s_sendmsg sendmsg(MSG_INTERRUPT)
	s_mov_b32 m0, ttmp2
.LBB4_7646:                             ; =>This Inner Loop Header: Depth=1
	s_sethalt 5
	s_branch .LBB4_7646
.LBB4_7647:
	s_trap 2
	s_sendmsg_rtn_b32 s0, sendmsg(MSG_RTN_GET_DOORBELL)
	s_mov_b32 ttmp2, m0
	s_waitcnt lgkmcnt(0)
	s_and_b32 s0, s0, 0x3ff
	s_delay_alu instid0(SALU_CYCLE_1) | instskip(NEXT) | instid1(SALU_CYCLE_1)
	s_bitset1_b32 s0, 10
	s_mov_b32 m0, s0
	s_sendmsg sendmsg(MSG_INTERRUPT)
	s_mov_b32 m0, ttmp2
.LBB4_7648:                             ; =>This Inner Loop Header: Depth=1
	s_sethalt 5
	s_branch .LBB4_7648
.LBB4_7649:
	s_trap 2
	s_sendmsg_rtn_b32 s0, sendmsg(MSG_RTN_GET_DOORBELL)
	s_mov_b32 ttmp2, m0
	s_waitcnt lgkmcnt(0)
	s_and_b32 s0, s0, 0x3ff
	s_delay_alu instid0(SALU_CYCLE_1) | instskip(NEXT) | instid1(SALU_CYCLE_1)
	s_bitset1_b32 s0, 10
	s_mov_b32 m0, s0
	s_sendmsg sendmsg(MSG_INTERRUPT)
	s_mov_b32 m0, ttmp2
.LBB4_7650:                             ; =>This Inner Loop Header: Depth=1
	s_sethalt 5
	s_branch .LBB4_7650
.LBB4_7651:
	s_trap 2
	s_sendmsg_rtn_b32 s0, sendmsg(MSG_RTN_GET_DOORBELL)
	s_mov_b32 ttmp2, m0
	s_waitcnt lgkmcnt(0)
	s_and_b32 s0, s0, 0x3ff
	s_delay_alu instid0(SALU_CYCLE_1) | instskip(NEXT) | instid1(SALU_CYCLE_1)
	s_bitset1_b32 s0, 10
	s_mov_b32 m0, s0
	s_sendmsg sendmsg(MSG_INTERRUPT)
	s_mov_b32 m0, ttmp2
.LBB4_7652:                             ; =>This Inner Loop Header: Depth=1
	s_sethalt 5
	s_branch .LBB4_7652
.LBB4_7653:
	s_trap 2
	s_sendmsg_rtn_b32 s0, sendmsg(MSG_RTN_GET_DOORBELL)
	s_mov_b32 ttmp2, m0
	s_waitcnt lgkmcnt(0)
	s_and_b32 s0, s0, 0x3ff
	s_delay_alu instid0(SALU_CYCLE_1) | instskip(NEXT) | instid1(SALU_CYCLE_1)
	s_bitset1_b32 s0, 10
	s_mov_b32 m0, s0
	s_sendmsg sendmsg(MSG_INTERRUPT)
	s_mov_b32 m0, ttmp2
.LBB4_7654:                             ; =>This Inner Loop Header: Depth=1
	s_sethalt 5
	s_branch .LBB4_7654
.LBB4_7655:
	s_trap 2
	s_sendmsg_rtn_b32 s0, sendmsg(MSG_RTN_GET_DOORBELL)
	s_mov_b32 ttmp2, m0
	s_waitcnt lgkmcnt(0)
	s_and_b32 s0, s0, 0x3ff
	s_delay_alu instid0(SALU_CYCLE_1) | instskip(NEXT) | instid1(SALU_CYCLE_1)
	s_bitset1_b32 s0, 10
	s_mov_b32 m0, s0
	s_sendmsg sendmsg(MSG_INTERRUPT)
	s_mov_b32 m0, ttmp2
.LBB4_7656:                             ; =>This Inner Loop Header: Depth=1
	s_sethalt 5
	s_branch .LBB4_7656
.LBB4_7657:
	s_trap 2
	s_sendmsg_rtn_b32 s0, sendmsg(MSG_RTN_GET_DOORBELL)
	s_mov_b32 ttmp2, m0
	s_waitcnt lgkmcnt(0)
	s_and_b32 s0, s0, 0x3ff
	s_delay_alu instid0(SALU_CYCLE_1) | instskip(NEXT) | instid1(SALU_CYCLE_1)
	s_bitset1_b32 s0, 10
	s_mov_b32 m0, s0
	s_sendmsg sendmsg(MSG_INTERRUPT)
	s_mov_b32 m0, ttmp2
.LBB4_7658:                             ; =>This Inner Loop Header: Depth=1
	s_sethalt 5
	s_branch .LBB4_7658
.LBB4_7659:
	s_trap 2
	s_sendmsg_rtn_b32 s0, sendmsg(MSG_RTN_GET_DOORBELL)
	s_mov_b32 ttmp2, m0
	s_waitcnt lgkmcnt(0)
	s_and_b32 s0, s0, 0x3ff
	s_delay_alu instid0(SALU_CYCLE_1) | instskip(NEXT) | instid1(SALU_CYCLE_1)
	s_bitset1_b32 s0, 10
	s_mov_b32 m0, s0
	s_sendmsg sendmsg(MSG_INTERRUPT)
	s_mov_b32 m0, ttmp2
.LBB4_7660:                             ; =>This Inner Loop Header: Depth=1
	s_sethalt 5
	s_branch .LBB4_7660
.LBB4_7661:
	s_trap 2
	s_sendmsg_rtn_b32 s0, sendmsg(MSG_RTN_GET_DOORBELL)
	s_mov_b32 ttmp2, m0
	s_waitcnt lgkmcnt(0)
	s_and_b32 s0, s0, 0x3ff
	s_delay_alu instid0(SALU_CYCLE_1) | instskip(NEXT) | instid1(SALU_CYCLE_1)
	s_bitset1_b32 s0, 10
	s_mov_b32 m0, s0
	s_sendmsg sendmsg(MSG_INTERRUPT)
	s_mov_b32 m0, ttmp2
.LBB4_7662:                             ; =>This Inner Loop Header: Depth=1
	s_sethalt 5
	s_branch .LBB4_7662
.LBB4_7663:
	s_trap 2
	s_sendmsg_rtn_b32 s0, sendmsg(MSG_RTN_GET_DOORBELL)
	s_mov_b32 ttmp2, m0
	s_waitcnt lgkmcnt(0)
	s_and_b32 s0, s0, 0x3ff
	s_delay_alu instid0(SALU_CYCLE_1) | instskip(NEXT) | instid1(SALU_CYCLE_1)
	s_bitset1_b32 s0, 10
	s_mov_b32 m0, s0
	s_sendmsg sendmsg(MSG_INTERRUPT)
	s_mov_b32 m0, ttmp2
.LBB4_7664:                             ; =>This Inner Loop Header: Depth=1
	s_sethalt 5
	s_branch .LBB4_7664
.LBB4_7665:
	s_trap 2
	s_sendmsg_rtn_b32 s0, sendmsg(MSG_RTN_GET_DOORBELL)
	s_mov_b32 ttmp2, m0
	s_waitcnt lgkmcnt(0)
	s_and_b32 s0, s0, 0x3ff
	s_delay_alu instid0(SALU_CYCLE_1) | instskip(NEXT) | instid1(SALU_CYCLE_1)
	s_bitset1_b32 s0, 10
	s_mov_b32 m0, s0
	s_sendmsg sendmsg(MSG_INTERRUPT)
	s_mov_b32 m0, ttmp2
.LBB4_7666:                             ; =>This Inner Loop Header: Depth=1
	s_sethalt 5
	s_branch .LBB4_7666
.LBB4_7667:
	s_trap 2
	s_sendmsg_rtn_b32 s0, sendmsg(MSG_RTN_GET_DOORBELL)
	s_mov_b32 ttmp2, m0
	s_waitcnt lgkmcnt(0)
	s_and_b32 s0, s0, 0x3ff
	s_delay_alu instid0(SALU_CYCLE_1) | instskip(NEXT) | instid1(SALU_CYCLE_1)
	s_bitset1_b32 s0, 10
	s_mov_b32 m0, s0
	s_sendmsg sendmsg(MSG_INTERRUPT)
	s_mov_b32 m0, ttmp2
.LBB4_7668:                             ; =>This Inner Loop Header: Depth=1
	s_sethalt 5
	s_branch .LBB4_7668
.LBB4_7669:
	s_trap 2
	s_sendmsg_rtn_b32 s0, sendmsg(MSG_RTN_GET_DOORBELL)
	s_mov_b32 ttmp2, m0
	s_waitcnt lgkmcnt(0)
	s_and_b32 s0, s0, 0x3ff
	s_delay_alu instid0(SALU_CYCLE_1) | instskip(NEXT) | instid1(SALU_CYCLE_1)
	s_bitset1_b32 s0, 10
	s_mov_b32 m0, s0
	s_sendmsg sendmsg(MSG_INTERRUPT)
	s_mov_b32 m0, ttmp2
.LBB4_7670:                             ; =>This Inner Loop Header: Depth=1
	s_sethalt 5
	s_branch .LBB4_7670
.LBB4_7671:
	s_trap 2
	s_sendmsg_rtn_b32 s0, sendmsg(MSG_RTN_GET_DOORBELL)
	s_mov_b32 ttmp2, m0
	s_waitcnt lgkmcnt(0)
	s_and_b32 s0, s0, 0x3ff
	s_delay_alu instid0(SALU_CYCLE_1) | instskip(NEXT) | instid1(SALU_CYCLE_1)
	s_bitset1_b32 s0, 10
	s_mov_b32 m0, s0
	s_sendmsg sendmsg(MSG_INTERRUPT)
	s_mov_b32 m0, ttmp2
.LBB4_7672:                             ; =>This Inner Loop Header: Depth=1
	s_sethalt 5
	s_branch .LBB4_7672
.LBB4_7673:
	s_trap 2
	s_sendmsg_rtn_b32 s0, sendmsg(MSG_RTN_GET_DOORBELL)
	s_mov_b32 ttmp2, m0
	s_waitcnt lgkmcnt(0)
	s_and_b32 s0, s0, 0x3ff
	s_delay_alu instid0(SALU_CYCLE_1) | instskip(NEXT) | instid1(SALU_CYCLE_1)
	s_bitset1_b32 s0, 10
	s_mov_b32 m0, s0
	s_sendmsg sendmsg(MSG_INTERRUPT)
	s_mov_b32 m0, ttmp2
.LBB4_7674:                             ; =>This Inner Loop Header: Depth=1
	s_sethalt 5
	s_branch .LBB4_7674
.LBB4_7675:
	s_trap 2
	s_sendmsg_rtn_b32 s0, sendmsg(MSG_RTN_GET_DOORBELL)
	s_mov_b32 ttmp2, m0
	s_waitcnt lgkmcnt(0)
	s_and_b32 s0, s0, 0x3ff
	s_delay_alu instid0(SALU_CYCLE_1) | instskip(NEXT) | instid1(SALU_CYCLE_1)
	s_bitset1_b32 s0, 10
	s_mov_b32 m0, s0
	s_sendmsg sendmsg(MSG_INTERRUPT)
	s_mov_b32 m0, ttmp2
.LBB4_7676:                             ; =>This Inner Loop Header: Depth=1
	s_sethalt 5
	s_branch .LBB4_7676
.LBB4_7677:
	s_trap 2
	s_sendmsg_rtn_b32 s0, sendmsg(MSG_RTN_GET_DOORBELL)
	s_mov_b32 ttmp2, m0
	s_waitcnt lgkmcnt(0)
	s_and_b32 s0, s0, 0x3ff
	s_delay_alu instid0(SALU_CYCLE_1) | instskip(NEXT) | instid1(SALU_CYCLE_1)
	s_bitset1_b32 s0, 10
	s_mov_b32 m0, s0
	s_sendmsg sendmsg(MSG_INTERRUPT)
	s_mov_b32 m0, ttmp2
.LBB4_7678:                             ; =>This Inner Loop Header: Depth=1
	s_sethalt 5
	s_branch .LBB4_7678
.LBB4_7679:
	s_trap 2
	s_sendmsg_rtn_b32 s0, sendmsg(MSG_RTN_GET_DOORBELL)
	s_mov_b32 ttmp2, m0
	s_waitcnt lgkmcnt(0)
	s_and_b32 s0, s0, 0x3ff
	s_delay_alu instid0(SALU_CYCLE_1) | instskip(NEXT) | instid1(SALU_CYCLE_1)
	s_bitset1_b32 s0, 10
	s_mov_b32 m0, s0
	s_sendmsg sendmsg(MSG_INTERRUPT)
	s_mov_b32 m0, ttmp2
.LBB4_7680:                             ; =>This Inner Loop Header: Depth=1
	s_sethalt 5
	s_branch .LBB4_7680
.LBB4_7681:
	s_trap 2
	s_sendmsg_rtn_b32 s0, sendmsg(MSG_RTN_GET_DOORBELL)
	s_mov_b32 ttmp2, m0
	s_waitcnt lgkmcnt(0)
	s_and_b32 s0, s0, 0x3ff
	s_delay_alu instid0(SALU_CYCLE_1) | instskip(NEXT) | instid1(SALU_CYCLE_1)
	s_bitset1_b32 s0, 10
	s_mov_b32 m0, s0
	s_sendmsg sendmsg(MSG_INTERRUPT)
	s_mov_b32 m0, ttmp2
.LBB4_7682:                             ; =>This Inner Loop Header: Depth=1
	s_sethalt 5
	s_branch .LBB4_7682
.LBB4_7683:
	s_trap 2
	s_sendmsg_rtn_b32 s0, sendmsg(MSG_RTN_GET_DOORBELL)
	s_mov_b32 ttmp2, m0
	s_waitcnt lgkmcnt(0)
	s_and_b32 s0, s0, 0x3ff
	s_delay_alu instid0(SALU_CYCLE_1) | instskip(NEXT) | instid1(SALU_CYCLE_1)
	s_bitset1_b32 s0, 10
	s_mov_b32 m0, s0
	s_sendmsg sendmsg(MSG_INTERRUPT)
	s_mov_b32 m0, ttmp2
.LBB4_7684:                             ; =>This Inner Loop Header: Depth=1
	s_sethalt 5
	s_branch .LBB4_7684
.LBB4_7685:
	s_trap 2
	s_sendmsg_rtn_b32 s0, sendmsg(MSG_RTN_GET_DOORBELL)
	s_mov_b32 ttmp2, m0
	s_waitcnt lgkmcnt(0)
	s_and_b32 s0, s0, 0x3ff
	s_delay_alu instid0(SALU_CYCLE_1) | instskip(NEXT) | instid1(SALU_CYCLE_1)
	s_bitset1_b32 s0, 10
	s_mov_b32 m0, s0
	s_sendmsg sendmsg(MSG_INTERRUPT)
	s_mov_b32 m0, ttmp2
.LBB4_7686:                             ; =>This Inner Loop Header: Depth=1
	s_sethalt 5
	s_branch .LBB4_7686
.LBB4_7687:
	s_trap 2
	s_sendmsg_rtn_b32 s0, sendmsg(MSG_RTN_GET_DOORBELL)
	s_mov_b32 ttmp2, m0
	s_waitcnt lgkmcnt(0)
	s_and_b32 s0, s0, 0x3ff
	s_delay_alu instid0(SALU_CYCLE_1) | instskip(NEXT) | instid1(SALU_CYCLE_1)
	s_bitset1_b32 s0, 10
	s_mov_b32 m0, s0
	s_sendmsg sendmsg(MSG_INTERRUPT)
	s_mov_b32 m0, ttmp2
.LBB4_7688:                             ; =>This Inner Loop Header: Depth=1
	s_sethalt 5
	s_branch .LBB4_7688
.LBB4_7689:
	s_trap 2
	s_sendmsg_rtn_b32 s0, sendmsg(MSG_RTN_GET_DOORBELL)
	s_mov_b32 ttmp2, m0
	s_waitcnt lgkmcnt(0)
	s_and_b32 s0, s0, 0x3ff
	s_delay_alu instid0(SALU_CYCLE_1) | instskip(NEXT) | instid1(SALU_CYCLE_1)
	s_bitset1_b32 s0, 10
	s_mov_b32 m0, s0
	s_sendmsg sendmsg(MSG_INTERRUPT)
	s_mov_b32 m0, ttmp2
.LBB4_7690:                             ; =>This Inner Loop Header: Depth=1
	s_sethalt 5
	s_branch .LBB4_7690
.LBB4_7691:
	s_trap 2
	s_sendmsg_rtn_b32 s0, sendmsg(MSG_RTN_GET_DOORBELL)
	s_mov_b32 ttmp2, m0
	s_waitcnt lgkmcnt(0)
	s_and_b32 s0, s0, 0x3ff
	s_delay_alu instid0(SALU_CYCLE_1) | instskip(NEXT) | instid1(SALU_CYCLE_1)
	s_bitset1_b32 s0, 10
	s_mov_b32 m0, s0
	s_sendmsg sendmsg(MSG_INTERRUPT)
	s_mov_b32 m0, ttmp2
.LBB4_7692:                             ; =>This Inner Loop Header: Depth=1
	s_sethalt 5
	s_branch .LBB4_7692
.LBB4_7693:
	s_trap 2
	s_sendmsg_rtn_b32 s0, sendmsg(MSG_RTN_GET_DOORBELL)
	s_mov_b32 ttmp2, m0
	s_waitcnt lgkmcnt(0)
	s_and_b32 s0, s0, 0x3ff
	s_delay_alu instid0(SALU_CYCLE_1) | instskip(NEXT) | instid1(SALU_CYCLE_1)
	s_bitset1_b32 s0, 10
	s_mov_b32 m0, s0
	s_sendmsg sendmsg(MSG_INTERRUPT)
	s_mov_b32 m0, ttmp2
.LBB4_7694:                             ; =>This Inner Loop Header: Depth=1
	s_sethalt 5
	s_branch .LBB4_7694
.LBB4_7695:
	s_trap 2
	s_sendmsg_rtn_b32 s0, sendmsg(MSG_RTN_GET_DOORBELL)
	s_mov_b32 ttmp2, m0
	s_waitcnt lgkmcnt(0)
	s_and_b32 s0, s0, 0x3ff
	s_delay_alu instid0(SALU_CYCLE_1) | instskip(NEXT) | instid1(SALU_CYCLE_1)
	s_bitset1_b32 s0, 10
	s_mov_b32 m0, s0
	s_sendmsg sendmsg(MSG_INTERRUPT)
	s_mov_b32 m0, ttmp2
.LBB4_7696:                             ; =>This Inner Loop Header: Depth=1
	s_sethalt 5
	s_branch .LBB4_7696
.LBB4_7697:
	s_trap 2
	s_sendmsg_rtn_b32 s0, sendmsg(MSG_RTN_GET_DOORBELL)
	s_mov_b32 ttmp2, m0
	s_waitcnt lgkmcnt(0)
	s_and_b32 s0, s0, 0x3ff
	s_delay_alu instid0(SALU_CYCLE_1) | instskip(NEXT) | instid1(SALU_CYCLE_1)
	s_bitset1_b32 s0, 10
	s_mov_b32 m0, s0
	s_sendmsg sendmsg(MSG_INTERRUPT)
	s_mov_b32 m0, ttmp2
.LBB4_7698:                             ; =>This Inner Loop Header: Depth=1
	s_sethalt 5
	s_branch .LBB4_7698
.LBB4_7699:
	s_trap 2
	s_sendmsg_rtn_b32 s0, sendmsg(MSG_RTN_GET_DOORBELL)
	s_mov_b32 ttmp2, m0
	s_waitcnt lgkmcnt(0)
	s_and_b32 s0, s0, 0x3ff
	s_delay_alu instid0(SALU_CYCLE_1) | instskip(NEXT) | instid1(SALU_CYCLE_1)
	s_bitset1_b32 s0, 10
	s_mov_b32 m0, s0
	s_sendmsg sendmsg(MSG_INTERRUPT)
	s_mov_b32 m0, ttmp2
.LBB4_7700:                             ; =>This Inner Loop Header: Depth=1
	s_sethalt 5
	s_branch .LBB4_7700
.LBB4_7701:
	s_trap 2
	s_sendmsg_rtn_b32 s0, sendmsg(MSG_RTN_GET_DOORBELL)
	s_mov_b32 ttmp2, m0
	s_waitcnt lgkmcnt(0)
	s_and_b32 s0, s0, 0x3ff
	s_delay_alu instid0(SALU_CYCLE_1) | instskip(NEXT) | instid1(SALU_CYCLE_1)
	s_bitset1_b32 s0, 10
	s_mov_b32 m0, s0
	s_sendmsg sendmsg(MSG_INTERRUPT)
	s_mov_b32 m0, ttmp2
.LBB4_7702:                             ; =>This Inner Loop Header: Depth=1
	s_sethalt 5
	s_branch .LBB4_7702
.LBB4_7703:
	s_trap 2
	s_sendmsg_rtn_b32 s0, sendmsg(MSG_RTN_GET_DOORBELL)
	s_mov_b32 ttmp2, m0
	s_waitcnt lgkmcnt(0)
	s_and_b32 s0, s0, 0x3ff
	s_delay_alu instid0(SALU_CYCLE_1) | instskip(NEXT) | instid1(SALU_CYCLE_1)
	s_bitset1_b32 s0, 10
	s_mov_b32 m0, s0
	s_sendmsg sendmsg(MSG_INTERRUPT)
	s_mov_b32 m0, ttmp2
.LBB4_7704:                             ; =>This Inner Loop Header: Depth=1
	s_sethalt 5
	s_branch .LBB4_7704
.LBB4_7705:
	s_trap 2
	s_sendmsg_rtn_b32 s0, sendmsg(MSG_RTN_GET_DOORBELL)
	s_mov_b32 ttmp2, m0
	s_waitcnt lgkmcnt(0)
	s_and_b32 s0, s0, 0x3ff
	s_delay_alu instid0(SALU_CYCLE_1) | instskip(NEXT) | instid1(SALU_CYCLE_1)
	s_bitset1_b32 s0, 10
	s_mov_b32 m0, s0
	s_sendmsg sendmsg(MSG_INTERRUPT)
	s_mov_b32 m0, ttmp2
.LBB4_7706:                             ; =>This Inner Loop Header: Depth=1
	s_sethalt 5
	s_branch .LBB4_7706
.LBB4_7707:
	s_trap 2
	s_sendmsg_rtn_b32 s0, sendmsg(MSG_RTN_GET_DOORBELL)
	s_mov_b32 ttmp2, m0
	s_waitcnt lgkmcnt(0)
	s_and_b32 s0, s0, 0x3ff
	s_delay_alu instid0(SALU_CYCLE_1) | instskip(NEXT) | instid1(SALU_CYCLE_1)
	s_bitset1_b32 s0, 10
	s_mov_b32 m0, s0
	s_sendmsg sendmsg(MSG_INTERRUPT)
	s_mov_b32 m0, ttmp2
.LBB4_7708:                             ; =>This Inner Loop Header: Depth=1
	s_sethalt 5
	s_branch .LBB4_7708
.LBB4_7709:
	s_trap 2
	s_sendmsg_rtn_b32 s0, sendmsg(MSG_RTN_GET_DOORBELL)
	s_mov_b32 ttmp2, m0
	s_waitcnt lgkmcnt(0)
	s_and_b32 s0, s0, 0x3ff
	s_delay_alu instid0(SALU_CYCLE_1) | instskip(NEXT) | instid1(SALU_CYCLE_1)
	s_bitset1_b32 s0, 10
	s_mov_b32 m0, s0
	s_sendmsg sendmsg(MSG_INTERRUPT)
	s_mov_b32 m0, ttmp2
.LBB4_7710:                             ; =>This Inner Loop Header: Depth=1
	s_sethalt 5
	s_branch .LBB4_7710
.LBB4_7711:
	s_trap 2
	s_sendmsg_rtn_b32 s0, sendmsg(MSG_RTN_GET_DOORBELL)
	s_mov_b32 ttmp2, m0
	s_waitcnt lgkmcnt(0)
	s_and_b32 s0, s0, 0x3ff
	s_delay_alu instid0(SALU_CYCLE_1) | instskip(NEXT) | instid1(SALU_CYCLE_1)
	s_bitset1_b32 s0, 10
	s_mov_b32 m0, s0
	s_sendmsg sendmsg(MSG_INTERRUPT)
	s_mov_b32 m0, ttmp2
.LBB4_7712:                             ; =>This Inner Loop Header: Depth=1
	s_sethalt 5
	s_branch .LBB4_7712
.LBB4_7713:
	s_trap 2
	s_sendmsg_rtn_b32 s0, sendmsg(MSG_RTN_GET_DOORBELL)
	s_mov_b32 ttmp2, m0
	s_waitcnt lgkmcnt(0)
	s_and_b32 s0, s0, 0x3ff
	s_delay_alu instid0(SALU_CYCLE_1) | instskip(NEXT) | instid1(SALU_CYCLE_1)
	s_bitset1_b32 s0, 10
	s_mov_b32 m0, s0
	s_sendmsg sendmsg(MSG_INTERRUPT)
	s_mov_b32 m0, ttmp2
.LBB4_7714:                             ; =>This Inner Loop Header: Depth=1
	s_sethalt 5
	s_branch .LBB4_7714
.LBB4_7715:
	s_trap 2
	s_sendmsg_rtn_b32 s0, sendmsg(MSG_RTN_GET_DOORBELL)
	s_mov_b32 ttmp2, m0
	s_waitcnt lgkmcnt(0)
	s_and_b32 s0, s0, 0x3ff
	s_delay_alu instid0(SALU_CYCLE_1) | instskip(NEXT) | instid1(SALU_CYCLE_1)
	s_bitset1_b32 s0, 10
	s_mov_b32 m0, s0
	s_sendmsg sendmsg(MSG_INTERRUPT)
	s_mov_b32 m0, ttmp2
.LBB4_7716:                             ; =>This Inner Loop Header: Depth=1
	s_sethalt 5
	s_branch .LBB4_7716
.LBB4_7717:
	s_trap 2
	s_sendmsg_rtn_b32 s0, sendmsg(MSG_RTN_GET_DOORBELL)
	s_mov_b32 ttmp2, m0
	s_waitcnt lgkmcnt(0)
	s_and_b32 s0, s0, 0x3ff
	s_delay_alu instid0(SALU_CYCLE_1) | instskip(NEXT) | instid1(SALU_CYCLE_1)
	s_bitset1_b32 s0, 10
	s_mov_b32 m0, s0
	s_sendmsg sendmsg(MSG_INTERRUPT)
	s_mov_b32 m0, ttmp2
.LBB4_7718:                             ; =>This Inner Loop Header: Depth=1
	s_sethalt 5
	s_branch .LBB4_7718
.LBB4_7719:
	s_trap 2
	s_sendmsg_rtn_b32 s0, sendmsg(MSG_RTN_GET_DOORBELL)
	s_mov_b32 ttmp2, m0
	s_waitcnt lgkmcnt(0)
	s_and_b32 s0, s0, 0x3ff
	s_delay_alu instid0(SALU_CYCLE_1) | instskip(NEXT) | instid1(SALU_CYCLE_1)
	s_bitset1_b32 s0, 10
	s_mov_b32 m0, s0
	s_sendmsg sendmsg(MSG_INTERRUPT)
	s_mov_b32 m0, ttmp2
.LBB4_7720:                             ; =>This Inner Loop Header: Depth=1
	s_sethalt 5
	s_branch .LBB4_7720
.LBB4_7721:
	s_trap 2
	s_sendmsg_rtn_b32 s0, sendmsg(MSG_RTN_GET_DOORBELL)
	s_mov_b32 ttmp2, m0
	s_waitcnt lgkmcnt(0)
	s_and_b32 s0, s0, 0x3ff
	s_delay_alu instid0(SALU_CYCLE_1) | instskip(NEXT) | instid1(SALU_CYCLE_1)
	s_bitset1_b32 s0, 10
	s_mov_b32 m0, s0
	s_sendmsg sendmsg(MSG_INTERRUPT)
	s_mov_b32 m0, ttmp2
.LBB4_7722:                             ; =>This Inner Loop Header: Depth=1
	s_sethalt 5
	s_branch .LBB4_7722
.LBB4_7723:
	s_trap 2
	s_sendmsg_rtn_b32 s0, sendmsg(MSG_RTN_GET_DOORBELL)
	s_mov_b32 ttmp2, m0
	s_waitcnt lgkmcnt(0)
	s_and_b32 s0, s0, 0x3ff
	s_delay_alu instid0(SALU_CYCLE_1) | instskip(NEXT) | instid1(SALU_CYCLE_1)
	s_bitset1_b32 s0, 10
	s_mov_b32 m0, s0
	s_sendmsg sendmsg(MSG_INTERRUPT)
	s_mov_b32 m0, ttmp2
.LBB4_7724:                             ; =>This Inner Loop Header: Depth=1
	s_sethalt 5
	s_branch .LBB4_7724
.LBB4_7725:
	s_trap 2
	s_sendmsg_rtn_b32 s0, sendmsg(MSG_RTN_GET_DOORBELL)
	s_mov_b32 ttmp2, m0
	s_waitcnt lgkmcnt(0)
	s_and_b32 s0, s0, 0x3ff
	s_delay_alu instid0(SALU_CYCLE_1) | instskip(NEXT) | instid1(SALU_CYCLE_1)
	s_bitset1_b32 s0, 10
	s_mov_b32 m0, s0
	s_sendmsg sendmsg(MSG_INTERRUPT)
	s_mov_b32 m0, ttmp2
.LBB4_7726:                             ; =>This Inner Loop Header: Depth=1
	s_sethalt 5
	s_branch .LBB4_7726
.LBB4_7727:
	s_trap 2
	s_sendmsg_rtn_b32 s0, sendmsg(MSG_RTN_GET_DOORBELL)
	s_mov_b32 ttmp2, m0
	s_waitcnt lgkmcnt(0)
	s_and_b32 s0, s0, 0x3ff
	s_delay_alu instid0(SALU_CYCLE_1) | instskip(NEXT) | instid1(SALU_CYCLE_1)
	s_bitset1_b32 s0, 10
	s_mov_b32 m0, s0
	s_sendmsg sendmsg(MSG_INTERRUPT)
	s_mov_b32 m0, ttmp2
.LBB4_7728:                             ; =>This Inner Loop Header: Depth=1
	s_sethalt 5
	s_branch .LBB4_7728
.LBB4_7729:
	s_trap 2
	s_sendmsg_rtn_b32 s0, sendmsg(MSG_RTN_GET_DOORBELL)
	s_mov_b32 ttmp2, m0
	s_waitcnt lgkmcnt(0)
	s_and_b32 s0, s0, 0x3ff
	s_delay_alu instid0(SALU_CYCLE_1) | instskip(NEXT) | instid1(SALU_CYCLE_1)
	s_bitset1_b32 s0, 10
	s_mov_b32 m0, s0
	s_sendmsg sendmsg(MSG_INTERRUPT)
	s_mov_b32 m0, ttmp2
.LBB4_7730:                             ; =>This Inner Loop Header: Depth=1
	s_sethalt 5
	s_branch .LBB4_7730
.LBB4_7731:
	s_trap 2
	s_sendmsg_rtn_b32 s0, sendmsg(MSG_RTN_GET_DOORBELL)
	s_mov_b32 ttmp2, m0
	s_waitcnt lgkmcnt(0)
	s_and_b32 s0, s0, 0x3ff
	s_delay_alu instid0(SALU_CYCLE_1) | instskip(NEXT) | instid1(SALU_CYCLE_1)
	s_bitset1_b32 s0, 10
	s_mov_b32 m0, s0
	s_sendmsg sendmsg(MSG_INTERRUPT)
	s_mov_b32 m0, ttmp2
.LBB4_7732:                             ; =>This Inner Loop Header: Depth=1
	s_sethalt 5
	s_branch .LBB4_7732
.LBB4_7733:
	s_or_b32 exec_lo, exec_lo, s4
	s_and_saveexec_b32 s4, s5
	s_delay_alu instid0(SALU_CYCLE_1)
	s_xor_b32 s4, exec_lo, s4
	s_cbranch_execz .LBB4_7735
; %bb.7734:
	v_mov_b32_e32 v0, 1
	ds_store_b32 v0, v0
	s_cbranch_execnz .LBB4_7787
.LBB4_7735:
	s_or_b32 exec_lo, exec_lo, s3
	;;#ASMSTART
	s_wakeup
	;;#ASMEND
.LBB4_7736:
	s_or_b32 exec_lo, exec_lo, s2
.LBB4_7737:
	s_and_not1_saveexec_b32 s1, s1
	s_cbranch_execz .LBB4_7739
; %bb.7738:
	s_waitcnt lgkmcnt(0)
	s_waitcnt_vscnt null, 0x0
	buffer_gl1_inv
	buffer_gl0_inv
	s_barrier
.LBB4_7739:
	s_or_b32 exec_lo, exec_lo, s0
.LBB4_7740:
	s_and_not1_saveexec_b32 s21, s13
	s_cbranch_execz .LBB4_7742
; %bb.7741:
	s_getpc_b64 s[0:1]
	s_add_u32 s0, s0, __PRETTY_FUNCTION__._ZN10PrimitivesI11rccl_float813FuncPreMulSumIS0_E12FanSymmetricILi1EELi0E11ProtoSimpleILi1ELi1ELi0ELi2ELi0ELi0EELi0ELb0ELi0ELi0ELi0EEC2EiiPKiS9_PKvPvmhhhP15ncclDevWorkCollP14ncclDevWorkP2pii@rel32@lo+4
	s_addc_u32 s1, s1, __PRETTY_FUNCTION__._ZN10PrimitivesI11rccl_float813FuncPreMulSumIS0_E12FanSymmetricILi1EELi0E11ProtoSimpleILi1ELi1ELi0ELi2ELi0ELi0EELi0ELb0ELi0ELi0ELi0EEC2EiiPKiS9_PKvPvmhhhP15ncclDevWorkCollP14ncclDevWorkP2pii@rel32@hi+12
	s_delay_alu instid0(SALU_CYCLE_1) | instskip(SKIP_3) | instid1(SALU_CYCLE_1)
	v_dual_mov_b32 v0, s0 :: v_dual_mov_b32 v1, s1
	s_getpc_b64 s[2:3]
	s_add_u32 s2, s2, __assert_fail@rel32@lo+4
	s_addc_u32 s3, s3, __assert_fail@rel32@hi+12
	s_swappc_b64 s[30:31], s[2:3]
	; divergent unreachable
.LBB4_7742:
	s_or_b32 exec_lo, exec_lo, s21
	s_clause 0xd
	scratch_load_b32 v61, off, s33
	scratch_load_b32 v60, off, s33 offset:4
	scratch_load_b32 v59, off, s33 offset:8
	;; [unrolled: 1-line block ×13, first 2 shown]
	v_readlane_b32 s30, v62, 0
	v_readlane_b32 s31, v62, 1
	;; [unrolled: 1-line block ×3, first 2 shown]
	s_or_saveexec_b32 s1, -1
	scratch_load_b32 v62, off, s33 offset:56 ; 4-byte Folded Reload
	s_mov_b32 exec_lo, s1
	s_addk_i32 s32, 0xffc0
	s_mov_b32 s33, s0
	s_waitcnt vmcnt(0) lgkmcnt(0)
	s_setpc_b64 s[30:31]
.LBB4_7743:
	s_trap 2
	s_sendmsg_rtn_b32 s0, sendmsg(MSG_RTN_GET_DOORBELL)
	s_mov_b32 ttmp2, m0
	s_waitcnt lgkmcnt(0)
	s_and_b32 s0, s0, 0x3ff
	s_delay_alu instid0(SALU_CYCLE_1) | instskip(NEXT) | instid1(SALU_CYCLE_1)
	s_bitset1_b32 s0, 10
	s_mov_b32 m0, s0
	s_sendmsg sendmsg(MSG_INTERRUPT)
	s_mov_b32 m0, ttmp2
.LBB4_7744:                             ; =>This Inner Loop Header: Depth=1
	s_sethalt 5
	s_branch .LBB4_7744
.LBB4_7745:
	s_trap 2
	s_sendmsg_rtn_b32 s0, sendmsg(MSG_RTN_GET_DOORBELL)
	s_mov_b32 ttmp2, m0
	s_waitcnt lgkmcnt(0)
	s_and_b32 s0, s0, 0x3ff
	s_delay_alu instid0(SALU_CYCLE_1) | instskip(NEXT) | instid1(SALU_CYCLE_1)
	s_bitset1_b32 s0, 10
	s_mov_b32 m0, s0
	s_sendmsg sendmsg(MSG_INTERRUPT)
	s_mov_b32 m0, ttmp2
.LBB4_7746:                             ; =>This Inner Loop Header: Depth=1
	s_sethalt 5
	s_branch .LBB4_7746
.LBB4_7747:
	s_trap 2
	s_sendmsg_rtn_b32 s0, sendmsg(MSG_RTN_GET_DOORBELL)
	s_mov_b32 ttmp2, m0
	s_waitcnt lgkmcnt(0)
	s_and_b32 s0, s0, 0x3ff
	s_delay_alu instid0(SALU_CYCLE_1) | instskip(NEXT) | instid1(SALU_CYCLE_1)
	s_bitset1_b32 s0, 10
	s_mov_b32 m0, s0
	s_sendmsg sendmsg(MSG_INTERRUPT)
	s_mov_b32 m0, ttmp2
.LBB4_7748:                             ; =>This Inner Loop Header: Depth=1
	s_sethalt 5
	s_branch .LBB4_7748
.LBB4_7749:
	s_trap 2
	s_sendmsg_rtn_b32 s0, sendmsg(MSG_RTN_GET_DOORBELL)
	s_mov_b32 ttmp2, m0
	s_waitcnt lgkmcnt(0)
	s_and_b32 s0, s0, 0x3ff
	s_delay_alu instid0(SALU_CYCLE_1) | instskip(NEXT) | instid1(SALU_CYCLE_1)
	s_bitset1_b32 s0, 10
	s_mov_b32 m0, s0
	s_sendmsg sendmsg(MSG_INTERRUPT)
	s_mov_b32 m0, ttmp2
.LBB4_7750:                             ; =>This Inner Loop Header: Depth=1
	s_sethalt 5
	s_branch .LBB4_7750
.LBB4_7751:
	s_trap 2
	s_sendmsg_rtn_b32 s0, sendmsg(MSG_RTN_GET_DOORBELL)
	s_mov_b32 ttmp2, m0
	s_waitcnt lgkmcnt(0)
	s_and_b32 s0, s0, 0x3ff
	s_delay_alu instid0(SALU_CYCLE_1) | instskip(NEXT) | instid1(SALU_CYCLE_1)
	s_bitset1_b32 s0, 10
	s_mov_b32 m0, s0
	s_sendmsg sendmsg(MSG_INTERRUPT)
	s_mov_b32 m0, ttmp2
.LBB4_7752:                             ; =>This Inner Loop Header: Depth=1
	s_sethalt 5
	s_branch .LBB4_7752
.LBB4_7753:
	s_trap 2
	s_sendmsg_rtn_b32 s0, sendmsg(MSG_RTN_GET_DOORBELL)
	s_mov_b32 ttmp2, m0
	s_waitcnt lgkmcnt(0)
	s_and_b32 s0, s0, 0x3ff
	s_delay_alu instid0(SALU_CYCLE_1) | instskip(NEXT) | instid1(SALU_CYCLE_1)
	s_bitset1_b32 s0, 10
	s_mov_b32 m0, s0
	s_sendmsg sendmsg(MSG_INTERRUPT)
	s_mov_b32 m0, ttmp2
.LBB4_7754:                             ; =>This Inner Loop Header: Depth=1
	s_sethalt 5
	s_branch .LBB4_7754
.LBB4_7755:
	s_trap 2
	s_sendmsg_rtn_b32 s0, sendmsg(MSG_RTN_GET_DOORBELL)
	s_mov_b32 ttmp2, m0
	s_waitcnt lgkmcnt(0)
	s_and_b32 s0, s0, 0x3ff
	s_delay_alu instid0(SALU_CYCLE_1) | instskip(NEXT) | instid1(SALU_CYCLE_1)
	s_bitset1_b32 s0, 10
	s_mov_b32 m0, s0
	s_sendmsg sendmsg(MSG_INTERRUPT)
	s_mov_b32 m0, ttmp2
.LBB4_7756:                             ; =>This Inner Loop Header: Depth=1
	s_sethalt 5
	s_branch .LBB4_7756
.LBB4_7757:
	s_trap 2
	s_sendmsg_rtn_b32 s0, sendmsg(MSG_RTN_GET_DOORBELL)
	s_mov_b32 ttmp2, m0
	s_waitcnt lgkmcnt(0)
	s_and_b32 s0, s0, 0x3ff
	s_delay_alu instid0(SALU_CYCLE_1) | instskip(NEXT) | instid1(SALU_CYCLE_1)
	s_bitset1_b32 s0, 10
	s_mov_b32 m0, s0
	s_sendmsg sendmsg(MSG_INTERRUPT)
	s_mov_b32 m0, ttmp2
.LBB4_7758:                             ; =>This Inner Loop Header: Depth=1
	s_sethalt 5
	s_branch .LBB4_7758
.LBB4_7759:
	s_trap 2
	s_sendmsg_rtn_b32 s0, sendmsg(MSG_RTN_GET_DOORBELL)
	s_mov_b32 ttmp2, m0
	s_waitcnt lgkmcnt(0)
	s_and_b32 s0, s0, 0x3ff
	s_delay_alu instid0(SALU_CYCLE_1) | instskip(NEXT) | instid1(SALU_CYCLE_1)
	s_bitset1_b32 s0, 10
	s_mov_b32 m0, s0
	s_sendmsg sendmsg(MSG_INTERRUPT)
	s_mov_b32 m0, ttmp2
.LBB4_7760:                             ; =>This Inner Loop Header: Depth=1
	s_sethalt 5
	s_branch .LBB4_7760
.LBB4_7761:
	s_trap 2
	s_sendmsg_rtn_b32 s0, sendmsg(MSG_RTN_GET_DOORBELL)
	s_mov_b32 ttmp2, m0
	s_waitcnt lgkmcnt(0)
	s_and_b32 s0, s0, 0x3ff
	s_delay_alu instid0(SALU_CYCLE_1) | instskip(NEXT) | instid1(SALU_CYCLE_1)
	s_bitset1_b32 s0, 10
	s_mov_b32 m0, s0
	s_sendmsg sendmsg(MSG_INTERRUPT)
	s_mov_b32 m0, ttmp2
.LBB4_7762:                             ; =>This Inner Loop Header: Depth=1
	s_sethalt 5
	s_branch .LBB4_7762
.LBB4_7763:
	s_trap 2
	s_sendmsg_rtn_b32 s0, sendmsg(MSG_RTN_GET_DOORBELL)
	s_mov_b32 ttmp2, m0
	s_waitcnt lgkmcnt(0)
	s_and_b32 s0, s0, 0x3ff
	s_delay_alu instid0(SALU_CYCLE_1) | instskip(NEXT) | instid1(SALU_CYCLE_1)
	s_bitset1_b32 s0, 10
	s_mov_b32 m0, s0
	s_sendmsg sendmsg(MSG_INTERRUPT)
	s_mov_b32 m0, ttmp2
.LBB4_7764:                             ; =>This Inner Loop Header: Depth=1
	s_sethalt 5
	s_branch .LBB4_7764
.LBB4_7765:
	s_trap 2
	s_sendmsg_rtn_b32 s0, sendmsg(MSG_RTN_GET_DOORBELL)
	s_mov_b32 ttmp2, m0
	s_waitcnt lgkmcnt(0)
	s_and_b32 s0, s0, 0x3ff
	s_delay_alu instid0(SALU_CYCLE_1) | instskip(NEXT) | instid1(SALU_CYCLE_1)
	s_bitset1_b32 s0, 10
	s_mov_b32 m0, s0
	s_sendmsg sendmsg(MSG_INTERRUPT)
	s_mov_b32 m0, ttmp2
.LBB4_7766:                             ; =>This Inner Loop Header: Depth=1
	s_sethalt 5
	s_branch .LBB4_7766
.LBB4_7767:
	s_trap 2
	s_sendmsg_rtn_b32 s0, sendmsg(MSG_RTN_GET_DOORBELL)
	s_mov_b32 ttmp2, m0
	s_waitcnt lgkmcnt(0)
	s_and_b32 s0, s0, 0x3ff
	s_delay_alu instid0(SALU_CYCLE_1) | instskip(NEXT) | instid1(SALU_CYCLE_1)
	s_bitset1_b32 s0, 10
	s_mov_b32 m0, s0
	s_sendmsg sendmsg(MSG_INTERRUPT)
	s_mov_b32 m0, ttmp2
.LBB4_7768:                             ; =>This Inner Loop Header: Depth=1
	s_sethalt 5
	s_branch .LBB4_7768
.LBB4_7769:
	s_trap 2
	s_sendmsg_rtn_b32 s0, sendmsg(MSG_RTN_GET_DOORBELL)
	s_mov_b32 ttmp2, m0
	s_waitcnt lgkmcnt(0)
	s_and_b32 s0, s0, 0x3ff
	s_delay_alu instid0(SALU_CYCLE_1) | instskip(NEXT) | instid1(SALU_CYCLE_1)
	s_bitset1_b32 s0, 10
	s_mov_b32 m0, s0
	s_sendmsg sendmsg(MSG_INTERRUPT)
	s_mov_b32 m0, ttmp2
.LBB4_7770:                             ; =>This Inner Loop Header: Depth=1
	s_sethalt 5
	s_branch .LBB4_7770
.LBB4_7771:
	s_trap 2
	s_sendmsg_rtn_b32 s0, sendmsg(MSG_RTN_GET_DOORBELL)
	s_mov_b32 ttmp2, m0
	s_waitcnt lgkmcnt(0)
	s_and_b32 s0, s0, 0x3ff
	s_delay_alu instid0(SALU_CYCLE_1) | instskip(NEXT) | instid1(SALU_CYCLE_1)
	s_bitset1_b32 s0, 10
	s_mov_b32 m0, s0
	s_sendmsg sendmsg(MSG_INTERRUPT)
	s_mov_b32 m0, ttmp2
.LBB4_7772:                             ; =>This Inner Loop Header: Depth=1
	s_sethalt 5
	s_branch .LBB4_7772
.LBB4_7773:
	s_trap 2
	s_sendmsg_rtn_b32 s0, sendmsg(MSG_RTN_GET_DOORBELL)
	s_mov_b32 ttmp2, m0
	s_waitcnt lgkmcnt(0)
	s_and_b32 s0, s0, 0x3ff
	s_delay_alu instid0(SALU_CYCLE_1) | instskip(NEXT) | instid1(SALU_CYCLE_1)
	s_bitset1_b32 s0, 10
	s_mov_b32 m0, s0
	s_sendmsg sendmsg(MSG_INTERRUPT)
	s_mov_b32 m0, ttmp2
.LBB4_7774:                             ; =>This Inner Loop Header: Depth=1
	s_sethalt 5
	s_branch .LBB4_7774
.LBB4_7775:
	s_trap 2
	s_sendmsg_rtn_b32 s0, sendmsg(MSG_RTN_GET_DOORBELL)
	s_mov_b32 ttmp2, m0
	s_waitcnt lgkmcnt(0)
	s_and_b32 s0, s0, 0x3ff
	s_delay_alu instid0(SALU_CYCLE_1) | instskip(NEXT) | instid1(SALU_CYCLE_1)
	s_bitset1_b32 s0, 10
	s_mov_b32 m0, s0
	s_sendmsg sendmsg(MSG_INTERRUPT)
	s_mov_b32 m0, ttmp2
.LBB4_7776:                             ; =>This Inner Loop Header: Depth=1
	s_sethalt 5
	s_branch .LBB4_7776
.LBB4_7777:
	s_trap 2
	s_sendmsg_rtn_b32 s0, sendmsg(MSG_RTN_GET_DOORBELL)
	s_mov_b32 ttmp2, m0
	s_waitcnt lgkmcnt(0)
	s_and_b32 s0, s0, 0x3ff
	s_delay_alu instid0(SALU_CYCLE_1) | instskip(NEXT) | instid1(SALU_CYCLE_1)
	s_bitset1_b32 s0, 10
	s_mov_b32 m0, s0
	s_sendmsg sendmsg(MSG_INTERRUPT)
	s_mov_b32 m0, ttmp2
.LBB4_7778:                             ; =>This Inner Loop Header: Depth=1
	s_sethalt 5
	s_branch .LBB4_7778
.LBB4_7779:
	s_trap 2
	s_sendmsg_rtn_b32 s0, sendmsg(MSG_RTN_GET_DOORBELL)
	s_mov_b32 ttmp2, m0
	s_waitcnt lgkmcnt(0)
	s_and_b32 s0, s0, 0x3ff
	s_delay_alu instid0(SALU_CYCLE_1) | instskip(NEXT) | instid1(SALU_CYCLE_1)
	s_bitset1_b32 s0, 10
	s_mov_b32 m0, s0
	s_sendmsg sendmsg(MSG_INTERRUPT)
	s_mov_b32 m0, ttmp2
.LBB4_7780:                             ; =>This Inner Loop Header: Depth=1
	s_sethalt 5
	s_branch .LBB4_7780
.LBB4_7781:
	s_trap 2
	s_sendmsg_rtn_b32 s0, sendmsg(MSG_RTN_GET_DOORBELL)
	s_mov_b32 ttmp2, m0
	s_waitcnt lgkmcnt(0)
	s_and_b32 s0, s0, 0x3ff
	s_delay_alu instid0(SALU_CYCLE_1) | instskip(NEXT) | instid1(SALU_CYCLE_1)
	s_bitset1_b32 s0, 10
	s_mov_b32 m0, s0
	s_sendmsg sendmsg(MSG_INTERRUPT)
	s_mov_b32 m0, ttmp2
.LBB4_7782:                             ; =>This Inner Loop Header: Depth=1
	s_sethalt 5
	s_branch .LBB4_7782
.LBB4_7783:
	s_trap 2
	s_sendmsg_rtn_b32 s0, sendmsg(MSG_RTN_GET_DOORBELL)
	s_mov_b32 ttmp2, m0
	s_waitcnt lgkmcnt(0)
	s_and_b32 s0, s0, 0x3ff
	s_delay_alu instid0(SALU_CYCLE_1) | instskip(NEXT) | instid1(SALU_CYCLE_1)
	s_bitset1_b32 s0, 10
	s_mov_b32 m0, s0
	s_sendmsg sendmsg(MSG_INTERRUPT)
	s_mov_b32 m0, ttmp2
.LBB4_7784:                             ; =>This Inner Loop Header: Depth=1
	s_sethalt 5
	s_branch .LBB4_7784
.LBB4_7785:
	s_trap 2
	s_sendmsg_rtn_b32 s0, sendmsg(MSG_RTN_GET_DOORBELL)
	s_mov_b32 ttmp2, m0
	s_waitcnt lgkmcnt(0)
	s_and_b32 s0, s0, 0x3ff
	s_delay_alu instid0(SALU_CYCLE_1) | instskip(NEXT) | instid1(SALU_CYCLE_1)
	s_bitset1_b32 s0, 10
	s_mov_b32 m0, s0
	s_sendmsg sendmsg(MSG_INTERRUPT)
	s_mov_b32 m0, ttmp2
.LBB4_7786:                             ; =>This Inner Loop Header: Depth=1
	s_sethalt 5
	s_branch .LBB4_7786
.LBB4_7787:
	s_trap 2
	s_sendmsg_rtn_b32 s0, sendmsg(MSG_RTN_GET_DOORBELL)
	s_mov_b32 ttmp2, m0
	s_waitcnt lgkmcnt(0)
	s_and_b32 s0, s0, 0x3ff
	s_delay_alu instid0(SALU_CYCLE_1) | instskip(NEXT) | instid1(SALU_CYCLE_1)
	s_bitset1_b32 s0, 10
	s_mov_b32 m0, s0
	s_sendmsg sendmsg(MSG_INTERRUPT)
	s_mov_b32 m0, ttmp2
.LBB4_7788:                             ; =>This Inner Loop Header: Depth=1
	s_sethalt 5
	s_branch .LBB4_7788
.LBB4_7789:
	s_trap 2
	s_sendmsg_rtn_b32 s0, sendmsg(MSG_RTN_GET_DOORBELL)
	s_mov_b32 ttmp2, m0
	s_waitcnt lgkmcnt(0)
	s_and_b32 s0, s0, 0x3ff
	s_delay_alu instid0(SALU_CYCLE_1) | instskip(NEXT) | instid1(SALU_CYCLE_1)
	s_bitset1_b32 s0, 10
	s_mov_b32 m0, s0
	s_sendmsg sendmsg(MSG_INTERRUPT)
	s_mov_b32 m0, ttmp2
.LBB4_7790:                             ; =>This Inner Loop Header: Depth=1
	s_sethalt 5
	s_branch .LBB4_7790
.LBB4_7791:
	s_trap 2
	s_sendmsg_rtn_b32 s0, sendmsg(MSG_RTN_GET_DOORBELL)
	s_mov_b32 ttmp2, m0
	s_waitcnt lgkmcnt(0)
	s_and_b32 s0, s0, 0x3ff
	s_delay_alu instid0(SALU_CYCLE_1) | instskip(NEXT) | instid1(SALU_CYCLE_1)
	s_bitset1_b32 s0, 10
	s_mov_b32 m0, s0
	s_sendmsg sendmsg(MSG_INTERRUPT)
	s_mov_b32 m0, ttmp2
.LBB4_7792:                             ; =>This Inner Loop Header: Depth=1
	s_sethalt 5
	s_branch .LBB4_7792
.LBB4_7793:
	s_trap 2
	s_sendmsg_rtn_b32 s0, sendmsg(MSG_RTN_GET_DOORBELL)
	s_mov_b32 ttmp2, m0
	s_waitcnt lgkmcnt(0)
	s_and_b32 s0, s0, 0x3ff
	s_delay_alu instid0(SALU_CYCLE_1) | instskip(NEXT) | instid1(SALU_CYCLE_1)
	s_bitset1_b32 s0, 10
	s_mov_b32 m0, s0
	s_sendmsg sendmsg(MSG_INTERRUPT)
	s_mov_b32 m0, ttmp2
.LBB4_7794:                             ; =>This Inner Loop Header: Depth=1
	s_sethalt 5
	s_branch .LBB4_7794
.LBB4_7795:
	s_trap 2
	s_sendmsg_rtn_b32 s0, sendmsg(MSG_RTN_GET_DOORBELL)
	s_mov_b32 ttmp2, m0
	s_waitcnt lgkmcnt(0)
	s_and_b32 s0, s0, 0x3ff
	s_delay_alu instid0(SALU_CYCLE_1) | instskip(NEXT) | instid1(SALU_CYCLE_1)
	s_bitset1_b32 s0, 10
	s_mov_b32 m0, s0
	s_sendmsg sendmsg(MSG_INTERRUPT)
	s_mov_b32 m0, ttmp2
.LBB4_7796:                             ; =>This Inner Loop Header: Depth=1
	s_sethalt 5
	s_branch .LBB4_7796
.LBB4_7797:
	s_trap 2
	s_sendmsg_rtn_b32 s0, sendmsg(MSG_RTN_GET_DOORBELL)
	s_mov_b32 ttmp2, m0
	s_waitcnt lgkmcnt(0)
	s_and_b32 s0, s0, 0x3ff
	s_delay_alu instid0(SALU_CYCLE_1) | instskip(NEXT) | instid1(SALU_CYCLE_1)
	s_bitset1_b32 s0, 10
	s_mov_b32 m0, s0
	s_sendmsg sendmsg(MSG_INTERRUPT)
	s_mov_b32 m0, ttmp2
.LBB4_7798:                             ; =>This Inner Loop Header: Depth=1
	s_sethalt 5
	s_branch .LBB4_7798
.LBB4_7799:
	s_trap 2
	s_sendmsg_rtn_b32 s0, sendmsg(MSG_RTN_GET_DOORBELL)
	s_mov_b32 ttmp2, m0
	s_waitcnt lgkmcnt(0)
	s_and_b32 s0, s0, 0x3ff
	s_delay_alu instid0(SALU_CYCLE_1) | instskip(NEXT) | instid1(SALU_CYCLE_1)
	s_bitset1_b32 s0, 10
	s_mov_b32 m0, s0
	s_sendmsg sendmsg(MSG_INTERRUPT)
	s_mov_b32 m0, ttmp2
.LBB4_7800:                             ; =>This Inner Loop Header: Depth=1
	s_sethalt 5
	s_branch .LBB4_7800
.LBB4_7801:
	s_trap 2
	s_sendmsg_rtn_b32 s0, sendmsg(MSG_RTN_GET_DOORBELL)
	s_mov_b32 ttmp2, m0
	s_waitcnt lgkmcnt(0)
	s_and_b32 s0, s0, 0x3ff
	s_delay_alu instid0(SALU_CYCLE_1) | instskip(NEXT) | instid1(SALU_CYCLE_1)
	s_bitset1_b32 s0, 10
	s_mov_b32 m0, s0
	s_sendmsg sendmsg(MSG_INTERRUPT)
	s_mov_b32 m0, ttmp2
.LBB4_7802:                             ; =>This Inner Loop Header: Depth=1
	s_sethalt 5
	s_branch .LBB4_7802
.LBB4_7803:
	s_trap 2
	s_sendmsg_rtn_b32 s0, sendmsg(MSG_RTN_GET_DOORBELL)
	s_mov_b32 ttmp2, m0
	s_waitcnt lgkmcnt(0)
	s_and_b32 s0, s0, 0x3ff
	s_delay_alu instid0(SALU_CYCLE_1) | instskip(NEXT) | instid1(SALU_CYCLE_1)
	s_bitset1_b32 s0, 10
	s_mov_b32 m0, s0
	s_sendmsg sendmsg(MSG_INTERRUPT)
	s_mov_b32 m0, ttmp2
.LBB4_7804:                             ; =>This Inner Loop Header: Depth=1
	s_sethalt 5
	s_branch .LBB4_7804
.LBB4_7805:
	s_trap 2
	s_sendmsg_rtn_b32 s0, sendmsg(MSG_RTN_GET_DOORBELL)
	s_mov_b32 ttmp2, m0
	s_waitcnt lgkmcnt(0)
	s_and_b32 s0, s0, 0x3ff
	s_delay_alu instid0(SALU_CYCLE_1) | instskip(NEXT) | instid1(SALU_CYCLE_1)
	s_bitset1_b32 s0, 10
	s_mov_b32 m0, s0
	s_sendmsg sendmsg(MSG_INTERRUPT)
	s_mov_b32 m0, ttmp2
.LBB4_7806:                             ; =>This Inner Loop Header: Depth=1
	s_sethalt 5
	s_branch .LBB4_7806
.LBB4_7807:
	s_trap 2
	s_sendmsg_rtn_b32 s0, sendmsg(MSG_RTN_GET_DOORBELL)
	s_mov_b32 ttmp2, m0
	s_waitcnt lgkmcnt(0)
	s_and_b32 s0, s0, 0x3ff
	s_delay_alu instid0(SALU_CYCLE_1) | instskip(NEXT) | instid1(SALU_CYCLE_1)
	s_bitset1_b32 s0, 10
	s_mov_b32 m0, s0
	s_sendmsg sendmsg(MSG_INTERRUPT)
	s_mov_b32 m0, ttmp2
.LBB4_7808:                             ; =>This Inner Loop Header: Depth=1
	s_sethalt 5
	s_branch .LBB4_7808
.LBB4_7809:
	s_trap 2
	s_sendmsg_rtn_b32 s0, sendmsg(MSG_RTN_GET_DOORBELL)
	s_mov_b32 ttmp2, m0
	s_waitcnt lgkmcnt(0)
	s_and_b32 s0, s0, 0x3ff
	s_delay_alu instid0(SALU_CYCLE_1) | instskip(NEXT) | instid1(SALU_CYCLE_1)
	s_bitset1_b32 s0, 10
	s_mov_b32 m0, s0
	s_sendmsg sendmsg(MSG_INTERRUPT)
	s_mov_b32 m0, ttmp2
.LBB4_7810:                             ; =>This Inner Loop Header: Depth=1
	s_sethalt 5
	s_branch .LBB4_7810
.LBB4_7811:
	s_trap 2
	s_sendmsg_rtn_b32 s0, sendmsg(MSG_RTN_GET_DOORBELL)
	s_mov_b32 ttmp2, m0
	s_waitcnt lgkmcnt(0)
	s_and_b32 s0, s0, 0x3ff
	s_delay_alu instid0(SALU_CYCLE_1) | instskip(NEXT) | instid1(SALU_CYCLE_1)
	s_bitset1_b32 s0, 10
	s_mov_b32 m0, s0
	s_sendmsg sendmsg(MSG_INTERRUPT)
	s_mov_b32 m0, ttmp2
.LBB4_7812:                             ; =>This Inner Loop Header: Depth=1
	s_sethalt 5
	s_branch .LBB4_7812
.LBB4_7813:
	s_trap 2
	s_sendmsg_rtn_b32 s0, sendmsg(MSG_RTN_GET_DOORBELL)
	s_mov_b32 ttmp2, m0
	s_waitcnt lgkmcnt(0)
	s_and_b32 s0, s0, 0x3ff
	s_delay_alu instid0(SALU_CYCLE_1) | instskip(NEXT) | instid1(SALU_CYCLE_1)
	s_bitset1_b32 s0, 10
	s_mov_b32 m0, s0
	s_sendmsg sendmsg(MSG_INTERRUPT)
	s_mov_b32 m0, ttmp2
.LBB4_7814:                             ; =>This Inner Loop Header: Depth=1
	s_sethalt 5
	s_branch .LBB4_7814
.LBB4_7815:
	s_trap 2
	s_sendmsg_rtn_b32 s0, sendmsg(MSG_RTN_GET_DOORBELL)
	s_mov_b32 ttmp2, m0
	s_waitcnt lgkmcnt(0)
	s_and_b32 s0, s0, 0x3ff
	s_delay_alu instid0(SALU_CYCLE_1) | instskip(NEXT) | instid1(SALU_CYCLE_1)
	s_bitset1_b32 s0, 10
	s_mov_b32 m0, s0
	s_sendmsg sendmsg(MSG_INTERRUPT)
	s_mov_b32 m0, ttmp2
.LBB4_7816:                             ; =>This Inner Loop Header: Depth=1
	s_sethalt 5
	s_branch .LBB4_7816
.Lfunc_end4:
	.size	_ZN12_GLOBAL__N_17runRingI11rccl_float813FuncPreMulSumIS1_E11ProtoSimpleILi1ELi1ELi0ELi2ELi0ELi0EELi0ELi2ELi0EEEviiP15ncclDevWorkColl, .Lfunc_end4-_ZN12_GLOBAL__N_17runRingI11rccl_float813FuncPreMulSumIS1_E11ProtoSimpleILi1ELi1ELi0ELi2ELi0ELi0EELi0ELi2ELi0EEEviiP15ncclDevWorkColl
                                        ; -- End function
	.section	.AMDGPU.csdata,"",@progbits
; Function info:
; codeLenInByte = 321544
; NumSgprs: 38
; NumVgprs: 184
; ScratchSize: 128
; MemoryBound: 1
	.text
	.p2align	2                               ; -- Begin function _Z53ncclDevFunc_Reduce_RING_SIMPLE_PreMulSum_f8e4m3_0_0_2v
	.type	_Z53ncclDevFunc_Reduce_RING_SIMPLE_PreMulSum_f8e4m3_0_0_2v,@function
_Z53ncclDevFunc_Reduce_RING_SIMPLE_PreMulSum_f8e4m3_0_0_2v: ; @_Z53ncclDevFunc_Reduce_RING_SIMPLE_PreMulSum_f8e4m3_0_0_2v
; %bb.0:
	s_waitcnt vmcnt(0) expcnt(0) lgkmcnt(0)
	s_mov_b32 s0, s33
	s_mov_b32 s33, s32
	s_or_saveexec_b32 s1, -1
	scratch_store_b32 off, v42, s33 offset:12 ; 4-byte Folded Spill
	s_mov_b32 exec_lo, s1
	v_writelane_b32 v42, s0, 10
	s_add_i32 s32, s32, 32
	s_clause 0x2
	scratch_store_b32 off, v40, s33 offset:8
	; meta instruction
	scratch_store_b32 off, v41, s33 offset:4
	; meta instruction
	scratch_store_b32 off, v62, s33
	v_writelane_b32 v42, s34, 0
	v_writelane_b32 v42, s35, 1
	;; [unrolled: 1-line block ×10, first 2 shown]
	s_cbranch_execnz .LBB5_7
; %bb.1:
	ds_load_b32 v0, v0
	v_and_b32_e32 v40, 0x3ff, v31
	s_mov_b32 s0, exec_lo
	s_waitcnt lgkmcnt(0)
	s_delay_alu instid0(VALU_DEP_1)
	v_cmpx_lt_i32_e64 v40, v0
	s_cbranch_execz .LBB5_9
; %bb.2:
	s_load_b32 s1, s[8:9], 0x0
	v_mov_b32_e32 v1, 0
	s_waitcnt lgkmcnt(0)
	s_cmp_lt_u32 s12, s1
	s_cselect_b32 s1, 12, 18
	s_delay_alu instid0(SALU_CYCLE_1)
	s_add_u32 s2, s8, s1
	s_addc_u32 s3, s9, 0
	s_mov_b32 s1, 0
	global_load_u16 v1, v1, s[2:3]
	s_cbranch_execnz .LBB5_24
; %bb.3:
	ds_load_b32 v2, v0
	v_mov_b32_e32 v3, v40
	s_mov_b32 s2, 0
                                        ; implicit-def: $vgpr4
	s_waitcnt vmcnt(0) lgkmcnt(0)
	v_mul_lo_u32 v2, v2, v1
	s_branch .LBB5_5
	.p2align	6
.LBB5_4:                                ;   in Loop: Header=BB5_5 Depth=1
	s_or_b32 exec_lo, exec_lo, s3
	v_add_nc_u32_e32 v3, v3, v1
	v_add_nc_u32_e32 v4, v4, v2
	s_delay_alu instid0(VALU_DEP_2) | instskip(SKIP_1) | instid1(SALU_CYCLE_1)
	v_cmp_ge_i32_e32 vcc_lo, v3, v0
	s_or_b32 s1, vcc_lo, s1
	s_and_not1_b32 exec_lo, exec_lo, s1
	s_cbranch_execz .LBB5_9
.LBB5_5:                                ; =>This Inner Loop Header: Depth=1
	ds_load_b32 v5, v4
	s_mov_b32 s3, exec_lo
	s_waitcnt lgkmcnt(0)
	v_and_b32_e32 v5, 0x1000000, v5
	s_delay_alu instid0(VALU_DEP_1)
	v_cmpx_ne_u32_e32 0, v5
	s_cbranch_execz .LBB5_4
; %bb.6:                                ;   in Loop: Header=BB5_5 Depth=1
	ds_load_b64 v[5:6], v4 offset:104
	s_waitcnt lgkmcnt(0)
	flat_load_u8 v5, v[5:6]
	s_waitcnt vmcnt(0) lgkmcnt(0)
	v_dual_mov_b32 v6, s2 :: v_dual_and_b32 v5, 0xffff, v5
	ds_store_b64 v4, v[5:6] offset:104
	s_branch .LBB5_4
.LBB5_7:
	s_trap 2
	s_sendmsg_rtn_b32 s0, sendmsg(MSG_RTN_GET_DOORBELL)
	s_mov_b32 ttmp2, m0
	s_waitcnt lgkmcnt(0)
	s_and_b32 s0, s0, 0x3ff
	s_delay_alu instid0(SALU_CYCLE_1) | instskip(NEXT) | instid1(SALU_CYCLE_1)
	s_bitset1_b32 s0, 10
	s_mov_b32 m0, s0
	s_sendmsg sendmsg(MSG_INTERRUPT)
	s_mov_b32 m0, ttmp2
.LBB5_8:                                ; =>This Inner Loop Header: Depth=1
	s_sethalt 5
	s_branch .LBB5_8
.LBB5_9:
	s_or_b32 exec_lo, exec_lo, s0
	s_waitcnt lgkmcnt(0)
	s_waitcnt_vscnt null, 0x0
	s_barrier
	buffer_gl0_inv
	s_cbranch_execnz .LBB5_22
; %bb.10:
	ds_load_b32 v0, v0
	s_waitcnt lgkmcnt(0)
	v_cmp_gt_i32_e32 vcc_lo, 1, v0
	s_cbranch_vccnz .LBB5_21
; %bb.11:
	s_mov_b32 s40, 0
	s_mov_b64 s[38:39], src_shared_base
.LBB5_12:                               ; =>This Inner Loop Header: Depth=1
	s_cbranch_execnz .LBB5_26
; %bb.13:                               ;   in Loop: Header=BB5_12 Depth=1
	ds_load_b32 v0, v0
	s_cmp_eq_u32 s40, 0
	s_cbranch_scc1 .LBB5_17
; %bb.14:                               ;   in Loop: Header=BB5_12 Depth=1
	s_cbranch_execnz .LBB5_30
; %bb.15:                               ;   in Loop: Header=BB5_12 Depth=1
	s_waitcnt lgkmcnt(0)
	ds_load_b32 v1, v0
	s_waitcnt lgkmcnt(0)
	v_xor_b32_e32 v1, v1, v0
	s_delay_alu instid0(VALU_DEP_1) | instskip(NEXT) | instid1(VALU_DEP_1)
	v_and_b32_e32 v1, 0xff0000, v1
	v_cmp_eq_u32_e32 vcc_lo, 0, v1
	s_cbranch_vccnz .LBB5_17
; %bb.16:                               ;   in Loop: Header=BB5_12 Depth=1
	s_waitcnt_vscnt null, 0x0
	s_barrier
	buffer_gl0_inv
	ds_load_b32 v0, v0
.LBB5_17:                               ;   in Loop: Header=BB5_12 Depth=1
	s_waitcnt lgkmcnt(0)
	v_lshrrev_b32_e32 v0, 11, v0
	s_mov_b32 s41, exec_lo
	s_delay_alu instid0(VALU_DEP_1) | instskip(NEXT) | instid1(VALU_DEP_1)
	v_and_b32_e32 v1, 0x1fe0, v0
	v_cmpx_lt_u32_e64 v40, v1
	s_cbranch_execz .LBB5_19
; %bb.18:                               ;   in Loop: Header=BB5_12 Depth=1
	v_dual_mov_b32 v41, v31 :: v_dual_mov_b32 v0, v40
	v_mov_b32_e32 v3, s39
	s_getpc_b64 s[0:1]
	s_add_u32 s0, s0, _ZN12_GLOBAL__N_17runRingI11rccl_float813FuncPreMulSumIS1_E11ProtoSimpleILi1ELi1ELi0ELi2ELi0ELi0EELi0ELi2ELi0EEEviiP15ncclDevWorkColl@rel32@lo+4
	s_addc_u32 s1, s1, _ZN12_GLOBAL__N_17runRingI11rccl_float813FuncPreMulSumIS1_E11ProtoSimpleILi1ELi1ELi0ELi2ELi0ELi0EELi0ELi2ELi0EEEviiP15ncclDevWorkColl@rel32@hi+12
	s_mov_b64 s[36:37], s[8:9]
	s_mov_b32 s38, s12
	s_swappc_b64 s[30:31], s[0:1]
	v_mov_b32_e32 v31, v41
	s_mov_b32 s12, s38
	s_mov_b64 s[8:9], s[36:37]
.LBB5_19:                               ;   in Loop: Header=BB5_12 Depth=1
	s_or_b32 exec_lo, exec_lo, s41
	s_cbranch_execnz .LBB5_28
; %bb.20:                               ;   in Loop: Header=BB5_12 Depth=1
	ds_load_b32 v0, v0
	s_add_i32 s40, s40, 1
	s_waitcnt lgkmcnt(0)
	v_cmp_lt_i32_e32 vcc_lo, s40, v0
	s_cbranch_vccnz .LBB5_12
.LBB5_21:
	s_clause 0x2
	scratch_load_b32 v62, off, s33
	scratch_load_b32 v41, off, s33 offset:4
	scratch_load_b32 v40, off, s33 offset:8
	v_readlane_b32 s30, v42, 8
	v_readlane_b32 s31, v42, 9
	;; [unrolled: 1-line block ×11, first 2 shown]
	s_or_saveexec_b32 s1, -1
	scratch_load_b32 v42, off, s33 offset:12 ; 4-byte Folded Reload
	s_mov_b32 exec_lo, s1
	s_addk_i32 s32, 0xffe0
	s_mov_b32 s33, s0
	s_waitcnt vmcnt(0)
	s_setpc_b64 s[30:31]
.LBB5_22:
	s_trap 2
	s_sendmsg_rtn_b32 s0, sendmsg(MSG_RTN_GET_DOORBELL)
	s_mov_b32 ttmp2, m0
	s_waitcnt lgkmcnt(0)
	s_and_b32 s0, s0, 0x3ff
	s_delay_alu instid0(SALU_CYCLE_1) | instskip(NEXT) | instid1(SALU_CYCLE_1)
	s_bitset1_b32 s0, 10
	s_mov_b32 m0, s0
	s_sendmsg sendmsg(MSG_INTERRUPT)
	s_mov_b32 m0, ttmp2
.LBB5_23:                               ; =>This Inner Loop Header: Depth=1
	s_sethalt 5
	s_branch .LBB5_23
.LBB5_24:
	s_trap 2
	s_sendmsg_rtn_b32 s0, sendmsg(MSG_RTN_GET_DOORBELL)
	s_mov_b32 ttmp2, m0
	s_waitcnt lgkmcnt(0)
	s_and_b32 s0, s0, 0x3ff
	s_delay_alu instid0(SALU_CYCLE_1) | instskip(NEXT) | instid1(SALU_CYCLE_1)
	s_bitset1_b32 s0, 10
	s_mov_b32 m0, s0
	s_sendmsg sendmsg(MSG_INTERRUPT)
	s_mov_b32 m0, ttmp2
.LBB5_25:                               ; =>This Inner Loop Header: Depth=1
	s_sethalt 5
	s_branch .LBB5_25
.LBB5_26:
	s_trap 2
	s_sendmsg_rtn_b32 s0, sendmsg(MSG_RTN_GET_DOORBELL)
	s_mov_b32 ttmp2, m0
	s_waitcnt lgkmcnt(0)
	s_and_b32 s0, s0, 0x3ff
	s_delay_alu instid0(SALU_CYCLE_1) | instskip(NEXT) | instid1(SALU_CYCLE_1)
	s_bitset1_b32 s0, 10
	s_mov_b32 m0, s0
	s_sendmsg sendmsg(MSG_INTERRUPT)
	s_mov_b32 m0, ttmp2
.LBB5_27:                               ; =>This Inner Loop Header: Depth=1
	s_sethalt 5
	s_branch .LBB5_27
.LBB5_28:
	s_trap 2
	s_sendmsg_rtn_b32 s0, sendmsg(MSG_RTN_GET_DOORBELL)
	s_mov_b32 ttmp2, m0
	s_waitcnt lgkmcnt(0)
	s_and_b32 s0, s0, 0x3ff
	s_delay_alu instid0(SALU_CYCLE_1) | instskip(NEXT) | instid1(SALU_CYCLE_1)
	s_bitset1_b32 s0, 10
	s_mov_b32 m0, s0
	s_sendmsg sendmsg(MSG_INTERRUPT)
	s_mov_b32 m0, ttmp2
.LBB5_29:                               ; =>This Inner Loop Header: Depth=1
	s_sethalt 5
	s_branch .LBB5_29
.LBB5_30:
	s_trap 2
	s_sendmsg_rtn_b32 s0, sendmsg(MSG_RTN_GET_DOORBELL)
	s_mov_b32 ttmp2, m0
	s_waitcnt lgkmcnt(0)
	s_and_b32 s0, s0, 0x3ff
	s_delay_alu instid0(SALU_CYCLE_1) | instskip(NEXT) | instid1(SALU_CYCLE_1)
	s_bitset1_b32 s0, 10
	s_mov_b32 m0, s0
	s_sendmsg sendmsg(MSG_INTERRUPT)
	s_mov_b32 m0, ttmp2
.LBB5_31:                               ; =>This Inner Loop Header: Depth=1
	s_sethalt 5
	s_branch .LBB5_31
.Lfunc_end5:
	.size	_Z53ncclDevFunc_Reduce_RING_SIMPLE_PreMulSum_f8e4m3_0_0_2v, .Lfunc_end5-_Z53ncclDevFunc_Reduce_RING_SIMPLE_PreMulSum_f8e4m3_0_0_2v
                                        ; -- End function
	.section	.AMDGPU.csdata,"",@progbits
; Function info:
; codeLenInByte = 1120
; NumSgprs: 44
; NumVgprs: 184
; ScratchSize: 160
; MemoryBound: 0
	.text
	.p2align	2                               ; -- Begin function _ZN12_GLOBAL__N_17runRingI11rccl_float813FuncPreMulSumIS1_E11ProtoSimpleILi1ELi1ELi0ELi4ELi0ELi0EELi0ELi4ELi0EEEviiP15ncclDevWorkColl
	.type	_ZN12_GLOBAL__N_17runRingI11rccl_float813FuncPreMulSumIS1_E11ProtoSimpleILi1ELi1ELi0ELi4ELi0ELi0EELi0ELi4ELi0EEEviiP15ncclDevWorkColl,@function
_ZN12_GLOBAL__N_17runRingI11rccl_float813FuncPreMulSumIS1_E11ProtoSimpleILi1ELi1ELi0ELi4ELi0ELi0EELi0ELi4ELi0EEEviiP15ncclDevWorkColl: ; @_ZN12_GLOBAL__N_17runRingI11rccl_float813FuncPreMulSumIS1_E11ProtoSimpleILi1ELi1ELi0ELi4ELi0ELi0EELi0ELi4ELi0EEEviiP15ncclDevWorkColl
; %bb.0:
	s_waitcnt vmcnt(0) expcnt(0) lgkmcnt(0)
	s_mov_b32 s0, s33
	s_mov_b32 s33, s32
	s_or_saveexec_b32 s1, -1
	scratch_store_b32 off, v191, s33 offset:444 ; 4-byte Folded Spill
	s_mov_b32 exec_lo, s1
	v_writelane_b32 v191, s0, 2
	s_addk_i32 s32, 0x1d0
	s_clause 0x1f
	scratch_store_b32 off, v40, s33 offset:312
	; meta instruction
	scratch_store_b32 off, v41, s33 offset:308
	; meta instruction
	;; [unrolled: 2-line block ×31, first 2 shown]
	scratch_store_b32 off, v95, s33 offset:188
	s_clause 0x1f
	scratch_store_b32 off, v104, s33 offset:184
	; meta instruction
	scratch_store_b32 off, v105, s33 offset:180
	; meta instruction
	;; [unrolled: 2-line block ×31, first 2 shown]
	scratch_store_b32 off, v159, s33 offset:60
	s_clause 0xe
	scratch_store_b32 off, v168, s33 offset:56
	; meta instruction
	scratch_store_b32 off, v169, s33 offset:52
	; meta instruction
	;; [unrolled: 2-line block ×14, first 2 shown]
	scratch_store_b32 off, v190, s33
	v_writelane_b32 v191, s30, 0
	v_writelane_b32 v191, s31, 1
	s_cbranch_execz .LBB6_1
; %bb.12937:
	s_getpc_b64 s[34:35]
.Lpost_getpc118:
	s_add_u32 s34, s34, (.LBB6_12639-.Lpost_getpc118)&4294967295
	s_addc_u32 s35, s35, (.LBB6_12639-.Lpost_getpc118)>>32
	s_setpc_b64 s[34:35]
.LBB6_1:
	ds_load_b64 v[14:15], v0
	ds_load_b32 v9, v0
	flat_load_b64 v[6:7], v[2:3]
	s_mov_b32 s0, exec_lo
                                        ; implicit-def: $vgpr17_vgpr18
                                        ; implicit-def: $vgpr26_vgpr27
	s_waitcnt lgkmcnt(2)
	v_ashrrev_i32_e32 v5, 31, v15
	v_mov_b32_e32 v4, v15
	s_delay_alu instid0(VALU_DEP_1) | instskip(NEXT) | instid1(VALU_DEP_1)
	v_lshlrev_b64 v[4:5], 2, v[4:5]
	v_add_co_u32 v4, vcc_lo, v14, v4
	s_delay_alu instid0(VALU_DEP_2) | instskip(NEXT) | instid1(VALU_DEP_2)
	v_add_co_ci_u32_e32 v5, vcc_lo, v15, v5, vcc_lo
	v_add_co_u32 v4, vcc_lo, -4, v4
	s_delay_alu instid0(VALU_DEP_2) | instskip(SKIP_4) | instid1(VALU_DEP_1)
	v_add_co_ci_u32_e32 v5, vcc_lo, -1, v5, vcc_lo
	flat_load_u16 v16, v[2:3] offset:8
	flat_load_b32 v23, v[4:5]
                                        ; implicit-def: $vgpr4_vgpr5
	s_waitcnt vmcnt(2) lgkmcnt(2)
	v_dual_mov_b32 v15, v7 :: v_dual_and_b32 v8, 0xff, v6
	v_cmpx_ne_u32_e64 v8, v9
	s_xor_b32 s0, exec_lo, s0
	s_cbranch_execz .LBB6_2
; %bb.12939:
	s_getpc_b64 s[34:35]
.Lpost_getpc119:
	s_add_u32 s34, s34, (.LBB6_12641-.Lpost_getpc119)&4294967295
	s_addc_u32 s35, s35, (.LBB6_12641-.Lpost_getpc119)>>32
	s_setpc_b64 s[34:35]
.LBB6_2:
	s_and_not1_saveexec_b32 s0, s0
	s_cbranch_execz .LBB6_3
; %bb.12941:
	s_getpc_b64 s[34:35]
.Lpost_getpc120:
	s_add_u32 s34, s34, (.LBB6_12646-.Lpost_getpc120)&4294967295
	s_addc_u32 s35, s35, (.LBB6_12646-.Lpost_getpc120)>>32
	s_setpc_b64 s[34:35]
.LBB6_3:
	s_or_b32 exec_lo, exec_lo, s0
	s_cbranch_execz .LBB6_4
; %bb.12943:
	s_getpc_b64 s[34:35]
.Lpost_getpc121:
	s_add_u32 s34, s34, (.LBB6_12647-.Lpost_getpc121)&4294967295
	s_addc_u32 s35, s35, (.LBB6_12647-.Lpost_getpc121)>>32
	s_setpc_b64 s[34:35]
.LBB6_4:
	ds_load_b64 v[6:7], v0
	s_mov_b32 s1, exec_lo
	s_waitcnt lgkmcnt(0)
	v_cmp_ne_u32_e32 vcc_lo, -1, v6
	v_cndmask_b32_e64 v22, 0, 1, vcc_lo
	v_cmp_ne_u32_e32 vcc_lo, -1, v7
	s_delay_alu instid0(VALU_DEP_2) | instskip(NEXT) | instid1(VALU_DEP_1)
	v_add_co_ci_u32_e64 v6, s0, 0, v22, vcc_lo
	v_lshlrev_b32_e32 v7, 1, v6
	s_delay_alu instid0(VALU_DEP_1)
	v_cmpx_le_i32_e64 v7, v1
	s_xor_b32 s13, exec_lo, s1
	s_cbranch_execnz .LBB6_5
; %bb.12945:
	s_getpc_b64 s[34:35]
.Lpost_getpc122:
	s_add_u32 s34, s34, (.LBB6_12860-.Lpost_getpc122)&4294967295
	s_addc_u32 s35, s35, (.LBB6_12860-.Lpost_getpc122)>>32
	s_setpc_b64 s[34:35]
.LBB6_5:
	s_clause 0x1
	flat_load_b128 v[10:13], v[2:3] offset:16
	flat_load_b64 v[18:19], v[2:3] offset:104
	s_cbranch_execz .LBB6_6
; %bb.12947:
	s_getpc_b64 s[34:35]
.Lpost_getpc123:
	s_add_u32 s34, s34, (.LBB6_12649-.Lpost_getpc123)&4294967295
	s_addc_u32 s35, s35, (.LBB6_12649-.Lpost_getpc123)>>32
	s_setpc_b64 s[34:35]
.LBB6_6:
	s_load_b32 s0, s[8:9], 0x0
	v_mov_b32_e32 v2, 0
	v_mov_b32_e32 v30, 4
	s_waitcnt lgkmcnt(0)
	s_cmp_lt_u32 s12, s0
	s_cselect_b32 s0, 12, 18
	s_delay_alu instid0(SALU_CYCLE_1)
	s_add_u32 s0, s8, s0
	s_addc_u32 s1, s9, 0
	global_load_u16 v24, v2, s[0:1]
	ds_load_b32 v2, v0
	s_mov_b32 s1, exec_lo
	s_waitcnt lgkmcnt(0)
	v_readfirstlane_b32 s14, v2
	v_cmpx_ge_i32_e64 v0, v22
	s_cbranch_execz .LBB6_16
; %bb.7:
	v_cmp_le_u32_e64 s0, v6, v0
                                        ; implicit-def: $vgpr30
	s_delay_alu instid0(VALU_DEP_1) | instskip(NEXT) | instid1(SALU_CYCLE_1)
	s_and_saveexec_b32 s2, s0
	s_xor_b32 s0, exec_lo, s2
	s_cbranch_execz .LBB6_13
; %bb.8:
	v_cndmask_b32_e64 v2, 0, 1, vcc_lo
	s_mov_b32 s2, exec_lo
                                        ; implicit-def: $sgpr3
	s_delay_alu instid0(VALU_DEP_1) | instskip(NEXT) | instid1(VALU_DEP_1)
	v_sub_nc_u32_e32 v2, v1, v2
	v_cmpx_ge_u32_e64 v0, v2
	s_xor_b32 s2, exec_lo, s2
; %bb.9:
	s_mov_b32 s3, 16
                                        ; implicit-def: $vgpr6
; %bb.10:
	s_or_saveexec_b32 s2, s2
	v_mov_b32_e32 v30, s3
	s_xor_b32 exec_lo, exec_lo, s2
; %bb.11:
	v_sub_nc_u32_e32 v2, v1, v6
	s_delay_alu instid0(VALU_DEP_1) | instskip(SKIP_1) | instid1(VALU_DEP_1)
	v_cmp_ge_i32_e32 vcc_lo, v0, v2
	v_cndmask_b32_e64 v2, 0, 1, vcc_lo
	v_lshlrev_b32_e32 v30, 5, v2
; %bb.12:
	s_or_b32 exec_lo, exec_lo, s2
.LBB6_13:
	s_and_not1_saveexec_b32 s0, s0
; %bb.14:
	v_mov_b32_e32 v30, 8
; %bb.15:
	s_or_b32 exec_lo, exec_lo, s0
.LBB6_16:
	s_delay_alu instid0(SALU_CYCLE_1) | instskip(NEXT) | instid1(VALU_DEP_1)
	s_or_b32 exec_lo, exec_lo, s1
	v_and_b32_e32 v2, 36, v30
	v_mov_b32_e32 v20, -1
	s_delay_alu instid0(VALU_DEP_2)
	v_cmp_ne_u32_e32 vcc_lo, 0, v2
	s_and_saveexec_b32 s0, vcc_lo
	s_cbranch_execz .LBB6_19
; %bb.17:
	s_cbranch_execz .LBB6_18
; %bb.12949:
	s_getpc_b64 s[34:35]
.Lpost_getpc124:
	s_add_u32 s34, s34, (.LBB6_12651-.Lpost_getpc124)&4294967295
	s_addc_u32 s35, s35, (.LBB6_12651-.Lpost_getpc124)>>32
	s_setpc_b64 s[34:35]
.LBB6_18:
	ds_load_b32 v20, v0
.LBB6_19:
	s_or_b32 exec_lo, exec_lo, s0
	v_and_b32_e32 v2, 24, v30
	s_mov_b32 s1, exec_lo
	s_delay_alu instid0(VALU_DEP_1)
	v_cmpx_ne_u32_e32 0, v2
	s_cbranch_execz .LBB6_22
; %bb.20:
	s_cbranch_execz .LBB6_21
; %bb.12951:
	s_getpc_b64 s[34:35]
.Lpost_getpc125:
	s_add_u32 s34, s34, (.LBB6_12653-.Lpost_getpc125)&4294967295
	s_addc_u32 s35, s35, (.LBB6_12653-.Lpost_getpc125)>>32
	s_setpc_b64 s[34:35]
.LBB6_21:
	s_waitcnt lgkmcnt(0)
	ds_load_b32 v20, v0
.LBB6_22:
	s_or_b32 exec_lo, exec_lo, s1
	s_waitcnt vmcnt(4)
	v_lshrrev_b64 v[2:3], 31, v[15:16]
	v_mov_b32_e32 v28, 0
	v_mov_b32_e32 v29, 0
                                        ; implicit-def: $vgpr81
                                        ; implicit-def: $vgpr36_vgpr37
                                        ; implicit-def: $vgpr34_vgpr35
                                        ; implicit-def: $vgpr32_vgpr33
	s_delay_alu instid0(VALU_DEP_3) | instskip(NEXT) | instid1(VALU_DEP_2)
	v_and_b32_e32 v16, 3, v2
	v_dual_mov_b32 v6, v28 :: v_dual_mov_b32 v7, v29
                                        ; implicit-def: $vgpr2_vgpr3
	s_and_saveexec_b32 s0, vcc_lo
	s_cbranch_execz .LBB6_35
; %bb.23:
	s_cbranch_execz .LBB6_24
; %bb.12953:
	s_getpc_b64 s[34:35]
.Lpost_getpc126:
	s_add_u32 s34, s34, (.LBB6_12655-.Lpost_getpc126)&4294967295
	s_addc_u32 s35, s35, (.LBB6_12655-.Lpost_getpc126)>>32
	s_setpc_b64 s[34:35]
.LBB6_24:
	ds_load_b64 v[2:3], v0
	s_waitcnt lgkmcnt(1)
	v_ashrrev_i32_e32 v21, 31, v20
	v_and_b32_e32 v8, 0xffff, v16
	s_delay_alu instid0(VALU_DEP_2) | instskip(SKIP_1) | instid1(VALU_DEP_1)
	v_lshlrev_b64 v[6:7], 3, v[20:21]
	s_waitcnt lgkmcnt(0)
	v_add_co_u32 v2, vcc_lo, v2, v6
	s_delay_alu instid0(VALU_DEP_2)
	v_add_co_ci_u32_e32 v3, vcc_lo, v3, v7, vcc_lo
	flat_load_b64 v[2:3], v[2:3]
	s_waitcnt vmcnt(0) lgkmcnt(0)
	v_mad_u64_u32 v[6:7], null, 0xa8, v8, v[2:3]
	flat_load_b32 v2, v[6:7] offset:640
	v_add_co_u32 v28, vcc_lo, 0x1f8, v6
	v_add_co_ci_u32_e32 v29, vcc_lo, 0, v7, vcc_lo
	s_waitcnt vmcnt(0) lgkmcnt(0)
	v_cmp_eq_u32_e32 vcc_lo, 1, v2
                                        ; implicit-def: $vgpr2_vgpr3
	s_and_saveexec_b32 s1, vcc_lo
	s_cbranch_execz .LBB6_27
; %bb.25:
	flat_load_b64 v[2:3], v[28:29] offset:144
	s_waitcnt vmcnt(0) lgkmcnt(0)
	flat_load_b64 v[6:7], v[2:3]
	s_cbranch_execz .LBB6_26
; %bb.12955:
	s_getpc_b64 s[34:35]
.Lpost_getpc127:
	s_add_u32 s34, s34, (.LBB6_12661-.Lpost_getpc127)&4294967295
	s_addc_u32 s35, s35, (.LBB6_12661-.Lpost_getpc127)>>32
	s_setpc_b64 s[34:35]
.LBB6_26:
	s_waitcnt vmcnt(0) lgkmcnt(0)
	ds_store_b64 v0, v[6:7]
	flat_load_b64 v[6:7], v[2:3] offset:8
	v_or_b32_e32 v30, 0x2000, v30
	s_waitcnt vmcnt(0) lgkmcnt(0)
	ds_store_b64 v0, v[6:7]
	flat_load_b64 v[6:7], v[2:3] offset:16
	s_waitcnt vmcnt(0) lgkmcnt(0)
	ds_store_b64 v0, v[6:7]
.LBB6_27:
	s_or_b32 exec_lo, exec_lo, s1
	flat_load_b64 v[8:9], v[28:29] offset:104
	v_and_b32_e32 v6, 32, v30
	s_mov_b32 s1, exec_lo
                                        ; implicit-def: $vgpr32_vgpr33
	s_delay_alu instid0(VALU_DEP_1)
	v_cmpx_ne_u32_e32 0, v6
	s_cbranch_execz .LBB6_29
; %bb.28:
	flat_load_b64 v[32:33], v[28:29] offset:56
	s_waitcnt vmcnt(0) lgkmcnt(0)
	s_waitcnt_vscnt null, 0x0
	flat_store_b64 v[32:33], v[8:9]
.LBB6_29:
	s_or_b32 exec_lo, exec_lo, s1
	v_dual_mov_b32 v6, 0 :: v_dual_and_b32 v21, 4, v30
	v_mov_b32_e32 v7, 0
	s_mov_b32 s1, exec_lo
                                        ; implicit-def: $vgpr81
                                        ; implicit-def: $vgpr36_vgpr37
                                        ; implicit-def: $vgpr34_vgpr35
	s_delay_alu instid0(VALU_DEP_2)
	v_cmpx_ne_u32_e32 0, v21
	s_cbranch_execz .LBB6_34
; %bb.30:
	v_and_b32_e32 v6, 0x800, v30
	s_mov_b32 s2, exec_lo
	s_delay_alu instid0(VALU_DEP_1)
	v_cmpx_eq_u32_e32 0, v6
	s_cbranch_execz .LBB6_33
; %bb.31:
	s_cbranch_execz .LBB6_32
; %bb.12957:
	s_getpc_b64 s[34:35]
.Lpost_getpc128:
	s_add_u32 s34, s34, (.LBB6_12665-.Lpost_getpc128)&4294967295
	s_addc_u32 s35, s35, (.LBB6_12665-.Lpost_getpc128)>>32
	s_setpc_b64 s[34:35]
.LBB6_32:
	ds_store_b64 v0, v[28:29]
.LBB6_33:
	s_or_b32 exec_lo, exec_lo, s2
	flat_load_b64 v[32:33], v[28:29] offset:48
	v_or_b32_e32 v21, 0x100, v30
	s_waitcnt vmcnt(0) lgkmcnt(0)
	flat_load_b64 v[36:37], v[32:33] glc
	s_clause 0x2
	flat_load_b64 v[6:7], v[28:29] offset:96
	flat_load_b32 v81, v[28:29] offset:72
	flat_load_b64 v[34:35], v[28:29] offset:16
	s_waitcnt vmcnt(2) lgkmcnt(2)
	v_cmp_eq_u64_e32 vcc_lo, 0, v[6:7]
	v_cndmask_b32_e32 v30, v21, v30, vcc_lo
.LBB6_34:
	s_or_b32 exec_lo, exec_lo, s1
.LBB6_35:
	s_delay_alu instid0(SALU_CYCLE_1) | instskip(NEXT) | instid1(VALU_DEP_1)
	s_or_b32 exec_lo, exec_lo, s0
	v_and_b32_e32 v21, 24, v30
	s_mov_b32 s0, exec_lo
                                        ; implicit-def: $vgpr50_vgpr51
	s_delay_alu instid0(VALU_DEP_1)
	v_cmpx_ne_u32_e32 0, v21
	s_cbranch_execz .LBB6_45
; %bb.36:
	s_cbranch_execz .LBB6_37
; %bb.12959:
	s_getpc_b64 s[34:35]
.Lpost_getpc129:
	s_add_u32 s34, s34, (.LBB6_12657-.Lpost_getpc129)&4294967295
	s_addc_u32 s35, s35, (.LBB6_12657-.Lpost_getpc129)>>32
	s_setpc_b64 s[34:35]
.LBB6_37:
	ds_load_b64 v[6:7], v0
	s_waitcnt lgkmcnt(1)
	v_ashrrev_i32_e32 v21, 31, v20
	s_mov_b32 s1, exec_lo
                                        ; implicit-def: $vgpr50_vgpr51
	s_waitcnt vmcnt(0)
	s_delay_alu instid0(VALU_DEP_1) | instskip(SKIP_1) | instid1(VALU_DEP_1)
	v_lshlrev_b64 v[8:9], 3, v[20:21]
	s_waitcnt lgkmcnt(0)
	v_add_co_u32 v6, vcc_lo, v6, v8
	s_delay_alu instid0(VALU_DEP_2)
	v_add_co_ci_u32_e32 v7, vcc_lo, v7, v9, vcc_lo
	v_and_b32_e32 v8, 0xffff, v16
	v_or_b32_e32 v16, 0x100, v30
	flat_load_b64 v[6:7], v[6:7]
	s_waitcnt vmcnt(0) lgkmcnt(0)
	v_mad_u64_u32 v[28:29], null, 0xa8, v8, v[6:7]
	flat_load_b128 v[6:9], v[28:29] offset:96
	s_waitcnt vmcnt(0) lgkmcnt(0)
	v_cmp_eq_u64_e32 vcc_lo, 0, v[6:7]
	v_cndmask_b32_e32 v30, v16, v30, vcc_lo
	s_delay_alu instid0(VALU_DEP_1) | instskip(NEXT) | instid1(VALU_DEP_1)
	v_and_b32_e32 v16, 16, v30
	v_cmpx_ne_u32_e32 0, v16
; %bb.38:
	s_clause 0x2
	flat_load_b64 v[50:51], v[28:29] offset:120
	flat_load_b64 v[32:33], v[28:29] offset:48
	;; [unrolled: 1-line block ×3, first 2 shown]
; %bb.39:
	s_or_b32 exec_lo, exec_lo, s1
	v_and_b32_e32 v16, 8, v30
	s_mov_b32 s1, exec_lo
	s_delay_alu instid0(VALU_DEP_1)
	v_cmpx_ne_u32_e32 0, v16
	s_cbranch_execz .LBB6_44
; %bb.40:
	v_and_b32_e32 v16, 0x800, v30
	s_mov_b32 s2, exec_lo
	s_delay_alu instid0(VALU_DEP_1)
	v_cmpx_eq_u32_e32 0, v16
	s_cbranch_execz .LBB6_43
; %bb.41:
	s_cbranch_execz .LBB6_42
; %bb.12961:
	s_getpc_b64 s[34:35]
.Lpost_getpc130:
	s_add_u32 s34, s34, (.LBB6_12682-.Lpost_getpc130)&4294967295
	s_addc_u32 s35, s35, (.LBB6_12682-.Lpost_getpc130)>>32
	s_setpc_b64 s[34:35]
.LBB6_42:
	ds_store_b64 v0, v[28:29]
.LBB6_43:
	s_or_b32 exec_lo, exec_lo, s2
	s_waitcnt vmcnt(1) lgkmcnt(1)
	flat_load_b64 v[32:33], v[28:29] offset:56
	s_waitcnt vmcnt(0) lgkmcnt(0)
	flat_load_b64 v[36:37], v[32:33] glc
	s_clause 0x1
	flat_load_b32 v81, v[28:29] offset:72
	flat_load_b64 v[34:35], v[28:29] offset:16
.LBB6_44:
	s_or_b32 exec_lo, exec_lo, s1
.LBB6_45:
	s_delay_alu instid0(SALU_CYCLE_1) | instskip(SKIP_1) | instid1(VALU_DEP_1)
	s_or_b32 exec_lo, exec_lo, s0
	v_cmp_eq_u32_e64 s0, 0, v0
	s_and_saveexec_b32 s1, s0
	s_cbranch_execz .LBB6_48
; %bb.46:
	s_waitcnt vmcnt(2)
	ds_store_2addr_b64 v0, v[12:13], v[10:11] offset1:1
	s_cbranch_execz .LBB6_47
; %bb.12963:
	s_getpc_b64 s[34:35]
.Lpost_getpc131:
	s_add_u32 s34, s34, (.LBB6_12659-.Lpost_getpc131)&4294967295
	s_addc_u32 s35, s35, (.LBB6_12659-.Lpost_getpc131)>>32
	s_setpc_b64 s[34:35]
.LBB6_47:
	v_mov_b32_e32 v10, 0
	s_delay_alu instid0(VALU_DEP_1)
	v_mov_b32_e32 v11, v10
	ds_store_b64 v0, v[10:11]
	s_waitcnt vmcnt(1)
	ds_store_b64 v0, v[18:19]
.LBB6_48:
	s_or_b32 exec_lo, exec_lo, s1
	s_waitcnt vmcnt(2)
	v_bfe_u32 v10, v15, 1, 30
	v_dual_mov_b32 v49, 0 :: v_dual_and_b32 v48, 0x3ffffe00, v17
	s_waitcnt vmcnt(0)
	v_and_b32_e32 v80, 0xffff, v24
                                        ; implicit-def: $vgpr38_vgpr39
	s_mov_b32 s1, exec_lo
	v_cmpx_ne_u32_e64 v23, v10
	s_xor_b32 s15, exec_lo, s1
	s_cbranch_execnz .LBB6_49
; %bb.12965:
	s_getpc_b64 s[34:35]
.Lpost_getpc132:
	s_add_u32 s34, s34, (.LBB6_9566-.Lpost_getpc132)&4294967295
	s_addc_u32 s35, s35, (.LBB6_9566-.Lpost_getpc132)>>32
	s_setpc_b64 s[34:35]
.LBB6_49:
	v_cmp_ne_u64_e64 s1, 0, v[4:5]
                                        ; implicit-def: $vgpr38_vgpr39
	s_mov_b32 s2, exec_lo
	v_cmpx_ne_u32_e64 v14, v10
	s_xor_b32 s16, exec_lo, s2
	s_cbranch_execnz .LBB6_50
; %bb.12967:
	s_getpc_b64 s[34:35]
.Lpost_getpc133:
	s_add_u32 s34, s34, (.LBB6_4813-.Lpost_getpc133)&4294967295
	s_addc_u32 s35, s35, (.LBB6_4813-.Lpost_getpc133)>>32
	s_setpc_b64 s[34:35]
.LBB6_50:
	v_mov_b32_e32 v38, 0
	v_mov_b32_e32 v39, 0
	s_and_saveexec_b32 s17, s1
	s_cbranch_execnz .LBB6_51
; %bb.12969:
	s_getpc_b64 s[34:35]
.Lpost_getpc134:
	s_add_u32 s34, s34, (.LBB6_4812-.Lpost_getpc134)&4294967295
	s_addc_u32 s35, s35, (.LBB6_4812-.Lpost_getpc134)>>32
	s_setpc_b64 s[34:35]
.LBB6_51:
	v_cmp_ge_i32_e64 s2, v0, v1
	s_cbranch_execz .LBB6_52
; %bb.12971:
	s_getpc_b64 s[34:35]
.Lpost_getpc135:
	s_add_u32 s34, s34, (.LBB6_12680-.Lpost_getpc135)&4294967295
	s_addc_u32 s35, s35, (.LBB6_12680-.Lpost_getpc135)>>32
	s_setpc_b64 s[34:35]
.LBB6_52:
	v_ashrrev_i32_e32 v10, 31, v0
	v_lshrrev_b32_e32 v83, 5, v1
	v_dual_mov_b32 v54, 0 :: v_dual_and_b32 v11, 31, v31
	s_ashr_i32 s5, s14, 31
	s_delay_alu instid0(VALU_DEP_3)
	v_lshrrev_b32_e32 v10, 27, v10
	s_lshr_b32 s5, s5, 24
	v_and_b32_e32 v101, 0xffffffe0, v1
	s_add_i32 s11, s14, s5
	v_cmp_eq_u32_e64 s5, 0, v11
	v_dual_mov_b32 v53, 0 :: v_dual_add_nc_u32 v10, v0, v10
	v_cmp_eq_u32_e32 vcc_lo, 32, v1
	s_waitcnt lgkmcnt(1)
	v_ashrrev_i32_e32 v82, 31, v81
	v_cmp_ne_u32_e64 s3, 32, v1
	v_dual_mov_b32 v55, 0 :: v_dual_and_b32 v12, 0xffffffe0, v10
	v_ashrrev_i32_e32 v84, 5, v10
	v_lshl_add_u32 v10, v83, 11, 0xfffff800
	v_dual_mov_b32 v38, v54 :: v_dual_lshlrev_b32 v85, 9, v83
	s_delay_alu instid0(VALU_DEP_4) | instskip(NEXT) | instid1(VALU_DEP_4)
	v_sub_nc_u32_e32 v86, v0, v12
	v_dual_mov_b32 v113, 1 :: v_dual_lshlrev_b32 v12, 11, v84
	s_delay_alu instid0(VALU_DEP_4) | instskip(NEXT) | instid1(VALU_DEP_4)
	v_ashrrev_i32_e32 v11, 31, v10
	v_add_nc_u32_e32 v13, 0xfffffe00, v85
	v_add_co_u32 v96, s6, 0x800, v10
	s_delay_alu instid0(VALU_DEP_4) | instskip(NEXT) | instid1(VALU_DEP_4)
	v_lshl_add_u32 v87, v86, 4, v12
	v_add_co_ci_u32_e64 v97, s6, 0, v11, s6
	s_delay_alu instid0(VALU_DEP_4) | instskip(SKIP_3) | instid1(VALU_DEP_4)
	v_ashrrev_i32_e32 v10, 31, v13
	v_lshl_add_u32 v11, v83, 10, 0xfffffc00
	v_add_co_u32 v99, s10, 0x200, v13
	v_cmp_ne_u32_e64 s4, v80, v1
	v_add_co_ci_u32_e64 v100, s10, 0, v10, s10
	s_delay_alu instid0(VALU_DEP_4) | instskip(SKIP_3) | instid1(VALU_DEP_4)
	v_ashrrev_i32_e32 v10, 31, v11
	v_add_co_u32 v102, s10, 0x400, v11
	v_cmp_le_i32_e64 s6, v86, v22
	v_cmp_lt_i32_e64 s7, v86, v22
	v_add_co_ci_u32_e64 v103, s10, 0, v10, s10
	v_cmp_eq_u64_e64 s10, 0, v[50:51]
	v_ashrrev_i32_e32 v98, 31, v87
	v_ashrrev_i32_e32 v112, 31, v101
	v_mov_b32_e32 v39, v55
	s_ashr_i32 s19, s11, 8
	s_mov_b32 s18, 0
	s_xor_b32 s20, vcc_lo, -1
.LBB6_53:                               ; =>This Loop Header: Depth=1
                                        ;     Child Loop BB6_63 Depth 2
                                        ;     Child Loop BB6_93 Depth 2
	;; [unrolled: 1-line block ×10, first 2 shown]
	v_sub_co_u32 v10, vcc_lo, v4, v54
	v_sub_co_ci_u32_e32 v11, vcc_lo, v5, v55, vcc_lo
	v_mov_b32_e32 v12, 0
	s_delay_alu instid0(VALU_DEP_2) | instskip(SKIP_2) | instid1(VALU_DEP_2)
	v_cmp_lt_u64_e32 vcc_lo, v[48:49], v[10:11]
	v_cndmask_b32_e32 v64, v10, v48, vcc_lo
	v_cndmask_b32_e64 v65, v11, 0, vcc_lo
	v_add_nc_u32_e32 v10, 15, v64
	s_delay_alu instid0(VALU_DEP_2) | instskip(NEXT) | instid1(VALU_DEP_2)
	v_cmp_eq_u64_e32 vcc_lo, 0, v[64:65]
	v_and_b32_e32 v10, 0x7ffffff0, v10
	s_or_b32 s21, s2, vcc_lo
	s_delay_alu instid0(SALU_CYCLE_1) | instskip(NEXT) | instid1(VALU_DEP_1)
	s_xor_b32 s11, s21, -1
	v_max_i32_e32 v65, s19, v10
	s_and_saveexec_b32 s22, s11
	s_cbranch_execnz .LBB6_54
; %bb.12973:                            ;   in Loop: Header=BB6_53 Depth=1
	s_getpc_b64 s[34:35]
.Lpost_getpc136:
	s_add_u32 s34, s34, (.LBB6_4750-.Lpost_getpc136)&4294967295
	s_addc_u32 s35, s35, (.LBB6_4750-.Lpost_getpc136)>>32
	s_setpc_b64 s[34:35]
.LBB6_54:                               ;   in Loop: Header=BB6_53 Depth=1
	s_and_saveexec_b32 s11, s0
	s_cbranch_execz .LBB6_57
; %bb.55:                               ;   in Loop: Header=BB6_53 Depth=1
	s_cbranch_execz .LBB6_56
; %bb.12975:
	s_getpc_b64 s[34:35]
.Lpost_getpc137:
	s_add_u32 s34, s34, (.LBB6_12708-.Lpost_getpc137)&4294967295
	s_addc_u32 s35, s35, (.LBB6_12708-.Lpost_getpc137)>>32
	s_setpc_b64 s[34:35]
.LBB6_56:                               ;   in Loop: Header=BB6_53 Depth=1
	ds_load_b64 v[10:11], v0
	v_mov_b32_e32 v52, v53
	s_waitcnt lgkmcnt(0)
	v_add_co_u32 v10, vcc_lo, v10, v26
	v_add_co_ci_u32_e32 v11, vcc_lo, v11, v27, vcc_lo
	s_delay_alu instid0(VALU_DEP_2) | instskip(NEXT) | instid1(VALU_DEP_2)
	v_add_co_u32 v10, vcc_lo, v10, v54
	v_add_co_ci_u32_e32 v11, vcc_lo, v11, v55, vcc_lo
	ds_store_b64 v0, v[10:11]
	ds_store_b64 v0, v[52:53]
.LBB6_57:                               ;   in Loop: Header=BB6_53 Depth=1
	s_or_b32 exec_lo, exec_lo, s11
	v_and_b32_e32 v10, 12, v30
	s_mov_b32 s12, -1
	s_mov_b32 s11, exec_lo
	s_delay_alu instid0(VALU_DEP_1)
	v_cmpx_ne_u32_e32 0, v10
	s_cbranch_execz .LBB6_71
; %bb.58:                               ;   in Loop: Header=BB6_53 Depth=1
	v_and_b32_e32 v12, 8, v30
	s_delay_alu instid0(VALU_DEP_1) | instskip(SKIP_4) | instid1(VALU_DEP_1)
	v_add_co_u32 v13, vcc_lo, v36, v12
	v_add_co_ci_u32_e32 v14, vcc_lo, 0, v37, vcc_lo
	s_waitcnt lgkmcnt(0)
	v_add_co_u32 v10, vcc_lo, v8, 1
	v_add_co_ci_u32_e32 v11, vcc_lo, 0, v9, vcc_lo
	v_cmp_lt_u64_e32 vcc_lo, v[13:14], v[10:11]
	v_mov_b32_e32 v13, 1
	s_and_saveexec_b32 s12, vcc_lo
	s_cbranch_execz .LBB6_70
; %bb.59:                               ;   in Loop: Header=BB6_53 Depth=1
	v_mov_b32_e32 v13, 0
	s_mov_b32 s23, 0
                                        ; implicit-def: $sgpr24
	s_branch .LBB6_63
.LBB6_60:                               ;   in Loop: Header=BB6_63 Depth=2
	s_or_b32 exec_lo, exec_lo, s28
	v_mov_b32_e32 v14, 0
	s_or_not1_b32 s27, s27, exec_lo
.LBB6_61:                               ;   in Loop: Header=BB6_63 Depth=2
	s_or_b32 exec_lo, exec_lo, s26
	s_delay_alu instid0(VALU_DEP_1) | instskip(SKIP_2) | instid1(SALU_CYCLE_1)
	v_mov_b32_e32 v13, v14
	s_and_not1_b32 s24, s24, exec_lo
	s_and_b32 s26, s27, exec_lo
	s_or_b32 s24, s24, s26
.LBB6_62:                               ;   in Loop: Header=BB6_63 Depth=2
	s_or_b32 exec_lo, exec_lo, s25
	s_waitcnt vmcnt(0) lgkmcnt(0)
	v_add_co_u32 v14, vcc_lo, v36, v12
	v_add_co_ci_u32_e32 v15, vcc_lo, 0, v37, vcc_lo
	s_xor_b32 s25, s24, -1
	s_delay_alu instid0(VALU_DEP_1) | instskip(SKIP_1) | instid1(SALU_CYCLE_1)
	v_cmp_ge_u64_e32 vcc_lo, v[14:15], v[10:11]
	s_or_b32 s25, s25, vcc_lo
	s_and_b32 s25, exec_lo, s25
	s_delay_alu instid0(SALU_CYCLE_1) | instskip(NEXT) | instid1(SALU_CYCLE_1)
	s_or_b32 s23, s25, s23
	s_and_not1_b32 exec_lo, exec_lo, s23
	s_cbranch_execz .LBB6_69
.LBB6_63:                               ;   Parent Loop BB6_53 Depth=1
                                        ; =>  This Inner Loop Header: Depth=2
	s_sleep 1
	flat_load_b64 v[36:37], v[32:33] glc
	v_and_b32_e32 v14, 64, v30
	s_and_not1_b32 s24, s24, exec_lo
	s_mov_b32 s25, exec_lo
	s_delay_alu instid0(VALU_DEP_1)
	v_cmpx_eq_u32_e32 0, v14
	s_cbranch_execz .LBB6_62
; %bb.64:                               ;   in Loop: Header=BB6_63 Depth=2
	v_add_nc_u32_e32 v14, 1, v13
	s_mov_b32 s27, -1
	s_mov_b32 s26, exec_lo
	v_cmpx_lt_i32_e32 0x270e, v13
	s_cbranch_execz .LBB6_61
; %bb.65:                               ;   in Loop: Header=BB6_63 Depth=2
	s_cbranch_execz .LBB6_66
; %bb.12977:
	s_getpc_b64 s[34:35]
.Lpost_getpc138:
	s_add_u32 s34, s34, (.LBB6_12730-.Lpost_getpc138)&4294967295
	s_addc_u32 s35, s35, (.LBB6_12730-.Lpost_getpc138)>>32
	s_setpc_b64 s[34:35]
.LBB6_66:                               ;   in Loop: Header=BB6_63 Depth=2
	ds_load_b64 v[13:14], v0
	s_mov_b32 s28, exec_lo
	s_waitcnt vmcnt(0) lgkmcnt(0)
	s_waitcnt_vscnt null, 0x0
	flat_load_b32 v13, v[13:14] glc
	s_waitcnt vmcnt(0) lgkmcnt(0)
	buffer_gl1_inv
	buffer_gl0_inv
	v_cmpx_ne_u32_e32 0, v13
	s_cbranch_execz .LBB6_60
; %bb.67:                               ;   in Loop: Header=BB6_63 Depth=2
	ds_store_b32 v0, v13
	s_cbranch_execz .LBB6_68
; %bb.12979:
	s_getpc_b64 s[34:35]
.Lpost_getpc139:
	s_add_u32 s34, s34, (.LBB6_12763-.Lpost_getpc139)&4294967295
	s_addc_u32 s35, s35, (.LBB6_12763-.Lpost_getpc139)>>32
	s_setpc_b64 s[34:35]
.LBB6_68:                               ;   in Loop: Header=BB6_63 Depth=2
	v_or_b32_e32 v30, 64, v30
	s_xor_b32 s27, exec_lo, -1
	s_branch .LBB6_60
.LBB6_69:                               ;   in Loop: Header=BB6_53 Depth=1
	s_or_b32 exec_lo, exec_lo, s23
	v_and_b32_e32 v13, 12, v30
.LBB6_70:                               ;   in Loop: Header=BB6_53 Depth=1
	s_or_b32 exec_lo, exec_lo, s12
	s_delay_alu instid0(VALU_DEP_1)
	v_cmp_eq_u32_e32 vcc_lo, 0, v13
	;;#ASMSTART
	s_wakeup
	;;#ASMEND
	s_or_not1_b32 s12, vcc_lo, exec_lo
.LBB6_71:                               ;   in Loop: Header=BB6_53 Depth=1
	s_or_b32 exec_lo, exec_lo, s11
	v_min_u32_e32 v65, v65, v64
	s_xor_b32 s11, s12, -1
	s_delay_alu instid0(SALU_CYCLE_1)
	s_and_saveexec_b32 s12, s11
	s_cbranch_execz .LBB6_84
; %bb.72:                               ;   in Loop: Header=BB6_53 Depth=1
	v_and_b32_e32 v10, 0x108, v30
	s_waitcnt lgkmcnt(0)
	v_and_b32_e32 v14, 7, v8
	s_mov_b32 s11, exec_lo
	s_delay_alu instid0(VALU_DEP_2) | instskip(SKIP_1) | instid1(SALU_CYCLE_1)
	v_cmpx_ne_u32_e32 0x108, v10
	s_xor_b32 s11, exec_lo, s11
	s_and_not1_saveexec_b32 s11, s11
	s_cbranch_execz .LBB6_74
; %bb.73:                               ;   in Loop: Header=BB6_53 Depth=1
	v_mad_u64_u32 v[10:11], null, v14, 24, v[6:7]
	v_mov_b32_e32 v66, v53
	flat_store_b64 v[10:11], v[65:66] offset:8
.LBB6_74:                               ;   in Loop: Header=BB6_53 Depth=1
	s_or_b32 exec_lo, exec_lo, s11
	v_and_b32_e32 v10, 0x100, v30
	s_mov_b32 s11, -1
	s_delay_alu instid0(VALU_DEP_1)
	v_cmp_ne_u32_e32 vcc_lo, 0, v10
                                        ; implicit-def: $vgpr10_vgpr11
	s_and_saveexec_b32 s23, vcc_lo
	s_cbranch_execnz .LBB6_77
; %bb.75:                               ;   in Loop: Header=BB6_53 Depth=1
	s_or_b32 exec_lo, exec_lo, s23
	s_and_saveexec_b32 s23, s11
	s_cbranch_execnz .LBB6_80
.LBB6_76:                               ;   in Loop: Header=BB6_53 Depth=1
	s_or_b32 exec_lo, exec_lo, s23
	s_cbranch_execz .LBB6_81
; %bb.12981:
	s_getpc_b64 s[34:35]
.Lpost_getpc140:
	s_add_u32 s34, s34, (.LBB6_12724-.Lpost_getpc140)&4294967295
	s_addc_u32 s35, s35, (.LBB6_12724-.Lpost_getpc140)>>32
	s_setpc_b64 s[34:35]
.LBB6_77:                               ;   in Loop: Header=BB6_53 Depth=1
	v_mad_u64_u32 v[12:13], null, v14, 24, v[6:7]
	s_delay_alu instid0(VALU_DEP_1) | instskip(NEXT) | instid1(VALU_DEP_1)
	v_mov_b32_e32 v10, v13
	v_mad_u64_u32 v[15:16], null, v53, 24, v[10:11]
	s_delay_alu instid0(VALU_DEP_1) | instskip(SKIP_4) | instid1(VALU_DEP_1)
	v_mov_b32_e32 v13, v15
	flat_load_b32 v10, v[12:13]
	s_waitcnt vmcnt(0) lgkmcnt(0)
	v_cmp_ne_u32_e32 vcc_lo, 1, v10
	v_cmp_eq_u32_e64 s11, 1, v10
                                        ; implicit-def: $vgpr10_vgpr11
	s_and_saveexec_b32 s24, s11
	s_cbranch_execz .LBB6_79
; %bb.78:                               ;   in Loop: Header=BB6_53 Depth=1
	flat_load_b32 v10, v[12:13] offset:4 glc
	s_waitcnt vmcnt(0) lgkmcnt(0)
	v_ashrrev_i32_e32 v11, 31, v10
.LBB6_79:                               ;   in Loop: Header=BB6_53 Depth=1
	s_or_b32 exec_lo, exec_lo, s24
	s_delay_alu instid0(SALU_CYCLE_1)
	s_or_not1_b32 s11, vcc_lo, exec_lo
	s_or_b32 exec_lo, exec_lo, s23
	s_and_saveexec_b32 s23, s11
	s_cbranch_execz .LBB6_76
.LBB6_80:                               ;   in Loop: Header=BB6_53 Depth=1
	v_mul_lo_u32 v12, v53, v81
	v_mul_lo_u32 v13, v14, v82
	v_mad_u64_u32 v[10:11], null, v14, v81, 0
	s_delay_alu instid0(VALU_DEP_1)
	v_add3_u32 v11, v11, v13, v12
	s_or_b32 exec_lo, exec_lo, s23
	s_cbranch_execz .LBB6_81
; %bb.12983:
	s_getpc_b64 s[34:35]
.Lpost_getpc141:
	s_add_u32 s34, s34, (.LBB6_12724-.Lpost_getpc141)&4294967295
	s_addc_u32 s35, s35, (.LBB6_12724-.Lpost_getpc141)>>32
	s_setpc_b64 s[34:35]
.LBB6_81:                               ;   in Loop: Header=BB6_53 Depth=1
	s_delay_alu instid0(VALU_DEP_2)
	v_add_co_u32 v10, vcc_lo, v34, v10
	v_and_b32_e32 v12, 0x2000, v30
	v_add_co_ci_u32_e32 v11, vcc_lo, v35, v11, vcc_lo
	s_mov_b32 s11, exec_lo
	ds_store_b64 v0, v[10:11]
	v_cmpx_ne_u32_e32 0, v12
	s_cbranch_execz .LBB6_83
; %bb.82:                               ;   in Loop: Header=BB6_53 Depth=1
	ds_load_b64 v[10:11], v0 offset:584
	s_waitcnt lgkmcnt(0)
	v_add_co_u32 v10, vcc_lo, v10, 1
	v_add_co_ci_u32_e32 v11, vcc_lo, 0, v11, vcc_lo
	ds_store_b64 v0, v[10:11] offset:584
.LBB6_83:                               ;   in Loop: Header=BB6_53 Depth=1
	s_or_b32 exec_lo, exec_lo, s11
	v_add_co_u32 v8, vcc_lo, v8, 1
	v_add_co_ci_u32_e32 v9, vcc_lo, 0, v9, vcc_lo
.LBB6_84:                               ;   in Loop: Header=BB6_53 Depth=1
	s_or_b32 exec_lo, exec_lo, s12
	s_and_saveexec_b32 s11, s3
	s_cbranch_execz .LBB6_106
; %bb.85:                               ;   in Loop: Header=BB6_53 Depth=1
	s_and_saveexec_b32 s12, s4
	s_delay_alu instid0(SALU_CYCLE_1)
	s_xor_b32 s12, exec_lo, s12
	s_cbranch_execz .LBB6_103
; %bb.86:                               ;   in Loop: Header=BB6_53 Depth=1
	s_and_saveexec_b32 s23, s5
	s_cbranch_execz .LBB6_102
; %bb.87:                               ;   in Loop: Header=BB6_53 Depth=1
	s_mov_b32 s25, exec_lo
	s_mov_b32 s24, exec_lo
	v_mbcnt_lo_u32_b32 v10, s25, 0
	s_waitcnt lgkmcnt(0)
	s_waitcnt_vscnt null, 0x0
	buffer_gl1_inv
	buffer_gl0_inv
	v_cmpx_eq_u32_e32 0, v10
	s_cbranch_execz .LBB6_89
; %bb.88:                               ;   in Loop: Header=BB6_53 Depth=1
	s_bcnt1_i32_b32 s25, s25
	s_delay_alu instid0(SALU_CYCLE_1)
	v_mov_b32_e32 v52, s25
	ds_add_u64 v0, v[52:53]
	s_cbranch_execz .LBB6_89
; %bb.12985:
	s_getpc_b64 s[34:35]
.Lpost_getpc142:
	s_add_u32 s34, s34, (.LBB6_12789-.Lpost_getpc142)&4294967295
	s_addc_u32 s35, s35, (.LBB6_12789-.Lpost_getpc142)>>32
	s_setpc_b64 s[34:35]
.LBB6_89:                               ;   in Loop: Header=BB6_53 Depth=1
	s_or_b32 exec_lo, exec_lo, s24
	s_cbranch_execz .LBB6_90
; %bb.12987:
	s_getpc_b64 s[34:35]
.Lpost_getpc143:
	s_add_u32 s34, s34, (.LBB6_12777-.Lpost_getpc143)&4294967295
	s_addc_u32 s35, s35, (.LBB6_12777-.Lpost_getpc143)>>32
	s_setpc_b64 s[34:35]
.LBB6_90:                               ;   in Loop: Header=BB6_53 Depth=1
	ds_load_b64 v[10:11], v0
	v_add_co_u32 v38, vcc_lo, v38, v83
	v_add_co_ci_u32_e32 v39, vcc_lo, 0, v39, vcc_lo
	s_mov_b32 s24, exec_lo
	s_waitcnt lgkmcnt(0)
	s_delay_alu instid0(VALU_DEP_1)
	v_cmpx_lt_u64_e64 v[10:11], v[38:39]
	s_cbranch_execz .LBB6_101
; %bb.91:                               ;   in Loop: Header=BB6_53 Depth=1
	s_mov_b32 s25, 0
	s_mov_b32 s28, 0
                                        ; implicit-def: $sgpr26
                                        ; implicit-def: $sgpr27
	s_branch .LBB6_93
.LBB6_92:                               ;   in Loop: Header=BB6_93 Depth=2
	s_or_b32 exec_lo, exec_lo, vcc_hi
	s_delay_alu instid0(SALU_CYCLE_1) | instskip(NEXT) | instid1(SALU_CYCLE_1)
	s_and_b32 s29, exec_lo, vcc_lo
	s_or_b32 s25, s29, s25
	s_and_not1_b32 s26, s26, exec_lo
	s_and_b32 s29, s27, exec_lo
	s_delay_alu instid0(SALU_CYCLE_1)
	s_or_b32 s26, s26, s29
	s_and_not1_b32 exec_lo, exec_lo, s25
	s_cbranch_execz .LBB6_99
.LBB6_93:                               ;   Parent Loop BB6_53 Depth=1
                                        ; =>  This Inner Loop Header: Depth=2
	s_add_i32 s28, s28, 1
                                        ; implicit-def: $vcc_hi
	s_delay_alu instid0(SALU_CYCLE_1) | instskip(SKIP_1) | instid1(SALU_CYCLE_1)
	s_cmpk_lg_i32 s28, 0x2710
	s_cselect_b32 s29, -1, 0
	s_and_b32 vcc_lo, exec_lo, s29
	s_cbranch_vccz .LBB6_97
.LBB6_94:                               ;   in Loop: Header=BB6_93 Depth=2
	s_and_not1_b32 s27, s27, exec_lo
	s_and_b32 vcc_hi, vcc_hi, exec_lo
	s_mov_b32 vcc_lo, -1
	s_or_b32 s27, s27, vcc_hi
	s_and_saveexec_b32 vcc_hi, s29
	s_cbranch_execz .LBB6_92
; %bb.95:                               ;   in Loop: Header=BB6_93 Depth=2
	s_sleep 1
	s_cbranch_execz .LBB6_96
; %bb.12989:
	s_getpc_b64 s[34:35]
.Lpost_getpc144:
	s_add_u32 s34, s34, (.LBB6_12823-.Lpost_getpc144)&4294967295
	s_addc_u32 s35, s35, (.LBB6_12823-.Lpost_getpc144)>>32
	s_setpc_b64 s[34:35]
.LBB6_96:                               ;   in Loop: Header=BB6_93 Depth=2
	ds_load_b64 v[10:11], v0
	s_and_not1_b32 s27, s27, exec_lo
	s_waitcnt lgkmcnt(0)
	v_cmp_ge_u64_e32 vcc_lo, v[10:11], v[38:39]
	s_or_not1_b32 vcc_lo, vcc_lo, exec_lo
	s_branch .LBB6_92
.LBB6_97:                               ;   in Loop: Header=BB6_93 Depth=2
	s_cbranch_execz .LBB6_98
; %bb.12991:
	s_getpc_b64 s[34:35]
.Lpost_getpc145:
	s_add_u32 s34, s34, (.LBB6_12841-.Lpost_getpc145)&4294967295
	s_addc_u32 s35, s35, (.LBB6_12841-.Lpost_getpc145)>>32
	s_setpc_b64 s[34:35]
.LBB6_98:                               ;   in Loop: Header=BB6_93 Depth=2
	ds_load_b64 v[10:11], v0
	s_and_not1_b32 s29, s29, exec_lo
	s_mov_b32 s28, 0
	s_waitcnt lgkmcnt(0)
	flat_load_b32 v10, v[10:11] glc
	s_waitcnt vmcnt(0) lgkmcnt(0)
	buffer_gl1_inv
	buffer_gl0_inv
	v_cmp_eq_u32_e32 vcc_lo, 0, v10
	s_mov_b32 vcc_hi, -1
	s_and_b32 vcc_lo, vcc_lo, exec_lo
	s_delay_alu instid0(SALU_CYCLE_1)
	s_or_b32 s29, s29, vcc_lo
	s_branch .LBB6_94
.LBB6_99:                               ;   in Loop: Header=BB6_53 Depth=1
	s_or_b32 exec_lo, exec_lo, s25
	s_and_saveexec_b32 s25, s26
	s_delay_alu instid0(SALU_CYCLE_1)
	s_xor_b32 s25, exec_lo, s25
	s_cbranch_execz .LBB6_101
; %bb.100:                              ;   in Loop: Header=BB6_53 Depth=1
	ds_store_b32 v0, v113
	s_cbranch_execz .LBB6_101
; %bb.12993:
	s_getpc_b64 s[34:35]
.Lpost_getpc146:
	s_add_u32 s34, s34, (.LBB6_12919-.Lpost_getpc146)&4294967295
	s_addc_u32 s35, s35, (.LBB6_12919-.Lpost_getpc146)>>32
	s_setpc_b64 s[34:35]
.LBB6_101:                              ;   in Loop: Header=BB6_53 Depth=1
	s_or_b32 exec_lo, exec_lo, s24
	;;#ASMSTART
	s_wakeup
	;;#ASMEND
.LBB6_102:                              ;   in Loop: Header=BB6_53 Depth=1
	s_or_b32 exec_lo, exec_lo, s23
.LBB6_103:                              ;   in Loop: Header=BB6_53 Depth=1
	s_and_not1_saveexec_b32 s12, s12
	s_cbranch_execz .LBB6_105
; %bb.104:                              ;   in Loop: Header=BB6_53 Depth=1
	s_waitcnt lgkmcnt(0)
	s_waitcnt_vscnt null, 0x0
	buffer_gl1_inv
	buffer_gl0_inv
	s_barrier
.LBB6_105:                              ;   in Loop: Header=BB6_53 Depth=1
	s_or_b32 exec_lo, exec_lo, s12
.LBB6_106:                              ;   in Loop: Header=BB6_53 Depth=1
	s_delay_alu instid0(SALU_CYCLE_1)
	s_or_b32 exec_lo, exec_lo, s11
	s_cbranch_execz .LBB6_107
; %bb.12995:
	s_getpc_b64 s[34:35]
.Lpost_getpc147:
	s_add_u32 s34, s34, (.LBB6_12714-.Lpost_getpc147)&4294967295
	s_addc_u32 s35, s35, (.LBB6_12714-.Lpost_getpc147)>>32
	s_setpc_b64 s[34:35]
.LBB6_107:                              ;   in Loop: Header=BB6_53 Depth=1
	ds_load_b32 v10, v0
	v_and_b32_e32 v11, 0x4000, v30
	s_delay_alu instid0(VALU_DEP_1) | instskip(SKIP_1) | instid1(SALU_CYCLE_1)
	v_cmp_ne_u32_e32 vcc_lo, 0, v11
	s_and_b32 s12, s20, vcc_lo
	s_and_saveexec_b32 s11, s12
	s_cbranch_execz .LBB6_129
; %bb.108:                              ;   in Loop: Header=BB6_53 Depth=1
	s_and_saveexec_b32 s12, s4
	s_delay_alu instid0(SALU_CYCLE_1)
	s_xor_b32 s12, exec_lo, s12
	s_cbranch_execz .LBB6_126
; %bb.109:                              ;   in Loop: Header=BB6_53 Depth=1
	s_and_saveexec_b32 s23, s5
	s_cbranch_execz .LBB6_125
; %bb.110:                              ;   in Loop: Header=BB6_53 Depth=1
	s_mov_b32 s25, exec_lo
	s_mov_b32 s24, exec_lo
	v_mbcnt_lo_u32_b32 v11, s25, 0
	s_waitcnt lgkmcnt(0)
	s_waitcnt_vscnt null, 0x0
	buffer_gl1_inv
	buffer_gl0_inv
	v_cmpx_eq_u32_e32 0, v11
	s_cbranch_execz .LBB6_112
; %bb.111:                              ;   in Loop: Header=BB6_53 Depth=1
	s_bcnt1_i32_b32 s25, s25
	s_delay_alu instid0(SALU_CYCLE_1)
	v_mov_b32_e32 v52, s25
	ds_add_u64 v0, v[52:53]
	s_cbranch_execz .LBB6_112
; %bb.12997:
	s_getpc_b64 s[34:35]
.Lpost_getpc148:
	s_add_u32 s34, s34, (.LBB6_12819-.Lpost_getpc148)&4294967295
	s_addc_u32 s35, s35, (.LBB6_12819-.Lpost_getpc148)>>32
	s_setpc_b64 s[34:35]
.LBB6_112:                              ;   in Loop: Header=BB6_53 Depth=1
	s_or_b32 exec_lo, exec_lo, s24
	s_cbranch_execz .LBB6_113
; %bb.12999:
	s_getpc_b64 s[34:35]
.Lpost_getpc149:
	s_add_u32 s34, s34, (.LBB6_12807-.Lpost_getpc149)&4294967295
	s_addc_u32 s35, s35, (.LBB6_12807-.Lpost_getpc149)>>32
	s_setpc_b64 s[34:35]
.LBB6_113:                              ;   in Loop: Header=BB6_53 Depth=1
	ds_load_b64 v[11:12], v0
	v_add_co_u32 v38, vcc_lo, v38, v83
	v_add_co_ci_u32_e32 v39, vcc_lo, 0, v39, vcc_lo
	s_mov_b32 s24, exec_lo
	s_waitcnt lgkmcnt(0)
	s_delay_alu instid0(VALU_DEP_1)
	v_cmpx_lt_u64_e64 v[11:12], v[38:39]
	s_cbranch_execz .LBB6_124
; %bb.114:                              ;   in Loop: Header=BB6_53 Depth=1
	s_mov_b32 s25, 0
	s_mov_b32 s28, 0
                                        ; implicit-def: $sgpr26
                                        ; implicit-def: $sgpr27
	s_branch .LBB6_116
.LBB6_115:                              ;   in Loop: Header=BB6_116 Depth=2
	s_or_b32 exec_lo, exec_lo, vcc_hi
	s_delay_alu instid0(SALU_CYCLE_1) | instskip(NEXT) | instid1(SALU_CYCLE_1)
	s_and_b32 s29, exec_lo, vcc_lo
	s_or_b32 s25, s29, s25
	s_and_not1_b32 s26, s26, exec_lo
	s_and_b32 s29, s27, exec_lo
	s_delay_alu instid0(SALU_CYCLE_1)
	s_or_b32 s26, s26, s29
	s_and_not1_b32 exec_lo, exec_lo, s25
	s_cbranch_execz .LBB6_122
.LBB6_116:                              ;   Parent Loop BB6_53 Depth=1
                                        ; =>  This Inner Loop Header: Depth=2
	s_add_i32 s28, s28, 1
                                        ; implicit-def: $vcc_hi
	s_delay_alu instid0(SALU_CYCLE_1) | instskip(SKIP_1) | instid1(SALU_CYCLE_1)
	s_cmpk_lg_i32 s28, 0x2710
	s_cselect_b32 s29, -1, 0
	s_and_b32 vcc_lo, exec_lo, s29
	s_cbranch_vccz .LBB6_120
.LBB6_117:                              ;   in Loop: Header=BB6_116 Depth=2
	s_and_not1_b32 s27, s27, exec_lo
	s_and_b32 vcc_hi, vcc_hi, exec_lo
	s_mov_b32 vcc_lo, -1
	s_or_b32 s27, s27, vcc_hi
	s_and_saveexec_b32 vcc_hi, s29
	s_cbranch_execz .LBB6_115
; %bb.118:                              ;   in Loop: Header=BB6_116 Depth=2
	s_sleep 1
	s_cbranch_execz .LBB6_119
; %bb.13001:
	s_getpc_b64 s[34:35]
.Lpost_getpc150:
	s_add_u32 s34, s34, (.LBB6_12877-.Lpost_getpc150)&4294967295
	s_addc_u32 s35, s35, (.LBB6_12877-.Lpost_getpc150)>>32
	s_setpc_b64 s[34:35]
.LBB6_119:                              ;   in Loop: Header=BB6_116 Depth=2
	ds_load_b64 v[11:12], v0
	s_and_not1_b32 s27, s27, exec_lo
	s_waitcnt lgkmcnt(0)
	v_cmp_ge_u64_e32 vcc_lo, v[11:12], v[38:39]
	s_or_not1_b32 vcc_lo, vcc_lo, exec_lo
	s_branch .LBB6_115
.LBB6_120:                              ;   in Loop: Header=BB6_116 Depth=2
	s_cbranch_execz .LBB6_121
; %bb.13003:
	s_getpc_b64 s[34:35]
.Lpost_getpc151:
	s_add_u32 s34, s34, (.LBB6_12885-.Lpost_getpc151)&4294967295
	s_addc_u32 s35, s35, (.LBB6_12885-.Lpost_getpc151)>>32
	s_setpc_b64 s[34:35]
.LBB6_121:                              ;   in Loop: Header=BB6_116 Depth=2
	ds_load_b64 v[11:12], v0
	s_and_not1_b32 s29, s29, exec_lo
	s_mov_b32 s28, 0
	s_waitcnt lgkmcnt(0)
	flat_load_b32 v11, v[11:12] glc
	s_waitcnt vmcnt(0) lgkmcnt(0)
	buffer_gl1_inv
	buffer_gl0_inv
	v_cmp_eq_u32_e32 vcc_lo, 0, v11
	s_mov_b32 vcc_hi, -1
	s_and_b32 vcc_lo, vcc_lo, exec_lo
	s_delay_alu instid0(SALU_CYCLE_1)
	s_or_b32 s29, s29, vcc_lo
	s_branch .LBB6_117
.LBB6_122:                              ;   in Loop: Header=BB6_53 Depth=1
	s_or_b32 exec_lo, exec_lo, s25
	s_and_saveexec_b32 s25, s26
	s_delay_alu instid0(SALU_CYCLE_1)
	s_xor_b32 s25, exec_lo, s25
	s_cbranch_execz .LBB6_124
; %bb.123:                              ;   in Loop: Header=BB6_53 Depth=1
	ds_store_b32 v0, v113
	s_cbranch_execz .LBB6_124
; %bb.13005:
	s_getpc_b64 s[34:35]
.Lpost_getpc152:
	s_add_u32 s34, s34, (.LBB6_12929-.Lpost_getpc152)&4294967295
	s_addc_u32 s35, s35, (.LBB6_12929-.Lpost_getpc152)>>32
	s_setpc_b64 s[34:35]
.LBB6_124:                              ;   in Loop: Header=BB6_53 Depth=1
	s_or_b32 exec_lo, exec_lo, s24
	;;#ASMSTART
	s_wakeup
	;;#ASMEND
.LBB6_125:                              ;   in Loop: Header=BB6_53 Depth=1
	s_or_b32 exec_lo, exec_lo, s23
.LBB6_126:                              ;   in Loop: Header=BB6_53 Depth=1
	s_and_not1_saveexec_b32 s12, s12
	s_cbranch_execz .LBB6_128
; %bb.127:                              ;   in Loop: Header=BB6_53 Depth=1
	s_waitcnt lgkmcnt(0)
	s_waitcnt_vscnt null, 0x0
	buffer_gl1_inv
	buffer_gl0_inv
	s_barrier
.LBB6_128:                              ;   in Loop: Header=BB6_53 Depth=1
	s_or_b32 exec_lo, exec_lo, s12
.LBB6_129:                              ;   in Loop: Header=BB6_53 Depth=1
	s_delay_alu instid0(SALU_CYCLE_1)
	s_or_b32 exec_lo, exec_lo, s11
	s_cbranch_execz .LBB6_130
; %bb.13007:
	s_getpc_b64 s[34:35]
.Lpost_getpc153:
	s_add_u32 s34, s34, (.LBB6_12749-.Lpost_getpc153)&4294967295
	s_addc_u32 s35, s35, (.LBB6_12749-.Lpost_getpc153)>>32
	s_setpc_b64 s[34:35]
.LBB6_130:                              ;   in Loop: Header=BB6_53 Depth=1
	ds_load_b64 v[11:12], v0
	s_waitcnt lgkmcnt(0)
	v_cmp_eq_u64_e32 vcc_lo, 0, v[11:12]
	s_or_b32 s11, vcc_lo, vcc_lo
	s_delay_alu instid0(SALU_CYCLE_1)
	s_and_b32 vcc_lo, exec_lo, s11
	s_mov_b32 s11, 0
	s_cbranch_vccz .LBB6_131
; %bb.13009:                            ;   in Loop: Header=BB6_53 Depth=1
	s_getpc_b64 s[34:35]
.Lpost_getpc154:
	s_add_u32 s34, s34, (.LBB6_4721-.Lpost_getpc154)&4294967295
	s_addc_u32 s35, s35, (.LBB6_4721-.Lpost_getpc154)>>32
	s_setpc_b64 s[34:35]
.LBB6_131:                              ;   in Loop: Header=BB6_53 Depth=1
	s_mov_b32 s11, -1
	s_and_saveexec_b32 s12, s6
	s_cbranch_execz .LBB6_133
; %bb.132:                              ;   in Loop: Header=BB6_53 Depth=1
	ds_load_b32 v11, v0 offset:720
	s_waitcnt lgkmcnt(0)
	v_and_b32_e32 v11, 15, v11
	s_delay_alu instid0(VALU_DEP_1)
	v_cmp_eq_u32_e32 vcc_lo, 0, v11
	s_or_not1_b32 s11, vcc_lo, exec_lo
.LBB6_133:                              ;   in Loop: Header=BB6_53 Depth=1
	s_or_b32 exec_lo, exec_lo, s12
	s_and_saveexec_b32 s12, s7
	s_cbranch_execz .LBB6_135
; %bb.134:                              ;   in Loop: Header=BB6_53 Depth=1
	ds_load_b32 v11, v0 offset:784
	s_waitcnt lgkmcnt(0)
	v_and_b32_e32 v11, 15, v11
	s_delay_alu instid0(VALU_DEP_1) | instskip(SKIP_3) | instid1(SALU_CYCLE_1)
	v_cmp_eq_u32_e32 vcc_lo, 0, v11
	s_and_b32 s23, s11, vcc_lo
	s_and_not1_b32 s11, s11, exec_lo
	s_and_b32 s23, s23, exec_lo
	s_or_b32 s11, s11, s23
.LBB6_135:                              ;   in Loop: Header=BB6_53 Depth=1
	s_or_b32 exec_lo, exec_lo, s12
	v_cmp_eq_u32_e32 vcc_lo, 0, v10
	s_xor_b32 s11, s11, -1
	v_mov_b32_e32 v20, v0
	v_cndmask_b32_e64 v11, 0, 1, s11
	;;#ASMSTART
	;;#ASMEND
	v_cndmask_b32_e32 v52, 0, v65, vcc_lo
	s_delay_alu instid0(VALU_DEP_2)
	v_cmp_ne_u32_e32 vcc_lo, 0, v11
	v_mov_b32_e32 v18, 0
	v_mov_b32_e32 v10, v84
	s_mov_b32 s11, -1
	v_mov_b32_e32 v19, v52
	s_cbranch_vccz .LBB6_136
; %bb.13011:                            ;   in Loop: Header=BB6_53 Depth=1
	s_getpc_b64 s[34:35]
.Lpost_getpc155:
	s_add_u32 s34, s34, (.LBB6_3369-.Lpost_getpc155)&4294967295
	s_addc_u32 s35, s35, (.LBB6_3369-.Lpost_getpc155)>>32
	s_setpc_b64 s[34:35]
.LBB6_136:                              ;   in Loop: Header=BB6_53 Depth=1
	v_lshrrev_b32_e32 v10, 11, v52
	s_mov_b32 s12, exec_lo
	s_delay_alu instid0(VALU_DEP_1) | instskip(NEXT) | instid1(VALU_DEP_1)
	v_sub_nc_u32_e32 v114, v10, v84
	v_cmpx_lt_i32_e32 0, v114
	s_cbranch_execz .LBB6_2710
; %bb.137:                              ;   in Loop: Header=BB6_53 Depth=1
	s_cbranch_execz .LBB6_138
; %bb.13013:
	s_getpc_b64 s[34:35]
.Lpost_getpc156:
	s_add_u32 s34, s34, (.LBB6_12845-.Lpost_getpc156)&4294967295
	s_addc_u32 s35, s35, (.LBB6_12845-.Lpost_getpc156)>>32
	s_setpc_b64 s[34:35]
.LBB6_138:                              ;   in Loop: Header=BB6_53 Depth=1
	ds_load_b64 v[14:15], v0
	ds_load_b128 v[10:13], v0
	s_waitcnt lgkmcnt(1)
	v_readfirstlane_b32 s11, v14
	s_waitcnt lgkmcnt(0)
	v_add_co_u32 v66, vcc_lo, v10, v87
	v_add_co_ci_u32_e32 v67, vcc_lo, v11, v98, vcc_lo
	s_delay_alu instid0(VALU_DEP_3)
	s_and_b32 s23, s11, 7
	s_bfe_u32 s26, s11, 0x40003
	s_clz_i32_u32 s24, s23
	v_add_co_u32 v68, vcc_lo, v12, v87
	s_min_u32 s24, s24, 32
	v_add_co_ci_u32_e32 v69, vcc_lo, v13, v98, vcc_lo
	s_sub_i32 s25, s24, 28
	s_sub_i32 s24, 29, s24
	s_lshl_b32 s25, s11, s25
	v_add_co_u32 v70, vcc_lo, v14, v87
	s_and_b32 s25, s25, 7
	s_cmp_eq_u32 s26, 0
	v_add_co_ci_u32_e32 v71, vcc_lo, v15, v98, vcc_lo
	s_cselect_b32 s24, s24, s26
	s_cselect_b32 s23, s25, s23
	s_lshl_b32 s11, s11, 24
	s_lshl_b32 s25, s23, 20
	s_lshl_b32 s23, s24, 23
	s_and_b32 s11, s11, 0x80000000
	s_add_i32 s23, s23, 0x3b800000
	v_and_b32_e32 v115, 0xff, v14
	s_or_b32 s11, s11, s23
	s_mov_b32 s23, 0
	s_or_b32 s24, s11, s25
	s_branch .LBB6_142
.LBB6_139:                              ;   in Loop: Header=BB6_142 Depth=2
	s_or_b32 exec_lo, exec_lo, s11
	s_delay_alu instid0(VALU_DEP_1) | instskip(NEXT) | instid1(VALU_DEP_2)
	v_lshrrev_b32_e32 v132, 20, v132
	v_cmp_gt_i32_e32 vcc_lo, 16, v13
	v_lshrrev_b32_e32 v129, 24, v129
	v_min_i32_e32 v146, 15, v13
	s_delay_alu instid0(VALU_DEP_2) | instskip(NEXT) | instid1(VALU_DEP_1)
	v_dual_cndmask_b32 v132, 7, v132 :: v_dual_and_b32 v129, 0x80, v129
	v_or_b32_e32 v13, v13, v132
	v_and_b32_e32 v150, 7, v132
	s_delay_alu instid0(VALU_DEP_2) | instskip(SKIP_1) | instid1(VALU_DEP_1)
	v_cmp_ne_u32_e32 vcc_lo, 0, v13
	v_lshlrev_b32_e32 v146, 3, v146
	v_and_b32_e32 v146, 0xf8, v146
	s_delay_alu instid0(VALU_DEP_1) | instskip(NEXT) | instid1(VALU_DEP_1)
	v_or3_b32 v129, v129, v146, v150
	v_lshlrev_b32_e32 v129, 8, v129
	s_delay_alu instid0(VALU_DEP_1)
	v_cndmask_b32_e32 v13, 0, v129, vcc_lo
.LBB6_140:                              ;   in Loop: Header=BB6_142 Depth=2
	s_or_b32 exec_lo, exec_lo, s26
.LBB6_141:                              ;   in Loop: Header=BB6_142 Depth=2
	s_delay_alu instid0(SALU_CYCLE_1)
	s_or_b32 exec_lo, exec_lo, s25
	v_or_b32_e32 v15, v15, v178
	v_and_b32_e32 v129, 0xff, v183
	v_lshlrev_b32_e32 v146, 8, v41
	v_and_b32_e32 v132, 0xff, v180
	v_lshlrev_b32_e32 v14, 24, v14
	v_lshlrev_b32_e32 v15, 16, v15
	;; [unrolled: 1-line block ×3, first 2 shown]
	v_perm_b32 v146, v146, v43, 0xc0c0500
	v_lshlrev_b32_e32 v18, 24, v18
	v_and_b32_e32 v150, 0xff, v166
	v_or3_b32 v15, v181, v132, v15
	v_and_b32_e32 v132, 0xff, v75
	v_or3_b32 v14, v14, v129, v146
	v_lshlrev_b32_e32 v146, 8, v76
	v_lshlrev_b32_e32 v164, 8, v167
	v_or_b32_e32 v19, v19, v62
	v_lshlrev_b32_e32 v132, 16, v132
	v_or_b32_e32 v23, v23, v165
	v_perm_b32 v146, v146, v79, 0xc0c0500
	v_lshlrev_b32_e32 v118, 8, v118
	v_and_b32_e32 v133, 0xff, v133
	v_or_b32_e32 v17, v17, v161
	v_lshlrev_b32_e32 v16, 24, v16
	v_or3_b32 v18, v18, v132, v146
	v_and_b32_e32 v132, 0xff, v148
	v_and_b32_e32 v146, 0xff, v44
	v_lshlrev_b32_e32 v148, 8, v40
	v_lshlrev_b32_e32 v150, 16, v150
	v_perm_b32 v161, v164, v177, 0xc0c0500
	v_and_b32_e32 v129, 0xff, v72
	v_lshlrev_b32_e32 v19, 16, v19
	v_or_b32_e32 v21, v21, v45
	v_lshlrev_b32_e32 v23, 16, v23
	v_perm_b32 v116, v118, v116, 0xc0c0500
	v_lshlrev_b32_e32 v24, 24, v24
	v_lshlrev_b32_e32 v118, 16, v146
	v_perm_b32 v146, v148, v179, 0xc0c0500
	v_lshlrev_b32_e32 v22, 24, v22
	v_lshlrev_b32_e32 v133, 16, v133
	v_or_b32_e32 v25, v25, v78
	v_or3_b32 v16, v16, v150, v161
	v_and_b32_e32 v150, 0xff, v57
	v_lshlrev_b32_e32 v161, 8, v58
	v_or3_b32 v19, v73, v129, v19
	v_and_b32_e32 v129, 0xff, v46
	v_lshlrev_b32_e32 v21, 16, v21
	v_or3_b32 v23, v160, v132, v23
	v_or3_b32 v24, v24, v118, v146
	v_or_b32_e32 v11, v11, v135
	v_and_b32_e32 v118, 0xff, v147
	v_lshlrev_b32_e32 v132, 8, v149
	v_and_b32_e32 v130, 0xff, v130
	v_lshlrev_b32_e32 v131, 8, v131
	v_or_b32_e32 v13, v13, v117
	v_or3_b32 v22, v22, v133, v116
	v_and_b32_e32 v116, 0xff, v61
	v_lshlrev_b32_e32 v25, 16, v25
	v_lshlrev_b32_e32 v20, 24, v20
	v_lshlrev_b32_e32 v150, 16, v150
	v_perm_b32 v161, v161, v60, 0xc0c0500
	v_and_b32_e32 v162, 0xff, v162
	v_lshlrev_b32_e32 v17, 16, v17
	v_or3_b32 v21, v47, v129, v21
	v_and_b32_e32 v129, 0xff, v144
	v_lshlrev_b32_e32 v11, 16, v11
	v_lshlrev_b32_e32 v10, 24, v10
	v_lshlrev_b32_e32 v118, 16, v118
	v_perm_b32 v132, v132, v151, 0xc0c0500
	v_lshlrev_b32_e32 v12, 24, v12
	v_lshlrev_b32_e32 v117, 16, v130
	v_perm_b32 v130, v131, v134, 0xc0c0500
	v_and_b32_e32 v119, 0xff, v119
	v_lshlrev_b32_e32 v13, 16, v13
	v_add_co_u32 v66, vcc_lo, v66, v96
	v_or3_b32 v25, v63, v116, v25
	v_sub_nc_u32_e32 v114, v114, v83
	v_or3_b32 v20, v20, v150, v161
	v_add_co_ci_u32_e32 v67, vcc_lo, v67, v97, vcc_lo
	v_or3_b32 v17, v163, v162, v17
	v_add_co_u32 v68, vcc_lo, v68, v96
	v_or3_b32 v11, v145, v129, v11
	v_or3_b32 v10, v10, v118, v132
	;; [unrolled: 1-line block ×4, first 2 shown]
	v_add_co_ci_u32_e32 v69, vcc_lo, v69, v97, vcc_lo
	s_clause 0x3
	global_store_b128 v[70:71], v[22:25], off glc slc dlc
	global_store_b128 v[70:71], v[18:21], off offset:512 glc slc dlc
	global_store_b128 v[70:71], v[14:17], off offset:1024 glc slc dlc
	;; [unrolled: 1-line block ×3, first 2 shown]
	v_cmp_gt_i32_e32 vcc_lo, 1, v114
	v_add_co_u32 v70, s11, v70, v96
	s_delay_alu instid0(VALU_DEP_1) | instskip(SKIP_1) | instid1(SALU_CYCLE_1)
	v_add_co_ci_u32_e64 v71, s11, v71, v97, s11
	s_or_b32 s23, vcc_lo, s23
	s_and_not1_b32 exec_lo, exec_lo, s23
	s_cbranch_execz .LBB6_2709
.LBB6_142:                              ;   Parent Loop BB6_53 Depth=1
                                        ; =>  This Inner Loop Header: Depth=2
	v_cmp_gt_i16_e32 vcc_lo, 0x80, v115
	s_cbranch_vccnz .LBB6_146
; %bb.143:                              ;   in Loop: Header=BB6_142 Depth=2
	v_cmp_eq_u16_e32 vcc_lo, 0x80, v115
	s_mov_b32 s11, -1
                                        ; implicit-def: $sgpr25
	s_cbranch_vccz .LBB6_145
; %bb.144:                              ;   in Loop: Header=BB6_142 Depth=2
	s_mov_b32 s11, 0
	s_mov_b32 s25, 0x7f800001
.LBB6_145:                              ;   in Loop: Header=BB6_142 Depth=2
	s_mov_b32 s26, 0
	s_branch .LBB6_147
.LBB6_146:                              ;   in Loop: Header=BB6_142 Depth=2
	s_mov_b32 s26, -1
	s_mov_b32 s11, 0
                                        ; implicit-def: $sgpr25
.LBB6_147:                              ;   in Loop: Header=BB6_142 Depth=2
	s_and_b32 vcc_lo, exec_lo, s26
	s_cbranch_vccz .LBB6_149
; %bb.148:                              ;   in Loop: Header=BB6_142 Depth=2
	v_cmp_ne_u16_e64 s11, 0, v115
	s_mov_b32 s25, 0
.LBB6_149:                              ;   in Loop: Header=BB6_142 Depth=2
	s_delay_alu instid0(VALU_DEP_1)
	s_and_not1_b32 vcc_lo, exec_lo, s11
	s_cbranch_vccnz .LBB6_151
; %bb.150:                              ;   in Loop: Header=BB6_142 Depth=2
	s_mov_b32 s25, s24
.LBB6_151:                              ;   in Loop: Header=BB6_142 Depth=2
	global_load_b128 v[10:13], v[66:67], off slc dlc
	s_mov_b32 s11, 0
	s_mov_b32 s27, exec_lo
                                        ; implicit-def: $sgpr26
	s_waitcnt vmcnt(0)
	v_and_b32_e32 v15, 0xff, v10
	s_delay_alu instid0(VALU_DEP_1)
	v_cmpx_lt_i16_e32 0x7f, v15
	s_xor_b32 s27, exec_lo, s27
	s_cbranch_execnz .LBB6_1941
; %bb.152:                              ;   in Loop: Header=BB6_142 Depth=2
	s_or_saveexec_b32 s27, s27
	v_mov_b32_e32 v14, s26
	s_xor_b32 exec_lo, exec_lo, s27
	s_cbranch_execnz .LBB6_1944
.LBB6_153:                              ;   in Loop: Header=BB6_142 Depth=2
	s_or_b32 exec_lo, exec_lo, s27
	s_and_saveexec_b32 s26, s11
	s_cbranch_execz .LBB6_155
.LBB6_154:                              ;   in Loop: Header=BB6_142 Depth=2
	v_bfe_u32 v17, v10, 3, 4
	v_lshlrev_b32_e32 v18, 24, v10
	s_delay_alu instid0(VALU_DEP_2) | instskip(SKIP_1) | instid1(VALU_DEP_1)
	v_cmp_eq_u32_e32 vcc_lo, 0, v17
	v_and_b32_e32 v14, 7, v10
	v_clz_i32_u32_e32 v15, v14
	s_delay_alu instid0(VALU_DEP_1) | instskip(NEXT) | instid1(VALU_DEP_1)
	v_min_u32_e32 v15, 32, v15
	v_subrev_nc_u32_e32 v16, 28, v15
	v_sub_nc_u32_e32 v15, 29, v15
	s_delay_alu instid0(VALU_DEP_1) | instskip(NEXT) | instid1(VALU_DEP_1)
	v_dual_cndmask_b32 v15, v17, v15 :: v_dual_lshlrev_b32 v16, v16, v10
	v_and_b32_e32 v16, 7, v16
	s_delay_alu instid0(VALU_DEP_2) | instskip(NEXT) | instid1(VALU_DEP_2)
	v_lshl_add_u32 v15, v15, 23, 0x3b800000
	v_cndmask_b32_e32 v14, v14, v16, vcc_lo
	v_and_b32_e32 v16, 0x80000000, v18
	s_delay_alu instid0(VALU_DEP_2) | instskip(NEXT) | instid1(VALU_DEP_1)
	v_lshlrev_b32_e32 v14, 20, v14
	v_or3_b32 v14, v16, v15, v14
.LBB6_155:                              ;   in Loop: Header=BB6_142 Depth=2
	s_or_b32 exec_lo, exec_lo, s26
	s_delay_alu instid0(VALU_DEP_1) | instskip(SKIP_2) | instid1(VALU_DEP_2)
	v_mul_f32_e32 v14, s25, v14
	v_mov_b32_e32 v116, 0x80
	s_mov_b32 s26, exec_lo
	v_and_b32_e32 v15, 0x7f800000, v14
	s_delay_alu instid0(VALU_DEP_1)
	v_cmpx_ne_u32_e32 0x7f800000, v15
	s_cbranch_execz .LBB6_163
; %bb.156:                              ;   in Loop: Header=BB6_142 Depth=2
	v_mov_b32_e32 v116, 0
	s_mov_b32 s27, exec_lo
	v_cmpx_ne_u32_e32 0, v14
	s_cbranch_execz .LBB6_162
; %bb.157:                              ;   in Loop: Header=BB6_142 Depth=2
	v_bfe_u32 v15, v14, 23, 8
	s_delay_alu instid0(VALU_DEP_1) | instskip(SKIP_1) | instid1(VALU_DEP_2)
	v_sub_nc_u32_e32 v17, 0x78, v15
	v_cmp_gt_u32_e32 vcc_lo, 0x79, v15
	v_dual_cndmask_b32 v17, 0, v17 :: v_dual_and_b32 v16, 0x7fffff, v14
	s_delay_alu instid0(VALU_DEP_1) | instskip(SKIP_2) | instid1(VALU_DEP_4)
	v_or_b32_e32 v18, 0x800000, v16
	v_cmp_eq_u32_e32 vcc_lo, 0, v15
	v_add_nc_u32_e32 v15, 0xffffff89, v15
	v_cndmask_b32_e64 v17, v17, 0x77, vcc_lo
	s_delay_alu instid0(VALU_DEP_4) | instskip(NEXT) | instid1(VALU_DEP_3)
	v_cndmask_b32_e32 v16, v18, v16, vcc_lo
	v_cndmask_b32_e64 v15, v15, 0xffffff8a, vcc_lo
	s_delay_alu instid0(VALU_DEP_3) | instskip(NEXT) | instid1(VALU_DEP_3)
	v_lshl_add_u32 v18, 0x100000, v17, -1
	v_lshrrev_b32_e32 v19, v17, v16
	v_lshlrev_b32_e64 v21, v17, 0x80000
	s_delay_alu instid0(VALU_DEP_4) | instskip(NEXT) | instid1(VALU_DEP_4)
	v_add_nc_u32_e32 v17, v17, v15
	v_and_b32_e32 v16, v18, v16
	s_delay_alu instid0(VALU_DEP_4) | instskip(NEXT) | instid1(VALU_DEP_2)
	v_bfe_u32 v20, v19, 20, 1
	v_cmp_eq_u32_e64 s11, v16, v21
	s_delay_alu instid0(VALU_DEP_2) | instskip(NEXT) | instid1(VALU_DEP_1)
	v_add_nc_u32_e32 v18, -1, v20
	v_cndmask_b32_e64 v16, 0, v18, s11
	v_lshrrev_b32_e32 v18, 23, v19
	s_mov_b32 s11, exec_lo
	s_delay_alu instid0(VALU_DEP_2) | instskip(NEXT) | instid1(VALU_DEP_2)
	v_add_nc_u32_e32 v16, v16, v19
	v_xor_b32_e32 v18, 1, v18
	s_delay_alu instid0(VALU_DEP_2) | instskip(NEXT) | instid1(VALU_DEP_1)
	v_and_b32_e32 v15, 0xfffff, v16
	v_add_nc_u32_e32 v16, v15, v19
                                        ; implicit-def: $vgpr15
	s_delay_alu instid0(VALU_DEP_3)
	v_cmpx_ne_u32_e64 v17, v18
	s_xor_b32 s11, exec_lo, s11
; %bb.158:                              ;   in Loop: Header=BB6_142 Depth=2
	s_delay_alu instid0(VALU_DEP_2) | instskip(SKIP_2) | instid1(VALU_DEP_2)
	v_cmp_lt_u32_e32 vcc_lo, 0xffffff, v16
	v_sub_nc_u32_e32 v15, v17, v18
	v_cndmask_b32_e64 v17, 0, 1, vcc_lo
	v_add_co_ci_u32_e32 v15, vcc_lo, 0, v15, vcc_lo
	s_delay_alu instid0(VALU_DEP_2)
	v_lshrrev_b32_e32 v16, v17, v16
; %bb.159:                              ;   in Loop: Header=BB6_142 Depth=2
	s_and_not1_saveexec_b32 s11, s11
; %bb.160:                              ;   in Loop: Header=BB6_142 Depth=2
	s_delay_alu instid0(VALU_DEP_1)
	v_bfe_u32 v15, v16, 23, 1
; %bb.161:                              ;   in Loop: Header=BB6_142 Depth=2
	s_or_b32 exec_lo, exec_lo, s11
	v_lshrrev_b32_e32 v16, 20, v16
	s_delay_alu instid0(VALU_DEP_2) | instskip(SKIP_2) | instid1(VALU_DEP_4)
	v_cmp_gt_i32_e32 vcc_lo, 16, v15
	v_lshrrev_b32_e32 v14, 24, v14
	v_min_i32_e32 v17, 15, v15
	v_cndmask_b32_e32 v16, 7, v16, vcc_lo
	s_delay_alu instid0(VALU_DEP_3) | instskip(NEXT) | instid1(VALU_DEP_3)
	v_and_b32_e32 v14, 0x80, v14
	v_lshlrev_b32_e32 v17, 3, v17
	s_delay_alu instid0(VALU_DEP_3) | instskip(SKIP_1) | instid1(VALU_DEP_2)
	v_and_b32_e32 v18, 7, v16
	v_or_b32_e32 v15, v15, v16
	v_or3_b32 v14, v17, v14, v18
	s_delay_alu instid0(VALU_DEP_2) | instskip(NEXT) | instid1(VALU_DEP_2)
	v_cmp_ne_u32_e32 vcc_lo, 0, v15
	v_cndmask_b32_e32 v116, 0, v14, vcc_lo
.LBB6_162:                              ;   in Loop: Header=BB6_142 Depth=2
	s_or_b32 exec_lo, exec_lo, s27
.LBB6_163:                              ;   in Loop: Header=BB6_142 Depth=2
	s_delay_alu instid0(SALU_CYCLE_1) | instskip(SKIP_3) | instid1(VALU_DEP_1)
	s_or_b32 exec_lo, exec_lo, s26
	v_lshrrev_b16 v14, 8, v10
	s_mov_b32 s11, 0
	s_mov_b32 s27, exec_lo
                                        ; implicit-def: $sgpr26
	v_cmpx_lt_i16_e32 0x7f, v14
	s_xor_b32 s27, exec_lo, s27
	s_cbranch_execnz .LBB6_1945
; %bb.164:                              ;   in Loop: Header=BB6_142 Depth=2
	s_or_saveexec_b32 s27, s27
	v_mov_b32_e32 v15, s26
	s_xor_b32 exec_lo, exec_lo, s27
	s_cbranch_execnz .LBB6_1948
.LBB6_165:                              ;   in Loop: Header=BB6_142 Depth=2
	s_or_b32 exec_lo, exec_lo, s27
	s_and_saveexec_b32 s26, s11
	s_cbranch_execz .LBB6_167
.LBB6_166:                              ;   in Loop: Header=BB6_142 Depth=2
	v_and_b32_e32 v15, 0xffff, v14
	v_lshlrev_b32_e32 v14, 24, v14
	s_delay_alu instid0(VALU_DEP_2) | instskip(NEXT) | instid1(VALU_DEP_2)
	v_and_b32_e32 v16, 7, v15
	v_and_b32_e32 v14, 0x80000000, v14
	s_delay_alu instid0(VALU_DEP_2) | instskip(NEXT) | instid1(VALU_DEP_1)
	v_clz_i32_u32_e32 v17, v16
	v_min_u32_e32 v17, 32, v17
	s_delay_alu instid0(VALU_DEP_1) | instskip(SKIP_1) | instid1(VALU_DEP_2)
	v_subrev_nc_u32_e32 v18, 28, v17
	v_sub_nc_u32_e32 v17, 29, v17
	v_lshlrev_b32_e32 v18, v18, v15
	v_bfe_u32 v15, v15, 3, 4
	s_delay_alu instid0(VALU_DEP_2) | instskip(NEXT) | instid1(VALU_DEP_2)
	v_and_b32_e32 v18, 7, v18
	v_cmp_eq_u32_e32 vcc_lo, 0, v15
	s_delay_alu instid0(VALU_DEP_2) | instskip(NEXT) | instid1(VALU_DEP_1)
	v_dual_cndmask_b32 v15, v15, v17 :: v_dual_cndmask_b32 v16, v16, v18
	v_lshl_add_u32 v15, v15, 23, 0x3b800000
	s_delay_alu instid0(VALU_DEP_2) | instskip(NEXT) | instid1(VALU_DEP_1)
	v_lshlrev_b32_e32 v16, 20, v16
	v_or3_b32 v15, v14, v15, v16
.LBB6_167:                              ;   in Loop: Header=BB6_142 Depth=2
	s_or_b32 exec_lo, exec_lo, s26
	s_delay_alu instid0(VALU_DEP_1) | instskip(SKIP_2) | instid1(VALU_DEP_2)
	v_mul_f32_e32 v14, s25, v15
	v_mov_b32_e32 v118, 0x80
	s_mov_b32 s26, exec_lo
	v_and_b32_e32 v15, 0x7f800000, v14
	s_delay_alu instid0(VALU_DEP_1)
	v_cmpx_ne_u32_e32 0x7f800000, v15
	s_cbranch_execz .LBB6_175
; %bb.168:                              ;   in Loop: Header=BB6_142 Depth=2
	v_mov_b32_e32 v118, 0
	s_mov_b32 s27, exec_lo
	v_cmpx_ne_u32_e32 0, v14
	s_cbranch_execz .LBB6_174
; %bb.169:                              ;   in Loop: Header=BB6_142 Depth=2
	v_bfe_u32 v15, v14, 23, 8
	s_delay_alu instid0(VALU_DEP_1) | instskip(SKIP_1) | instid1(VALU_DEP_2)
	v_sub_nc_u32_e32 v17, 0x78, v15
	v_cmp_gt_u32_e32 vcc_lo, 0x79, v15
	v_dual_cndmask_b32 v17, 0, v17 :: v_dual_and_b32 v16, 0x7fffff, v14
	s_delay_alu instid0(VALU_DEP_1) | instskip(SKIP_2) | instid1(VALU_DEP_4)
	v_or_b32_e32 v18, 0x800000, v16
	v_cmp_eq_u32_e32 vcc_lo, 0, v15
	v_add_nc_u32_e32 v15, 0xffffff89, v15
	v_cndmask_b32_e64 v17, v17, 0x77, vcc_lo
	s_delay_alu instid0(VALU_DEP_4) | instskip(NEXT) | instid1(VALU_DEP_3)
	v_cndmask_b32_e32 v16, v18, v16, vcc_lo
	v_cndmask_b32_e64 v15, v15, 0xffffff8a, vcc_lo
	s_delay_alu instid0(VALU_DEP_3) | instskip(NEXT) | instid1(VALU_DEP_3)
	v_lshl_add_u32 v18, 0x100000, v17, -1
	v_lshrrev_b32_e32 v19, v17, v16
	v_lshlrev_b32_e64 v21, v17, 0x80000
	s_delay_alu instid0(VALU_DEP_4) | instskip(NEXT) | instid1(VALU_DEP_4)
	v_add_nc_u32_e32 v17, v17, v15
	v_and_b32_e32 v16, v18, v16
	s_delay_alu instid0(VALU_DEP_4) | instskip(NEXT) | instid1(VALU_DEP_2)
	v_bfe_u32 v20, v19, 20, 1
	v_cmp_eq_u32_e64 s11, v16, v21
	s_delay_alu instid0(VALU_DEP_2) | instskip(NEXT) | instid1(VALU_DEP_1)
	v_add_nc_u32_e32 v18, -1, v20
	v_cndmask_b32_e64 v16, 0, v18, s11
	v_lshrrev_b32_e32 v18, 23, v19
	s_mov_b32 s11, exec_lo
	s_delay_alu instid0(VALU_DEP_2) | instskip(NEXT) | instid1(VALU_DEP_2)
	v_add_nc_u32_e32 v16, v16, v19
	v_xor_b32_e32 v18, 1, v18
	s_delay_alu instid0(VALU_DEP_2) | instskip(NEXT) | instid1(VALU_DEP_1)
	v_and_b32_e32 v15, 0xfffff, v16
	v_add_nc_u32_e32 v16, v15, v19
                                        ; implicit-def: $vgpr15
	s_delay_alu instid0(VALU_DEP_3)
	v_cmpx_ne_u32_e64 v17, v18
	s_xor_b32 s11, exec_lo, s11
; %bb.170:                              ;   in Loop: Header=BB6_142 Depth=2
	s_delay_alu instid0(VALU_DEP_2) | instskip(SKIP_2) | instid1(VALU_DEP_2)
	v_cmp_lt_u32_e32 vcc_lo, 0xffffff, v16
	v_sub_nc_u32_e32 v15, v17, v18
	v_cndmask_b32_e64 v17, 0, 1, vcc_lo
	v_add_co_ci_u32_e32 v15, vcc_lo, 0, v15, vcc_lo
	s_delay_alu instid0(VALU_DEP_2)
	v_lshrrev_b32_e32 v16, v17, v16
; %bb.171:                              ;   in Loop: Header=BB6_142 Depth=2
	s_and_not1_saveexec_b32 s11, s11
; %bb.172:                              ;   in Loop: Header=BB6_142 Depth=2
	s_delay_alu instid0(VALU_DEP_1)
	v_bfe_u32 v15, v16, 23, 1
; %bb.173:                              ;   in Loop: Header=BB6_142 Depth=2
	s_or_b32 exec_lo, exec_lo, s11
	v_lshrrev_b32_e32 v16, 20, v16
	s_delay_alu instid0(VALU_DEP_2) | instskip(SKIP_2) | instid1(VALU_DEP_4)
	v_cmp_gt_i32_e32 vcc_lo, 16, v15
	v_lshrrev_b32_e32 v14, 24, v14
	v_min_i32_e32 v17, 15, v15
	v_cndmask_b32_e32 v16, 7, v16, vcc_lo
	s_delay_alu instid0(VALU_DEP_3) | instskip(NEXT) | instid1(VALU_DEP_3)
	v_and_b32_e32 v14, 0x80, v14
	v_lshlrev_b32_e32 v17, 3, v17
	s_delay_alu instid0(VALU_DEP_3) | instskip(SKIP_1) | instid1(VALU_DEP_2)
	v_and_b32_e32 v18, 7, v16
	v_or_b32_e32 v15, v15, v16
	v_or3_b32 v14, v17, v14, v18
	s_delay_alu instid0(VALU_DEP_2) | instskip(NEXT) | instid1(VALU_DEP_2)
	v_cmp_ne_u32_e32 vcc_lo, 0, v15
	v_cndmask_b32_e32 v118, 0, v14, vcc_lo
.LBB6_174:                              ;   in Loop: Header=BB6_142 Depth=2
	s_or_b32 exec_lo, exec_lo, s27
.LBB6_175:                              ;   in Loop: Header=BB6_142 Depth=2
	s_delay_alu instid0(SALU_CYCLE_1) | instskip(SKIP_3) | instid1(VALU_DEP_1)
	s_or_b32 exec_lo, exec_lo, s26
	v_lshrrev_b32_e32 v14, 16, v10
	s_mov_b32 s11, 0
	s_mov_b32 s27, exec_lo
                                        ; implicit-def: $sgpr26
	v_and_b32_e32 v16, 0xff, v14
	s_delay_alu instid0(VALU_DEP_1)
	v_cmpx_lt_i16_e32 0x7f, v16
	s_xor_b32 s27, exec_lo, s27
	s_cbranch_execnz .LBB6_1949
; %bb.176:                              ;   in Loop: Header=BB6_142 Depth=2
	s_or_saveexec_b32 s27, s27
	v_mov_b32_e32 v15, s26
	s_xor_b32 exec_lo, exec_lo, s27
	s_cbranch_execnz .LBB6_1952
.LBB6_177:                              ;   in Loop: Header=BB6_142 Depth=2
	s_or_b32 exec_lo, exec_lo, s27
	s_and_saveexec_b32 s26, s11
	s_cbranch_execz .LBB6_179
.LBB6_178:                              ;   in Loop: Header=BB6_142 Depth=2
	v_bfe_u32 v15, v10, 16, 3
	v_lshlrev_b32_e32 v18, 8, v10
	s_delay_alu instid0(VALU_DEP_2) | instskip(NEXT) | instid1(VALU_DEP_1)
	v_clz_i32_u32_e32 v16, v15
	v_min_u32_e32 v16, 32, v16
	s_delay_alu instid0(VALU_DEP_1) | instskip(SKIP_1) | instid1(VALU_DEP_2)
	v_subrev_nc_u32_e32 v17, 28, v16
	v_sub_nc_u32_e32 v16, 29, v16
	v_lshlrev_b32_e32 v14, v17, v14
	v_bfe_u32 v17, v10, 19, 4
	s_delay_alu instid0(VALU_DEP_2) | instskip(NEXT) | instid1(VALU_DEP_2)
	v_and_b32_e32 v14, 7, v14
	v_cmp_eq_u32_e32 vcc_lo, 0, v17
	v_cndmask_b32_e32 v16, v17, v16, vcc_lo
	s_delay_alu instid0(VALU_DEP_3) | instskip(SKIP_1) | instid1(VALU_DEP_3)
	v_cndmask_b32_e32 v14, v15, v14, vcc_lo
	v_and_b32_e32 v15, 0x80000000, v18
	v_lshl_add_u32 v16, v16, 23, 0x3b800000
	s_delay_alu instid0(VALU_DEP_3) | instskip(NEXT) | instid1(VALU_DEP_1)
	v_lshlrev_b32_e32 v14, 20, v14
	v_or3_b32 v15, v15, v16, v14
.LBB6_179:                              ;   in Loop: Header=BB6_142 Depth=2
	s_or_b32 exec_lo, exec_lo, s26
	s_delay_alu instid0(VALU_DEP_1) | instskip(SKIP_1) | instid1(VALU_DEP_1)
	v_dual_mul_f32 v14, s25, v15 :: v_dual_mov_b32 v133, 0x80
	s_mov_b32 s26, exec_lo
	v_and_b32_e32 v15, 0x7f800000, v14
	s_delay_alu instid0(VALU_DEP_1)
	v_cmpx_ne_u32_e32 0x7f800000, v15
	s_cbranch_execz .LBB6_187
; %bb.180:                              ;   in Loop: Header=BB6_142 Depth=2
	v_mov_b32_e32 v133, 0
	s_mov_b32 s27, exec_lo
	v_cmpx_ne_u32_e32 0, v14
	s_cbranch_execz .LBB6_186
; %bb.181:                              ;   in Loop: Header=BB6_142 Depth=2
	v_bfe_u32 v15, v14, 23, 8
	s_delay_alu instid0(VALU_DEP_1) | instskip(SKIP_1) | instid1(VALU_DEP_2)
	v_sub_nc_u32_e32 v17, 0x78, v15
	v_cmp_gt_u32_e32 vcc_lo, 0x79, v15
	v_dual_cndmask_b32 v17, 0, v17 :: v_dual_and_b32 v16, 0x7fffff, v14
	s_delay_alu instid0(VALU_DEP_1) | instskip(SKIP_2) | instid1(VALU_DEP_4)
	v_or_b32_e32 v18, 0x800000, v16
	v_cmp_eq_u32_e32 vcc_lo, 0, v15
	v_add_nc_u32_e32 v15, 0xffffff89, v15
	v_cndmask_b32_e64 v17, v17, 0x77, vcc_lo
	s_delay_alu instid0(VALU_DEP_4) | instskip(NEXT) | instid1(VALU_DEP_3)
	v_cndmask_b32_e32 v16, v18, v16, vcc_lo
	v_cndmask_b32_e64 v15, v15, 0xffffff8a, vcc_lo
	s_delay_alu instid0(VALU_DEP_3) | instskip(NEXT) | instid1(VALU_DEP_3)
	v_lshl_add_u32 v18, 0x100000, v17, -1
	v_lshrrev_b32_e32 v19, v17, v16
	v_lshlrev_b32_e64 v21, v17, 0x80000
	s_delay_alu instid0(VALU_DEP_4) | instskip(NEXT) | instid1(VALU_DEP_4)
	v_add_nc_u32_e32 v17, v17, v15
	v_and_b32_e32 v16, v18, v16
	s_delay_alu instid0(VALU_DEP_4) | instskip(NEXT) | instid1(VALU_DEP_2)
	v_bfe_u32 v20, v19, 20, 1
	v_cmp_eq_u32_e64 s11, v16, v21
	s_delay_alu instid0(VALU_DEP_2) | instskip(NEXT) | instid1(VALU_DEP_1)
	v_add_nc_u32_e32 v18, -1, v20
	v_cndmask_b32_e64 v16, 0, v18, s11
	v_lshrrev_b32_e32 v18, 23, v19
	s_mov_b32 s11, exec_lo
	s_delay_alu instid0(VALU_DEP_2) | instskip(NEXT) | instid1(VALU_DEP_2)
	v_add_nc_u32_e32 v16, v16, v19
	v_xor_b32_e32 v18, 1, v18
	s_delay_alu instid0(VALU_DEP_2) | instskip(NEXT) | instid1(VALU_DEP_1)
	v_and_b32_e32 v15, 0xfffff, v16
	v_add_nc_u32_e32 v16, v15, v19
                                        ; implicit-def: $vgpr15
	s_delay_alu instid0(VALU_DEP_3)
	v_cmpx_ne_u32_e64 v17, v18
	s_xor_b32 s11, exec_lo, s11
; %bb.182:                              ;   in Loop: Header=BB6_142 Depth=2
	s_delay_alu instid0(VALU_DEP_2) | instskip(SKIP_2) | instid1(VALU_DEP_2)
	v_cmp_lt_u32_e32 vcc_lo, 0xffffff, v16
	v_sub_nc_u32_e32 v15, v17, v18
	v_cndmask_b32_e64 v17, 0, 1, vcc_lo
	v_add_co_ci_u32_e32 v15, vcc_lo, 0, v15, vcc_lo
	s_delay_alu instid0(VALU_DEP_2)
	v_lshrrev_b32_e32 v16, v17, v16
; %bb.183:                              ;   in Loop: Header=BB6_142 Depth=2
	s_and_not1_saveexec_b32 s11, s11
; %bb.184:                              ;   in Loop: Header=BB6_142 Depth=2
	s_delay_alu instid0(VALU_DEP_1)
	v_bfe_u32 v15, v16, 23, 1
; %bb.185:                              ;   in Loop: Header=BB6_142 Depth=2
	s_or_b32 exec_lo, exec_lo, s11
	v_lshrrev_b32_e32 v16, 20, v16
	s_delay_alu instid0(VALU_DEP_2) | instskip(SKIP_2) | instid1(VALU_DEP_2)
	v_cmp_gt_i32_e32 vcc_lo, 16, v15
	v_min_i32_e32 v17, 15, v15
	v_lshrrev_b32_e32 v14, 24, v14
	v_dual_cndmask_b32 v16, 7, v16 :: v_dual_lshlrev_b32 v17, 3, v17
	s_delay_alu instid0(VALU_DEP_2) | instskip(NEXT) | instid1(VALU_DEP_2)
	v_and_b32_e32 v14, 0x80, v14
	v_or_b32_e32 v15, v15, v16
	s_delay_alu instid0(VALU_DEP_1) | instskip(SKIP_1) | instid1(VALU_DEP_1)
	v_cmp_ne_u32_e32 vcc_lo, 0, v15
	v_and_b32_e32 v18, 7, v16
	v_or3_b32 v14, v17, v14, v18
	s_delay_alu instid0(VALU_DEP_1)
	v_cndmask_b32_e32 v133, 0, v14, vcc_lo
.LBB6_186:                              ;   in Loop: Header=BB6_142 Depth=2
	s_or_b32 exec_lo, exec_lo, s27
.LBB6_187:                              ;   in Loop: Header=BB6_142 Depth=2
	s_delay_alu instid0(SALU_CYCLE_1) | instskip(SKIP_3) | instid1(VALU_DEP_1)
	s_or_b32 exec_lo, exec_lo, s26
	v_lshrrev_b32_e32 v14, 24, v10
	s_mov_b32 s11, 0
	s_mov_b32 s27, exec_lo
                                        ; implicit-def: $sgpr26
	v_cmpx_lt_i16_e32 0x7f, v14
	s_xor_b32 s27, exec_lo, s27
	s_cbranch_execnz .LBB6_1953
; %bb.188:                              ;   in Loop: Header=BB6_142 Depth=2
	s_or_saveexec_b32 s27, s27
	v_mov_b32_e32 v15, s26
	s_xor_b32 exec_lo, exec_lo, s27
	s_cbranch_execnz .LBB6_1956
.LBB6_189:                              ;   in Loop: Header=BB6_142 Depth=2
	s_or_b32 exec_lo, exec_lo, s27
	s_and_saveexec_b32 s26, s11
	s_cbranch_execz .LBB6_191
.LBB6_190:                              ;   in Loop: Header=BB6_142 Depth=2
	v_bfe_u32 v15, v10, 24, 3
	s_delay_alu instid0(VALU_DEP_1) | instskip(NEXT) | instid1(VALU_DEP_1)
	v_clz_i32_u32_e32 v16, v15
	v_min_u32_e32 v16, 32, v16
	s_delay_alu instid0(VALU_DEP_1) | instskip(SKIP_1) | instid1(VALU_DEP_2)
	v_subrev_nc_u32_e32 v17, 28, v16
	v_sub_nc_u32_e32 v16, 29, v16
	v_lshlrev_b32_e32 v14, v17, v14
	v_bfe_u32 v17, v10, 27, 4
	v_and_b32_e32 v10, 0x80000000, v10
	s_delay_alu instid0(VALU_DEP_3) | instskip(NEXT) | instid1(VALU_DEP_3)
	v_and_b32_e32 v14, 7, v14
	v_cmp_eq_u32_e32 vcc_lo, 0, v17
	v_cndmask_b32_e32 v16, v17, v16, vcc_lo
	s_delay_alu instid0(VALU_DEP_3) | instskip(NEXT) | instid1(VALU_DEP_2)
	v_cndmask_b32_e32 v14, v15, v14, vcc_lo
	v_lshl_add_u32 v15, v16, 23, 0x3b800000
	s_delay_alu instid0(VALU_DEP_2) | instskip(NEXT) | instid1(VALU_DEP_1)
	v_lshlrev_b32_e32 v14, 20, v14
	v_or3_b32 v15, v10, v15, v14
.LBB6_191:                              ;   in Loop: Header=BB6_142 Depth=2
	s_or_b32 exec_lo, exec_lo, s26
	s_delay_alu instid0(VALU_DEP_1) | instskip(SKIP_2) | instid1(VALU_DEP_2)
	v_mul_f32_e32 v10, s25, v15
	v_mov_b32_e32 v160, 0x80
	s_mov_b32 s26, exec_lo
	v_and_b32_e32 v14, 0x7f800000, v10
	s_delay_alu instid0(VALU_DEP_1)
	v_cmpx_ne_u32_e32 0x7f800000, v14
	s_cbranch_execz .LBB6_199
; %bb.192:                              ;   in Loop: Header=BB6_142 Depth=2
	v_mov_b32_e32 v160, 0
	s_mov_b32 s27, exec_lo
	v_cmpx_ne_u32_e32 0, v10
	s_cbranch_execz .LBB6_198
; %bb.193:                              ;   in Loop: Header=BB6_142 Depth=2
	v_bfe_u32 v14, v10, 23, 8
	s_delay_alu instid0(VALU_DEP_1) | instskip(SKIP_1) | instid1(VALU_DEP_2)
	v_sub_nc_u32_e32 v16, 0x78, v14
	v_cmp_gt_u32_e32 vcc_lo, 0x79, v14
	v_dual_cndmask_b32 v16, 0, v16 :: v_dual_and_b32 v15, 0x7fffff, v10
	s_delay_alu instid0(VALU_DEP_1) | instskip(SKIP_2) | instid1(VALU_DEP_4)
	v_or_b32_e32 v17, 0x800000, v15
	v_cmp_eq_u32_e32 vcc_lo, 0, v14
	v_add_nc_u32_e32 v14, 0xffffff89, v14
	v_cndmask_b32_e64 v16, v16, 0x77, vcc_lo
	s_delay_alu instid0(VALU_DEP_4) | instskip(NEXT) | instid1(VALU_DEP_3)
	v_cndmask_b32_e32 v15, v17, v15, vcc_lo
	v_cndmask_b32_e64 v14, v14, 0xffffff8a, vcc_lo
	s_delay_alu instid0(VALU_DEP_3) | instskip(NEXT) | instid1(VALU_DEP_3)
	v_lshl_add_u32 v17, 0x100000, v16, -1
	v_lshrrev_b32_e32 v18, v16, v15
	v_lshlrev_b32_e64 v20, v16, 0x80000
	s_delay_alu instid0(VALU_DEP_4) | instskip(NEXT) | instid1(VALU_DEP_4)
	v_add_nc_u32_e32 v16, v16, v14
	v_and_b32_e32 v15, v17, v15
	s_delay_alu instid0(VALU_DEP_4) | instskip(NEXT) | instid1(VALU_DEP_2)
	v_bfe_u32 v19, v18, 20, 1
	v_cmp_eq_u32_e64 s11, v15, v20
	s_delay_alu instid0(VALU_DEP_2) | instskip(NEXT) | instid1(VALU_DEP_1)
	v_add_nc_u32_e32 v17, -1, v19
	v_cndmask_b32_e64 v15, 0, v17, s11
	v_lshrrev_b32_e32 v17, 23, v18
	s_mov_b32 s11, exec_lo
	s_delay_alu instid0(VALU_DEP_2) | instskip(NEXT) | instid1(VALU_DEP_2)
	v_add_nc_u32_e32 v15, v15, v18
	v_xor_b32_e32 v17, 1, v17
	s_delay_alu instid0(VALU_DEP_2) | instskip(NEXT) | instid1(VALU_DEP_1)
	v_and_b32_e32 v14, 0xfffff, v15
	v_add_nc_u32_e32 v15, v14, v18
                                        ; implicit-def: $vgpr14
	s_delay_alu instid0(VALU_DEP_3)
	v_cmpx_ne_u32_e64 v16, v17
	s_xor_b32 s11, exec_lo, s11
; %bb.194:                              ;   in Loop: Header=BB6_142 Depth=2
	s_delay_alu instid0(VALU_DEP_2) | instskip(SKIP_2) | instid1(VALU_DEP_2)
	v_cmp_lt_u32_e32 vcc_lo, 0xffffff, v15
	v_sub_nc_u32_e32 v14, v16, v17
	v_cndmask_b32_e64 v16, 0, 1, vcc_lo
	v_add_co_ci_u32_e32 v14, vcc_lo, 0, v14, vcc_lo
	s_delay_alu instid0(VALU_DEP_2)
	v_lshrrev_b32_e32 v15, v16, v15
; %bb.195:                              ;   in Loop: Header=BB6_142 Depth=2
	s_and_not1_saveexec_b32 s11, s11
; %bb.196:                              ;   in Loop: Header=BB6_142 Depth=2
	s_delay_alu instid0(VALU_DEP_1)
	v_bfe_u32 v14, v15, 23, 1
; %bb.197:                              ;   in Loop: Header=BB6_142 Depth=2
	s_or_b32 exec_lo, exec_lo, s11
	v_lshrrev_b32_e32 v15, 20, v15
	s_delay_alu instid0(VALU_DEP_2) | instskip(SKIP_2) | instid1(VALU_DEP_2)
	v_cmp_gt_i32_e32 vcc_lo, 16, v14
	v_lshrrev_b32_e32 v10, 24, v10
	v_min_i32_e32 v16, 15, v14
	v_dual_cndmask_b32 v15, 7, v15 :: v_dual_and_b32 v10, 0x80, v10
	s_delay_alu instid0(VALU_DEP_2) | instskip(NEXT) | instid1(VALU_DEP_2)
	v_lshlrev_b32_e32 v16, 3, v16
	v_or_b32_e32 v14, v14, v15
	s_delay_alu instid0(VALU_DEP_1) | instskip(SKIP_1) | instid1(VALU_DEP_1)
	v_cmp_ne_u32_e32 vcc_lo, 0, v14
	v_and_b32_e32 v17, 7, v15
	v_or3_b32 v10, v16, v10, v17
	s_delay_alu instid0(VALU_DEP_1)
	v_cndmask_b32_e32 v160, 0, v10, vcc_lo
.LBB6_198:                              ;   in Loop: Header=BB6_142 Depth=2
	s_or_b32 exec_lo, exec_lo, s27
.LBB6_199:                              ;   in Loop: Header=BB6_142 Depth=2
	s_delay_alu instid0(SALU_CYCLE_1) | instskip(SKIP_3) | instid1(VALU_DEP_1)
	s_or_b32 exec_lo, exec_lo, s26
	v_and_b32_e32 v14, 0xff, v11
	s_mov_b32 s11, 0
	s_mov_b32 s27, exec_lo
                                        ; implicit-def: $sgpr26
	v_cmpx_lt_i16_e32 0x7f, v14
	s_xor_b32 s27, exec_lo, s27
	s_cbranch_execnz .LBB6_1957
; %bb.200:                              ;   in Loop: Header=BB6_142 Depth=2
	s_or_saveexec_b32 s27, s27
	v_mov_b32_e32 v10, s26
	s_xor_b32 exec_lo, exec_lo, s27
	s_cbranch_execnz .LBB6_1960
.LBB6_201:                              ;   in Loop: Header=BB6_142 Depth=2
	s_or_b32 exec_lo, exec_lo, s27
	s_and_saveexec_b32 s26, s11
	s_cbranch_execz .LBB6_203
.LBB6_202:                              ;   in Loop: Header=BB6_142 Depth=2
	v_and_b32_e32 v10, 7, v11
	v_bfe_u32 v16, v11, 3, 4
	v_lshlrev_b32_e32 v17, 24, v11
	s_delay_alu instid0(VALU_DEP_3) | instskip(NEXT) | instid1(VALU_DEP_3)
	v_clz_i32_u32_e32 v14, v10
	v_cmp_eq_u32_e32 vcc_lo, 0, v16
	s_delay_alu instid0(VALU_DEP_2) | instskip(NEXT) | instid1(VALU_DEP_1)
	v_min_u32_e32 v14, 32, v14
	v_subrev_nc_u32_e32 v15, 28, v14
	v_sub_nc_u32_e32 v14, 29, v14
	s_delay_alu instid0(VALU_DEP_1) | instskip(NEXT) | instid1(VALU_DEP_1)
	v_dual_cndmask_b32 v14, v16, v14 :: v_dual_lshlrev_b32 v15, v15, v11
	v_and_b32_e32 v15, 7, v15
	s_delay_alu instid0(VALU_DEP_2) | instskip(NEXT) | instid1(VALU_DEP_2)
	v_lshl_add_u32 v14, v14, 23, 0x3b800000
	v_dual_cndmask_b32 v10, v10, v15 :: v_dual_and_b32 v15, 0x80000000, v17
	s_delay_alu instid0(VALU_DEP_1) | instskip(NEXT) | instid1(VALU_DEP_1)
	v_lshlrev_b32_e32 v10, 20, v10
	v_or3_b32 v10, v15, v14, v10
.LBB6_203:                              ;   in Loop: Header=BB6_142 Depth=2
	s_or_b32 exec_lo, exec_lo, s26
	s_delay_alu instid0(VALU_DEP_1) | instskip(SKIP_2) | instid1(VALU_DEP_2)
	v_mul_f32_e32 v10, s25, v10
	v_mov_b32_e32 v148, 0x80
	s_mov_b32 s26, exec_lo
	v_and_b32_e32 v14, 0x7f800000, v10
	s_delay_alu instid0(VALU_DEP_1)
	v_cmpx_ne_u32_e32 0x7f800000, v14
	s_cbranch_execz .LBB6_211
; %bb.204:                              ;   in Loop: Header=BB6_142 Depth=2
	v_mov_b32_e32 v148, 0
	s_mov_b32 s27, exec_lo
	v_cmpx_ne_u32_e32 0, v10
	s_cbranch_execz .LBB6_210
; %bb.205:                              ;   in Loop: Header=BB6_142 Depth=2
	v_bfe_u32 v14, v10, 23, 8
	s_delay_alu instid0(VALU_DEP_1) | instskip(SKIP_1) | instid1(VALU_DEP_2)
	v_sub_nc_u32_e32 v16, 0x78, v14
	v_cmp_gt_u32_e32 vcc_lo, 0x79, v14
	v_dual_cndmask_b32 v16, 0, v16 :: v_dual_and_b32 v15, 0x7fffff, v10
	s_delay_alu instid0(VALU_DEP_1) | instskip(SKIP_2) | instid1(VALU_DEP_4)
	v_or_b32_e32 v17, 0x800000, v15
	v_cmp_eq_u32_e32 vcc_lo, 0, v14
	v_add_nc_u32_e32 v14, 0xffffff89, v14
	v_cndmask_b32_e64 v16, v16, 0x77, vcc_lo
	s_delay_alu instid0(VALU_DEP_4) | instskip(NEXT) | instid1(VALU_DEP_3)
	v_cndmask_b32_e32 v15, v17, v15, vcc_lo
	v_cndmask_b32_e64 v14, v14, 0xffffff8a, vcc_lo
	s_delay_alu instid0(VALU_DEP_3) | instskip(NEXT) | instid1(VALU_DEP_3)
	v_lshl_add_u32 v17, 0x100000, v16, -1
	v_lshrrev_b32_e32 v18, v16, v15
	v_lshlrev_b32_e64 v20, v16, 0x80000
	s_delay_alu instid0(VALU_DEP_4) | instskip(NEXT) | instid1(VALU_DEP_4)
	v_add_nc_u32_e32 v16, v16, v14
	v_and_b32_e32 v15, v17, v15
	s_delay_alu instid0(VALU_DEP_4) | instskip(NEXT) | instid1(VALU_DEP_2)
	v_bfe_u32 v19, v18, 20, 1
	v_cmp_eq_u32_e64 s11, v15, v20
	s_delay_alu instid0(VALU_DEP_2) | instskip(NEXT) | instid1(VALU_DEP_1)
	v_add_nc_u32_e32 v17, -1, v19
	v_cndmask_b32_e64 v15, 0, v17, s11
	v_lshrrev_b32_e32 v17, 23, v18
	s_mov_b32 s11, exec_lo
	s_delay_alu instid0(VALU_DEP_2) | instskip(NEXT) | instid1(VALU_DEP_2)
	v_add_nc_u32_e32 v15, v15, v18
	v_xor_b32_e32 v17, 1, v17
	s_delay_alu instid0(VALU_DEP_2) | instskip(NEXT) | instid1(VALU_DEP_1)
	v_and_b32_e32 v14, 0xfffff, v15
	v_add_nc_u32_e32 v15, v14, v18
                                        ; implicit-def: $vgpr14
	s_delay_alu instid0(VALU_DEP_3)
	v_cmpx_ne_u32_e64 v16, v17
	s_xor_b32 s11, exec_lo, s11
; %bb.206:                              ;   in Loop: Header=BB6_142 Depth=2
	s_delay_alu instid0(VALU_DEP_2) | instskip(SKIP_2) | instid1(VALU_DEP_2)
	v_cmp_lt_u32_e32 vcc_lo, 0xffffff, v15
	v_sub_nc_u32_e32 v14, v16, v17
	v_cndmask_b32_e64 v16, 0, 1, vcc_lo
	v_add_co_ci_u32_e32 v14, vcc_lo, 0, v14, vcc_lo
	s_delay_alu instid0(VALU_DEP_2)
	v_lshrrev_b32_e32 v15, v16, v15
; %bb.207:                              ;   in Loop: Header=BB6_142 Depth=2
	s_and_not1_saveexec_b32 s11, s11
; %bb.208:                              ;   in Loop: Header=BB6_142 Depth=2
	s_delay_alu instid0(VALU_DEP_1)
	v_bfe_u32 v14, v15, 23, 1
; %bb.209:                              ;   in Loop: Header=BB6_142 Depth=2
	s_or_b32 exec_lo, exec_lo, s11
	v_lshrrev_b32_e32 v15, 20, v15
	s_delay_alu instid0(VALU_DEP_2) | instskip(SKIP_2) | instid1(VALU_DEP_2)
	v_cmp_gt_i32_e32 vcc_lo, 16, v14
	v_min_i32_e32 v16, 15, v14
	v_lshrrev_b32_e32 v10, 24, v10
	v_dual_cndmask_b32 v15, 7, v15 :: v_dual_lshlrev_b32 v16, 3, v16
	s_delay_alu instid0(VALU_DEP_2) | instskip(NEXT) | instid1(VALU_DEP_2)
	v_and_b32_e32 v10, 0x80, v10
	v_or_b32_e32 v14, v14, v15
	s_delay_alu instid0(VALU_DEP_3) | instskip(NEXT) | instid1(VALU_DEP_2)
	v_and_b32_e32 v16, 0xf8, v16
	v_cmp_ne_u32_e32 vcc_lo, 0, v14
	v_and_b32_e32 v17, 7, v15
	s_delay_alu instid0(VALU_DEP_1) | instskip(NEXT) | instid1(VALU_DEP_1)
	v_or3_b32 v10, v16, v10, v17
	v_cndmask_b32_e32 v148, 0, v10, vcc_lo
.LBB6_210:                              ;   in Loop: Header=BB6_142 Depth=2
	s_or_b32 exec_lo, exec_lo, s27
.LBB6_211:                              ;   in Loop: Header=BB6_142 Depth=2
	s_delay_alu instid0(SALU_CYCLE_1) | instskip(SKIP_3) | instid1(VALU_DEP_1)
	s_or_b32 exec_lo, exec_lo, s26
	v_lshrrev_b16 v10, 8, v11
	s_mov_b32 s11, 0
	s_mov_b32 s27, exec_lo
                                        ; implicit-def: $sgpr26
	v_cmpx_lt_i16_e32 0x7f, v10
	s_xor_b32 s27, exec_lo, s27
	s_cbranch_execnz .LBB6_1961
; %bb.212:                              ;   in Loop: Header=BB6_142 Depth=2
	s_or_saveexec_b32 s27, s27
	v_mov_b32_e32 v14, s26
	s_xor_b32 exec_lo, exec_lo, s27
	s_cbranch_execnz .LBB6_1964
.LBB6_213:                              ;   in Loop: Header=BB6_142 Depth=2
	s_or_b32 exec_lo, exec_lo, s27
	s_and_saveexec_b32 s26, s11
	s_cbranch_execz .LBB6_215
.LBB6_214:                              ;   in Loop: Header=BB6_142 Depth=2
	v_and_b32_e32 v14, 0xffff, v10
	v_lshlrev_b32_e32 v10, 24, v10
	s_delay_alu instid0(VALU_DEP_2) | instskip(NEXT) | instid1(VALU_DEP_2)
	v_and_b32_e32 v15, 7, v14
	v_and_b32_e32 v10, 0x80000000, v10
	s_delay_alu instid0(VALU_DEP_2) | instskip(NEXT) | instid1(VALU_DEP_1)
	v_clz_i32_u32_e32 v16, v15
	v_min_u32_e32 v16, 32, v16
	s_delay_alu instid0(VALU_DEP_1) | instskip(SKIP_1) | instid1(VALU_DEP_2)
	v_subrev_nc_u32_e32 v17, 28, v16
	v_sub_nc_u32_e32 v16, 29, v16
	v_lshlrev_b32_e32 v17, v17, v14
	v_bfe_u32 v14, v14, 3, 4
	s_delay_alu instid0(VALU_DEP_2) | instskip(NEXT) | instid1(VALU_DEP_2)
	v_and_b32_e32 v17, 7, v17
	v_cmp_eq_u32_e32 vcc_lo, 0, v14
	s_delay_alu instid0(VALU_DEP_2) | instskip(NEXT) | instid1(VALU_DEP_1)
	v_dual_cndmask_b32 v14, v14, v16 :: v_dual_cndmask_b32 v15, v15, v17
	v_lshl_add_u32 v14, v14, 23, 0x3b800000
	s_delay_alu instid0(VALU_DEP_2) | instskip(NEXT) | instid1(VALU_DEP_1)
	v_lshlrev_b32_e32 v15, 20, v15
	v_or3_b32 v14, v10, v14, v15
.LBB6_215:                              ;   in Loop: Header=BB6_142 Depth=2
	s_or_b32 exec_lo, exec_lo, s26
	s_delay_alu instid0(VALU_DEP_1) | instskip(SKIP_1) | instid1(VALU_DEP_1)
	v_dual_mul_f32 v10, s25, v14 :: v_dual_mov_b32 v91, 0x8000
	s_mov_b32 s26, exec_lo
	v_and_b32_e32 v14, 0x7f800000, v10
	s_delay_alu instid0(VALU_DEP_1)
	v_cmpx_ne_u32_e32 0x7f800000, v14
	s_cbranch_execz .LBB6_223
; %bb.216:                              ;   in Loop: Header=BB6_142 Depth=2
	v_mov_b32_e32 v91, 0
	s_mov_b32 s27, exec_lo
	v_cmpx_ne_u32_e32 0, v10
	s_cbranch_execz .LBB6_222
; %bb.217:                              ;   in Loop: Header=BB6_142 Depth=2
	v_bfe_u32 v14, v10, 23, 8
	s_delay_alu instid0(VALU_DEP_1) | instskip(SKIP_1) | instid1(VALU_DEP_2)
	v_sub_nc_u32_e32 v16, 0x78, v14
	v_cmp_gt_u32_e32 vcc_lo, 0x79, v14
	v_dual_cndmask_b32 v16, 0, v16 :: v_dual_and_b32 v15, 0x7fffff, v10
	s_delay_alu instid0(VALU_DEP_1) | instskip(SKIP_2) | instid1(VALU_DEP_4)
	v_or_b32_e32 v17, 0x800000, v15
	v_cmp_eq_u32_e32 vcc_lo, 0, v14
	v_add_nc_u32_e32 v14, 0xffffff89, v14
	v_cndmask_b32_e64 v16, v16, 0x77, vcc_lo
	s_delay_alu instid0(VALU_DEP_4) | instskip(NEXT) | instid1(VALU_DEP_3)
	v_cndmask_b32_e32 v15, v17, v15, vcc_lo
	v_cndmask_b32_e64 v14, v14, 0xffffff8a, vcc_lo
	s_delay_alu instid0(VALU_DEP_3) | instskip(NEXT) | instid1(VALU_DEP_3)
	v_lshl_add_u32 v17, 0x100000, v16, -1
	v_lshrrev_b32_e32 v18, v16, v15
	v_lshlrev_b32_e64 v20, v16, 0x80000
	s_delay_alu instid0(VALU_DEP_4) | instskip(NEXT) | instid1(VALU_DEP_4)
	v_add_nc_u32_e32 v16, v16, v14
	v_and_b32_e32 v15, v17, v15
	s_delay_alu instid0(VALU_DEP_4) | instskip(NEXT) | instid1(VALU_DEP_2)
	v_bfe_u32 v19, v18, 20, 1
	v_cmp_eq_u32_e64 s11, v15, v20
	s_delay_alu instid0(VALU_DEP_2) | instskip(NEXT) | instid1(VALU_DEP_1)
	v_add_nc_u32_e32 v17, -1, v19
	v_cndmask_b32_e64 v15, 0, v17, s11
	v_lshrrev_b32_e32 v17, 23, v18
	s_mov_b32 s11, exec_lo
	s_delay_alu instid0(VALU_DEP_2) | instskip(NEXT) | instid1(VALU_DEP_2)
	v_add_nc_u32_e32 v15, v15, v18
	v_xor_b32_e32 v17, 1, v17
	s_delay_alu instid0(VALU_DEP_2) | instskip(NEXT) | instid1(VALU_DEP_1)
	v_and_b32_e32 v14, 0xfffff, v15
	v_add_nc_u32_e32 v15, v14, v18
                                        ; implicit-def: $vgpr14
	s_delay_alu instid0(VALU_DEP_3)
	v_cmpx_ne_u32_e64 v16, v17
	s_xor_b32 s11, exec_lo, s11
; %bb.218:                              ;   in Loop: Header=BB6_142 Depth=2
	s_delay_alu instid0(VALU_DEP_2) | instskip(SKIP_2) | instid1(VALU_DEP_2)
	v_cmp_lt_u32_e32 vcc_lo, 0xffffff, v15
	v_sub_nc_u32_e32 v14, v16, v17
	v_cndmask_b32_e64 v16, 0, 1, vcc_lo
	v_add_co_ci_u32_e32 v14, vcc_lo, 0, v14, vcc_lo
	s_delay_alu instid0(VALU_DEP_2)
	v_lshrrev_b32_e32 v15, v16, v15
; %bb.219:                              ;   in Loop: Header=BB6_142 Depth=2
	s_and_not1_saveexec_b32 s11, s11
; %bb.220:                              ;   in Loop: Header=BB6_142 Depth=2
	s_delay_alu instid0(VALU_DEP_1)
	v_bfe_u32 v14, v15, 23, 1
; %bb.221:                              ;   in Loop: Header=BB6_142 Depth=2
	s_or_b32 exec_lo, exec_lo, s11
	v_lshrrev_b32_e32 v15, 20, v15
	s_delay_alu instid0(VALU_DEP_2) | instskip(SKIP_2) | instid1(VALU_DEP_2)
	v_cmp_gt_i32_e32 vcc_lo, 16, v14
	v_min_i32_e32 v16, 15, v14
	v_lshrrev_b32_e32 v10, 24, v10
	v_dual_cndmask_b32 v15, 7, v15 :: v_dual_lshlrev_b32 v16, 3, v16
	s_delay_alu instid0(VALU_DEP_2) | instskip(NEXT) | instid1(VALU_DEP_2)
	v_and_b32_e32 v10, 0x80, v10
	v_or_b32_e32 v14, v14, v15
	v_and_b32_e32 v17, 7, v15
	s_delay_alu instid0(VALU_DEP_2) | instskip(SKIP_1) | instid1(VALU_DEP_1)
	v_cmp_ne_u32_e32 vcc_lo, 0, v14
	v_and_b32_e32 v16, 0xf8, v16
	v_or3_b32 v10, v10, v16, v17
	s_delay_alu instid0(VALU_DEP_1) | instskip(NEXT) | instid1(VALU_DEP_1)
	v_lshlrev_b32_e32 v10, 8, v10
	v_cndmask_b32_e32 v91, 0, v10, vcc_lo
.LBB6_222:                              ;   in Loop: Header=BB6_142 Depth=2
	s_or_b32 exec_lo, exec_lo, s27
.LBB6_223:                              ;   in Loop: Header=BB6_142 Depth=2
	s_delay_alu instid0(SALU_CYCLE_1) | instskip(SKIP_3) | instid1(VALU_DEP_1)
	s_or_b32 exec_lo, exec_lo, s26
	v_lshrrev_b32_e32 v10, 16, v11
	s_mov_b32 s11, 0
	s_mov_b32 s27, exec_lo
                                        ; implicit-def: $sgpr26
	v_and_b32_e32 v15, 0xff, v10
	s_delay_alu instid0(VALU_DEP_1)
	v_cmpx_lt_i16_e32 0x7f, v15
	s_xor_b32 s27, exec_lo, s27
	s_cbranch_execnz .LBB6_1965
; %bb.224:                              ;   in Loop: Header=BB6_142 Depth=2
	s_or_saveexec_b32 s27, s27
	v_mov_b32_e32 v14, s26
	s_xor_b32 exec_lo, exec_lo, s27
	s_cbranch_execnz .LBB6_1968
.LBB6_225:                              ;   in Loop: Header=BB6_142 Depth=2
	s_or_b32 exec_lo, exec_lo, s27
	s_and_saveexec_b32 s26, s11
	s_cbranch_execz .LBB6_227
.LBB6_226:                              ;   in Loop: Header=BB6_142 Depth=2
	v_bfe_u32 v14, v11, 16, 3
	s_delay_alu instid0(VALU_DEP_1) | instskip(NEXT) | instid1(VALU_DEP_1)
	v_clz_i32_u32_e32 v15, v14
	v_min_u32_e32 v15, 32, v15
	s_delay_alu instid0(VALU_DEP_1) | instskip(SKIP_1) | instid1(VALU_DEP_2)
	v_subrev_nc_u32_e32 v16, 28, v15
	v_sub_nc_u32_e32 v15, 29, v15
	v_lshlrev_b32_e32 v10, v16, v10
	v_bfe_u32 v16, v11, 19, 4
	s_delay_alu instid0(VALU_DEP_1) | instskip(NEXT) | instid1(VALU_DEP_3)
	v_cmp_eq_u32_e32 vcc_lo, 0, v16
	v_dual_cndmask_b32 v15, v16, v15 :: v_dual_and_b32 v10, 7, v10
	s_delay_alu instid0(VALU_DEP_1) | instskip(NEXT) | instid1(VALU_DEP_2)
	v_dual_cndmask_b32 v10, v14, v10 :: v_dual_lshlrev_b32 v17, 8, v11
	v_lshl_add_u32 v15, v15, 23, 0x3b800000
	s_delay_alu instid0(VALU_DEP_2) | instskip(NEXT) | instid1(VALU_DEP_3)
	v_and_b32_e32 v14, 0x80000000, v17
	v_lshlrev_b32_e32 v10, 20, v10
	s_delay_alu instid0(VALU_DEP_1)
	v_or3_b32 v14, v14, v15, v10
.LBB6_227:                              ;   in Loop: Header=BB6_142 Depth=2
	s_or_b32 exec_lo, exec_lo, s26
	s_delay_alu instid0(VALU_DEP_1) | instskip(SKIP_1) | instid1(VALU_DEP_1)
	v_dual_mul_f32 v10, s25, v14 :: v_dual_mov_b32 v165, 0x80
	s_mov_b32 s26, exec_lo
	v_and_b32_e32 v14, 0x7f800000, v10
	s_delay_alu instid0(VALU_DEP_1)
	v_cmpx_ne_u32_e32 0x7f800000, v14
	s_cbranch_execz .LBB6_235
; %bb.228:                              ;   in Loop: Header=BB6_142 Depth=2
	v_mov_b32_e32 v165, 0
	s_mov_b32 s27, exec_lo
	v_cmpx_ne_u32_e32 0, v10
	s_cbranch_execz .LBB6_234
; %bb.229:                              ;   in Loop: Header=BB6_142 Depth=2
	v_bfe_u32 v14, v10, 23, 8
	s_delay_alu instid0(VALU_DEP_1) | instskip(SKIP_1) | instid1(VALU_DEP_2)
	v_sub_nc_u32_e32 v16, 0x78, v14
	v_cmp_gt_u32_e32 vcc_lo, 0x79, v14
	v_dual_cndmask_b32 v16, 0, v16 :: v_dual_and_b32 v15, 0x7fffff, v10
	s_delay_alu instid0(VALU_DEP_1) | instskip(SKIP_2) | instid1(VALU_DEP_4)
	v_or_b32_e32 v17, 0x800000, v15
	v_cmp_eq_u32_e32 vcc_lo, 0, v14
	v_add_nc_u32_e32 v14, 0xffffff89, v14
	v_cndmask_b32_e64 v16, v16, 0x77, vcc_lo
	s_delay_alu instid0(VALU_DEP_4) | instskip(NEXT) | instid1(VALU_DEP_3)
	v_cndmask_b32_e32 v15, v17, v15, vcc_lo
	v_cndmask_b32_e64 v14, v14, 0xffffff8a, vcc_lo
	s_delay_alu instid0(VALU_DEP_3) | instskip(NEXT) | instid1(VALU_DEP_3)
	v_lshl_add_u32 v17, 0x100000, v16, -1
	v_lshrrev_b32_e32 v18, v16, v15
	v_lshlrev_b32_e64 v20, v16, 0x80000
	s_delay_alu instid0(VALU_DEP_4) | instskip(NEXT) | instid1(VALU_DEP_4)
	v_add_nc_u32_e32 v16, v16, v14
	v_and_b32_e32 v15, v17, v15
	s_delay_alu instid0(VALU_DEP_4) | instskip(NEXT) | instid1(VALU_DEP_2)
	v_bfe_u32 v19, v18, 20, 1
	v_cmp_eq_u32_e64 s11, v15, v20
	s_delay_alu instid0(VALU_DEP_2) | instskip(NEXT) | instid1(VALU_DEP_1)
	v_add_nc_u32_e32 v17, -1, v19
	v_cndmask_b32_e64 v15, 0, v17, s11
	v_lshrrev_b32_e32 v17, 23, v18
	s_mov_b32 s11, exec_lo
	s_delay_alu instid0(VALU_DEP_2) | instskip(NEXT) | instid1(VALU_DEP_2)
	v_add_nc_u32_e32 v15, v15, v18
	v_xor_b32_e32 v17, 1, v17
	s_delay_alu instid0(VALU_DEP_2) | instskip(NEXT) | instid1(VALU_DEP_1)
	v_and_b32_e32 v14, 0xfffff, v15
	v_add_nc_u32_e32 v15, v14, v18
                                        ; implicit-def: $vgpr14
	s_delay_alu instid0(VALU_DEP_3)
	v_cmpx_ne_u32_e64 v16, v17
	s_xor_b32 s11, exec_lo, s11
; %bb.230:                              ;   in Loop: Header=BB6_142 Depth=2
	s_delay_alu instid0(VALU_DEP_2) | instskip(SKIP_2) | instid1(VALU_DEP_2)
	v_cmp_lt_u32_e32 vcc_lo, 0xffffff, v15
	v_sub_nc_u32_e32 v14, v16, v17
	v_cndmask_b32_e64 v16, 0, 1, vcc_lo
	v_add_co_ci_u32_e32 v14, vcc_lo, 0, v14, vcc_lo
	s_delay_alu instid0(VALU_DEP_2)
	v_lshrrev_b32_e32 v15, v16, v15
; %bb.231:                              ;   in Loop: Header=BB6_142 Depth=2
	s_and_not1_saveexec_b32 s11, s11
; %bb.232:                              ;   in Loop: Header=BB6_142 Depth=2
	s_delay_alu instid0(VALU_DEP_1)
	v_bfe_u32 v14, v15, 23, 1
; %bb.233:                              ;   in Loop: Header=BB6_142 Depth=2
	s_or_b32 exec_lo, exec_lo, s11
	v_lshrrev_b32_e32 v15, 20, v15
	s_delay_alu instid0(VALU_DEP_2) | instskip(SKIP_2) | instid1(VALU_DEP_2)
	v_cmp_gt_i32_e32 vcc_lo, 16, v14
	v_min_i32_e32 v16, 15, v14
	v_lshrrev_b32_e32 v10, 24, v10
	v_dual_cndmask_b32 v15, 7, v15 :: v_dual_lshlrev_b32 v16, 3, v16
	s_delay_alu instid0(VALU_DEP_2) | instskip(NEXT) | instid1(VALU_DEP_2)
	v_and_b32_e32 v10, 0x80, v10
	v_or_b32_e32 v14, v14, v15
	v_and_b32_e32 v17, 7, v15
	s_delay_alu instid0(VALU_DEP_2) | instskip(SKIP_1) | instid1(VALU_DEP_1)
	v_cmp_ne_u32_e32 vcc_lo, 0, v14
	v_and_b32_e32 v16, 0xf8, v16
	v_or3_b32 v10, v16, v10, v17
	s_delay_alu instid0(VALU_DEP_1)
	v_cndmask_b32_e32 v165, 0, v10, vcc_lo
.LBB6_234:                              ;   in Loop: Header=BB6_142 Depth=2
	s_or_b32 exec_lo, exec_lo, s27
.LBB6_235:                              ;   in Loop: Header=BB6_142 Depth=2
	s_delay_alu instid0(SALU_CYCLE_1) | instskip(SKIP_3) | instid1(VALU_DEP_1)
	s_or_b32 exec_lo, exec_lo, s26
	v_lshrrev_b32_e32 v10, 24, v11
	s_mov_b32 s11, 0
	s_mov_b32 s27, exec_lo
                                        ; implicit-def: $sgpr26
	v_cmpx_lt_i16_e32 0x7f, v10
	s_xor_b32 s27, exec_lo, s27
	s_cbranch_execnz .LBB6_1969
; %bb.236:                              ;   in Loop: Header=BB6_142 Depth=2
	s_or_saveexec_b32 s27, s27
	v_mov_b32_e32 v14, s26
	s_xor_b32 exec_lo, exec_lo, s27
	s_cbranch_execnz .LBB6_1972
.LBB6_237:                              ;   in Loop: Header=BB6_142 Depth=2
	s_or_b32 exec_lo, exec_lo, s27
	s_and_saveexec_b32 s26, s11
	s_cbranch_execz .LBB6_239
.LBB6_238:                              ;   in Loop: Header=BB6_142 Depth=2
	v_bfe_u32 v14, v11, 24, 3
	s_delay_alu instid0(VALU_DEP_1) | instskip(NEXT) | instid1(VALU_DEP_1)
	v_clz_i32_u32_e32 v15, v14
	v_min_u32_e32 v15, 32, v15
	s_delay_alu instid0(VALU_DEP_1) | instskip(SKIP_1) | instid1(VALU_DEP_2)
	v_subrev_nc_u32_e32 v16, 28, v15
	v_sub_nc_u32_e32 v15, 29, v15
	v_lshlrev_b32_e32 v10, v16, v10
	v_bfe_u32 v16, v11, 27, 4
	v_and_b32_e32 v11, 0x80000000, v11
	s_delay_alu instid0(VALU_DEP_2) | instskip(NEXT) | instid1(VALU_DEP_4)
	v_cmp_eq_u32_e32 vcc_lo, 0, v16
	v_dual_cndmask_b32 v15, v16, v15 :: v_dual_and_b32 v10, 7, v10
	s_delay_alu instid0(VALU_DEP_1) | instskip(NEXT) | instid1(VALU_DEP_2)
	v_cndmask_b32_e32 v10, v14, v10, vcc_lo
	v_lshl_add_u32 v14, v15, 23, 0x3b800000
	s_delay_alu instid0(VALU_DEP_2) | instskip(NEXT) | instid1(VALU_DEP_1)
	v_lshlrev_b32_e32 v10, 20, v10
	v_or3_b32 v14, v11, v14, v10
.LBB6_239:                              ;   in Loop: Header=BB6_142 Depth=2
	s_or_b32 exec_lo, exec_lo, s26
	s_delay_alu instid0(VALU_DEP_1) | instskip(SKIP_2) | instid1(VALU_DEP_2)
	v_mul_f32_e32 v10, s25, v14
	v_mov_b32_e32 v90, 0x8000
	s_mov_b32 s26, exec_lo
	v_and_b32_e32 v11, 0x7f800000, v10
	s_delay_alu instid0(VALU_DEP_1)
	v_cmpx_ne_u32_e32 0x7f800000, v11
	s_cbranch_execz .LBB6_247
; %bb.240:                              ;   in Loop: Header=BB6_142 Depth=2
	v_mov_b32_e32 v90, 0
	s_mov_b32 s27, exec_lo
	v_cmpx_ne_u32_e32 0, v10
	s_cbranch_execz .LBB6_246
; %bb.241:                              ;   in Loop: Header=BB6_142 Depth=2
	v_bfe_u32 v11, v10, 23, 8
	s_delay_alu instid0(VALU_DEP_1) | instskip(SKIP_1) | instid1(VALU_DEP_2)
	v_sub_nc_u32_e32 v15, 0x78, v11
	v_cmp_gt_u32_e32 vcc_lo, 0x79, v11
	v_dual_cndmask_b32 v15, 0, v15 :: v_dual_and_b32 v14, 0x7fffff, v10
	s_delay_alu instid0(VALU_DEP_1) | instskip(SKIP_2) | instid1(VALU_DEP_4)
	v_or_b32_e32 v16, 0x800000, v14
	v_cmp_eq_u32_e32 vcc_lo, 0, v11
	v_add_nc_u32_e32 v11, 0xffffff89, v11
	v_cndmask_b32_e64 v15, v15, 0x77, vcc_lo
	s_delay_alu instid0(VALU_DEP_4) | instskip(NEXT) | instid1(VALU_DEP_3)
	v_cndmask_b32_e32 v14, v16, v14, vcc_lo
	v_cndmask_b32_e64 v11, v11, 0xffffff8a, vcc_lo
	s_delay_alu instid0(VALU_DEP_3) | instskip(NEXT) | instid1(VALU_DEP_3)
	v_lshl_add_u32 v16, 0x100000, v15, -1
	v_lshrrev_b32_e32 v17, v15, v14
	v_lshlrev_b32_e64 v19, v15, 0x80000
	s_delay_alu instid0(VALU_DEP_4) | instskip(NEXT) | instid1(VALU_DEP_4)
	v_add_nc_u32_e32 v15, v15, v11
	v_and_b32_e32 v14, v16, v14
	s_delay_alu instid0(VALU_DEP_4) | instskip(NEXT) | instid1(VALU_DEP_2)
	v_bfe_u32 v18, v17, 20, 1
	v_cmp_eq_u32_e64 s11, v14, v19
	s_delay_alu instid0(VALU_DEP_2) | instskip(NEXT) | instid1(VALU_DEP_1)
	v_add_nc_u32_e32 v16, -1, v18
	v_cndmask_b32_e64 v14, 0, v16, s11
	v_lshrrev_b32_e32 v16, 23, v17
	s_mov_b32 s11, exec_lo
	s_delay_alu instid0(VALU_DEP_2) | instskip(NEXT) | instid1(VALU_DEP_2)
	v_add_nc_u32_e32 v14, v14, v17
	v_xor_b32_e32 v16, 1, v16
	s_delay_alu instid0(VALU_DEP_2) | instskip(NEXT) | instid1(VALU_DEP_1)
	v_and_b32_e32 v11, 0xfffff, v14
	v_add_nc_u32_e32 v14, v11, v17
                                        ; implicit-def: $vgpr11
	s_delay_alu instid0(VALU_DEP_3)
	v_cmpx_ne_u32_e64 v15, v16
	s_xor_b32 s11, exec_lo, s11
; %bb.242:                              ;   in Loop: Header=BB6_142 Depth=2
	s_delay_alu instid0(VALU_DEP_2) | instskip(SKIP_2) | instid1(VALU_DEP_2)
	v_cmp_lt_u32_e32 vcc_lo, 0xffffff, v14
	v_sub_nc_u32_e32 v11, v15, v16
	v_cndmask_b32_e64 v15, 0, 1, vcc_lo
	v_add_co_ci_u32_e32 v11, vcc_lo, 0, v11, vcc_lo
	s_delay_alu instid0(VALU_DEP_2)
	v_lshrrev_b32_e32 v14, v15, v14
; %bb.243:                              ;   in Loop: Header=BB6_142 Depth=2
	s_and_not1_saveexec_b32 s11, s11
; %bb.244:                              ;   in Loop: Header=BB6_142 Depth=2
	s_delay_alu instid0(VALU_DEP_1)
	v_bfe_u32 v11, v14, 23, 1
; %bb.245:                              ;   in Loop: Header=BB6_142 Depth=2
	s_or_b32 exec_lo, exec_lo, s11
	v_lshrrev_b32_e32 v14, 20, v14
	s_delay_alu instid0(VALU_DEP_2) | instskip(SKIP_2) | instid1(VALU_DEP_2)
	v_cmp_gt_i32_e32 vcc_lo, 16, v11
	v_min_i32_e32 v15, 15, v11
	v_lshrrev_b32_e32 v10, 24, v10
	v_dual_cndmask_b32 v14, 7, v14 :: v_dual_lshlrev_b32 v15, 3, v15
	s_delay_alu instid0(VALU_DEP_2) | instskip(NEXT) | instid1(VALU_DEP_2)
	v_and_b32_e32 v10, 0x80, v10
	v_or_b32_e32 v11, v11, v14
	v_and_b32_e32 v16, 7, v14
	s_delay_alu instid0(VALU_DEP_2) | instskip(SKIP_1) | instid1(VALU_DEP_1)
	v_cmp_ne_u32_e32 vcc_lo, 0, v11
	v_and_b32_e32 v15, 0xf8, v15
	v_or3_b32 v10, v10, v15, v16
	s_delay_alu instid0(VALU_DEP_1) | instskip(NEXT) | instid1(VALU_DEP_1)
	v_lshlrev_b32_e32 v10, 8, v10
	v_cndmask_b32_e32 v90, 0, v10, vcc_lo
.LBB6_246:                              ;   in Loop: Header=BB6_142 Depth=2
	s_or_b32 exec_lo, exec_lo, s27
.LBB6_247:                              ;   in Loop: Header=BB6_142 Depth=2
	s_delay_alu instid0(SALU_CYCLE_1) | instskip(SKIP_3) | instid1(VALU_DEP_1)
	s_or_b32 exec_lo, exec_lo, s26
	v_and_b32_e32 v11, 0xff, v12
	s_mov_b32 s11, 0
	s_mov_b32 s27, exec_lo
                                        ; implicit-def: $sgpr26
	v_cmpx_lt_i16_e32 0x7f, v11
	s_xor_b32 s27, exec_lo, s27
	s_cbranch_execnz .LBB6_1973
; %bb.248:                              ;   in Loop: Header=BB6_142 Depth=2
	s_or_saveexec_b32 s27, s27
	v_mov_b32_e32 v10, s26
	s_xor_b32 exec_lo, exec_lo, s27
	s_cbranch_execnz .LBB6_1976
.LBB6_249:                              ;   in Loop: Header=BB6_142 Depth=2
	s_or_b32 exec_lo, exec_lo, s27
	s_and_saveexec_b32 s26, s11
	s_cbranch_execz .LBB6_251
.LBB6_250:                              ;   in Loop: Header=BB6_142 Depth=2
	v_bfe_u32 v15, v12, 3, 4
	v_lshlrev_b32_e32 v16, 24, v12
	s_delay_alu instid0(VALU_DEP_2) | instskip(SKIP_1) | instid1(VALU_DEP_1)
	v_cmp_eq_u32_e32 vcc_lo, 0, v15
	v_and_b32_e32 v10, 7, v12
	v_clz_i32_u32_e32 v11, v10
	s_delay_alu instid0(VALU_DEP_1) | instskip(NEXT) | instid1(VALU_DEP_1)
	v_min_u32_e32 v11, 32, v11
	v_subrev_nc_u32_e32 v14, 28, v11
	v_sub_nc_u32_e32 v11, 29, v11
	s_delay_alu instid0(VALU_DEP_1) | instskip(NEXT) | instid1(VALU_DEP_1)
	v_dual_cndmask_b32 v11, v15, v11 :: v_dual_lshlrev_b32 v14, v14, v12
	v_and_b32_e32 v14, 7, v14
	s_delay_alu instid0(VALU_DEP_2) | instskip(NEXT) | instid1(VALU_DEP_2)
	v_lshl_add_u32 v11, v11, 23, 0x3b800000
	v_cndmask_b32_e32 v10, v10, v14, vcc_lo
	v_and_b32_e32 v14, 0x80000000, v16
	s_delay_alu instid0(VALU_DEP_2) | instskip(NEXT) | instid1(VALU_DEP_1)
	v_lshlrev_b32_e32 v10, 20, v10
	v_or3_b32 v10, v14, v11, v10
.LBB6_251:                              ;   in Loop: Header=BB6_142 Depth=2
	s_or_b32 exec_lo, exec_lo, s26
	s_delay_alu instid0(VALU_DEP_1) | instskip(SKIP_1) | instid1(VALU_DEP_1)
	v_dual_mul_f32 v10, s25, v10 :: v_dual_mov_b32 v179, 0x80
	s_mov_b32 s26, exec_lo
	v_and_b32_e32 v11, 0x7f800000, v10
	s_delay_alu instid0(VALU_DEP_1)
	v_cmpx_ne_u32_e32 0x7f800000, v11
	s_cbranch_execz .LBB6_259
; %bb.252:                              ;   in Loop: Header=BB6_142 Depth=2
	v_mov_b32_e32 v179, 0
	s_mov_b32 s27, exec_lo
	v_cmpx_ne_u32_e32 0, v10
	s_cbranch_execz .LBB6_258
; %bb.253:                              ;   in Loop: Header=BB6_142 Depth=2
	v_bfe_u32 v11, v10, 23, 8
	s_delay_alu instid0(VALU_DEP_1) | instskip(SKIP_1) | instid1(VALU_DEP_2)
	v_sub_nc_u32_e32 v15, 0x78, v11
	v_cmp_gt_u32_e32 vcc_lo, 0x79, v11
	v_dual_cndmask_b32 v15, 0, v15 :: v_dual_and_b32 v14, 0x7fffff, v10
	s_delay_alu instid0(VALU_DEP_1) | instskip(SKIP_2) | instid1(VALU_DEP_4)
	v_or_b32_e32 v16, 0x800000, v14
	v_cmp_eq_u32_e32 vcc_lo, 0, v11
	v_add_nc_u32_e32 v11, 0xffffff89, v11
	v_cndmask_b32_e64 v15, v15, 0x77, vcc_lo
	s_delay_alu instid0(VALU_DEP_4) | instskip(NEXT) | instid1(VALU_DEP_3)
	v_cndmask_b32_e32 v14, v16, v14, vcc_lo
	v_cndmask_b32_e64 v11, v11, 0xffffff8a, vcc_lo
	s_delay_alu instid0(VALU_DEP_3) | instskip(NEXT) | instid1(VALU_DEP_3)
	v_lshl_add_u32 v16, 0x100000, v15, -1
	v_lshrrev_b32_e32 v17, v15, v14
	v_lshlrev_b32_e64 v19, v15, 0x80000
	s_delay_alu instid0(VALU_DEP_4) | instskip(NEXT) | instid1(VALU_DEP_4)
	v_add_nc_u32_e32 v15, v15, v11
	v_and_b32_e32 v14, v16, v14
	s_delay_alu instid0(VALU_DEP_4) | instskip(NEXT) | instid1(VALU_DEP_2)
	v_bfe_u32 v18, v17, 20, 1
	v_cmp_eq_u32_e64 s11, v14, v19
	s_delay_alu instid0(VALU_DEP_2) | instskip(NEXT) | instid1(VALU_DEP_1)
	v_add_nc_u32_e32 v16, -1, v18
	v_cndmask_b32_e64 v14, 0, v16, s11
	v_lshrrev_b32_e32 v16, 23, v17
	s_mov_b32 s11, exec_lo
	s_delay_alu instid0(VALU_DEP_2) | instskip(NEXT) | instid1(VALU_DEP_2)
	v_add_nc_u32_e32 v14, v14, v17
	v_xor_b32_e32 v16, 1, v16
	s_delay_alu instid0(VALU_DEP_2) | instskip(NEXT) | instid1(VALU_DEP_1)
	v_and_b32_e32 v11, 0xfffff, v14
	v_add_nc_u32_e32 v14, v11, v17
                                        ; implicit-def: $vgpr11
	s_delay_alu instid0(VALU_DEP_3)
	v_cmpx_ne_u32_e64 v15, v16
	s_xor_b32 s11, exec_lo, s11
; %bb.254:                              ;   in Loop: Header=BB6_142 Depth=2
	s_delay_alu instid0(VALU_DEP_2) | instskip(SKIP_2) | instid1(VALU_DEP_2)
	v_cmp_lt_u32_e32 vcc_lo, 0xffffff, v14
	v_sub_nc_u32_e32 v11, v15, v16
	v_cndmask_b32_e64 v15, 0, 1, vcc_lo
	v_add_co_ci_u32_e32 v11, vcc_lo, 0, v11, vcc_lo
	s_delay_alu instid0(VALU_DEP_2)
	v_lshrrev_b32_e32 v14, v15, v14
; %bb.255:                              ;   in Loop: Header=BB6_142 Depth=2
	s_and_not1_saveexec_b32 s11, s11
; %bb.256:                              ;   in Loop: Header=BB6_142 Depth=2
	s_delay_alu instid0(VALU_DEP_1)
	v_bfe_u32 v11, v14, 23, 1
; %bb.257:                              ;   in Loop: Header=BB6_142 Depth=2
	s_or_b32 exec_lo, exec_lo, s11
	v_lshrrev_b32_e32 v14, 20, v14
	s_delay_alu instid0(VALU_DEP_2) | instskip(SKIP_2) | instid1(VALU_DEP_4)
	v_cmp_gt_i32_e32 vcc_lo, 16, v11
	v_lshrrev_b32_e32 v10, 24, v10
	v_min_i32_e32 v15, 15, v11
	v_cndmask_b32_e32 v14, 7, v14, vcc_lo
	s_delay_alu instid0(VALU_DEP_3) | instskip(NEXT) | instid1(VALU_DEP_3)
	v_and_b32_e32 v10, 0x80, v10
	v_lshlrev_b32_e32 v15, 3, v15
	s_delay_alu instid0(VALU_DEP_3) | instskip(SKIP_1) | instid1(VALU_DEP_2)
	v_and_b32_e32 v16, 7, v14
	v_or_b32_e32 v11, v11, v14
	v_or3_b32 v10, v15, v10, v16
	s_delay_alu instid0(VALU_DEP_2) | instskip(NEXT) | instid1(VALU_DEP_2)
	v_cmp_ne_u32_e32 vcc_lo, 0, v11
	v_cndmask_b32_e32 v179, 0, v10, vcc_lo
.LBB6_258:                              ;   in Loop: Header=BB6_142 Depth=2
	s_or_b32 exec_lo, exec_lo, s27
.LBB6_259:                              ;   in Loop: Header=BB6_142 Depth=2
	s_delay_alu instid0(SALU_CYCLE_1) | instskip(SKIP_3) | instid1(VALU_DEP_1)
	s_or_b32 exec_lo, exec_lo, s26
	v_lshrrev_b16 v10, 8, v12
	s_mov_b32 s11, 0
	s_mov_b32 s27, exec_lo
                                        ; implicit-def: $sgpr26
	v_cmpx_lt_i16_e32 0x7f, v10
	s_xor_b32 s27, exec_lo, s27
	s_cbranch_execnz .LBB6_1977
; %bb.260:                              ;   in Loop: Header=BB6_142 Depth=2
	s_or_saveexec_b32 s27, s27
	v_mov_b32_e32 v11, s26
	s_xor_b32 exec_lo, exec_lo, s27
	s_cbranch_execnz .LBB6_1980
.LBB6_261:                              ;   in Loop: Header=BB6_142 Depth=2
	s_or_b32 exec_lo, exec_lo, s27
	s_and_saveexec_b32 s26, s11
	s_cbranch_execz .LBB6_263
.LBB6_262:                              ;   in Loop: Header=BB6_142 Depth=2
	v_and_b32_e32 v11, 0xffff, v10
	v_lshlrev_b32_e32 v10, 24, v10
	s_delay_alu instid0(VALU_DEP_2) | instskip(NEXT) | instid1(VALU_DEP_2)
	v_and_b32_e32 v14, 7, v11
	v_and_b32_e32 v10, 0x80000000, v10
	s_delay_alu instid0(VALU_DEP_2) | instskip(NEXT) | instid1(VALU_DEP_1)
	v_clz_i32_u32_e32 v15, v14
	v_min_u32_e32 v15, 32, v15
	s_delay_alu instid0(VALU_DEP_1) | instskip(SKIP_1) | instid1(VALU_DEP_2)
	v_subrev_nc_u32_e32 v16, 28, v15
	v_sub_nc_u32_e32 v15, 29, v15
	v_lshlrev_b32_e32 v16, v16, v11
	v_bfe_u32 v11, v11, 3, 4
	s_delay_alu instid0(VALU_DEP_1) | instskip(NEXT) | instid1(VALU_DEP_3)
	v_cmp_eq_u32_e32 vcc_lo, 0, v11
	v_dual_cndmask_b32 v11, v11, v15 :: v_dual_and_b32 v16, 7, v16
	s_delay_alu instid0(VALU_DEP_1) | instskip(NEXT) | instid1(VALU_DEP_2)
	v_cndmask_b32_e32 v14, v14, v16, vcc_lo
	v_lshl_add_u32 v11, v11, 23, 0x3b800000
	s_delay_alu instid0(VALU_DEP_2) | instskip(NEXT) | instid1(VALU_DEP_1)
	v_lshlrev_b32_e32 v14, 20, v14
	v_or3_b32 v11, v10, v11, v14
.LBB6_263:                              ;   in Loop: Header=BB6_142 Depth=2
	s_or_b32 exec_lo, exec_lo, s26
	s_delay_alu instid0(VALU_DEP_1) | instskip(SKIP_2) | instid1(VALU_DEP_2)
	v_mul_f32_e32 v10, s25, v11
	v_mov_b32_e32 v40, 0x80
	s_mov_b32 s26, exec_lo
	v_and_b32_e32 v11, 0x7f800000, v10
	s_delay_alu instid0(VALU_DEP_1)
	v_cmpx_ne_u32_e32 0x7f800000, v11
	s_cbranch_execz .LBB6_271
; %bb.264:                              ;   in Loop: Header=BB6_142 Depth=2
	v_mov_b32_e32 v40, 0
	s_mov_b32 s27, exec_lo
	v_cmpx_ne_u32_e32 0, v10
	s_cbranch_execz .LBB6_270
; %bb.265:                              ;   in Loop: Header=BB6_142 Depth=2
	v_bfe_u32 v11, v10, 23, 8
	s_delay_alu instid0(VALU_DEP_1) | instskip(SKIP_1) | instid1(VALU_DEP_2)
	v_sub_nc_u32_e32 v15, 0x78, v11
	v_cmp_gt_u32_e32 vcc_lo, 0x79, v11
	v_dual_cndmask_b32 v15, 0, v15 :: v_dual_and_b32 v14, 0x7fffff, v10
	s_delay_alu instid0(VALU_DEP_1) | instskip(SKIP_2) | instid1(VALU_DEP_4)
	v_or_b32_e32 v16, 0x800000, v14
	v_cmp_eq_u32_e32 vcc_lo, 0, v11
	v_add_nc_u32_e32 v11, 0xffffff89, v11
	v_cndmask_b32_e64 v15, v15, 0x77, vcc_lo
	s_delay_alu instid0(VALU_DEP_4) | instskip(NEXT) | instid1(VALU_DEP_3)
	v_cndmask_b32_e32 v14, v16, v14, vcc_lo
	v_cndmask_b32_e64 v11, v11, 0xffffff8a, vcc_lo
	s_delay_alu instid0(VALU_DEP_3) | instskip(NEXT) | instid1(VALU_DEP_3)
	v_lshl_add_u32 v16, 0x100000, v15, -1
	v_lshrrev_b32_e32 v17, v15, v14
	v_lshlrev_b32_e64 v19, v15, 0x80000
	s_delay_alu instid0(VALU_DEP_4) | instskip(NEXT) | instid1(VALU_DEP_4)
	v_add_nc_u32_e32 v15, v15, v11
	v_and_b32_e32 v14, v16, v14
	s_delay_alu instid0(VALU_DEP_4) | instskip(NEXT) | instid1(VALU_DEP_2)
	v_bfe_u32 v18, v17, 20, 1
	v_cmp_eq_u32_e64 s11, v14, v19
	s_delay_alu instid0(VALU_DEP_2) | instskip(NEXT) | instid1(VALU_DEP_1)
	v_add_nc_u32_e32 v16, -1, v18
	v_cndmask_b32_e64 v14, 0, v16, s11
	v_lshrrev_b32_e32 v16, 23, v17
	s_mov_b32 s11, exec_lo
	s_delay_alu instid0(VALU_DEP_2) | instskip(NEXT) | instid1(VALU_DEP_2)
	v_add_nc_u32_e32 v14, v14, v17
	v_xor_b32_e32 v16, 1, v16
	s_delay_alu instid0(VALU_DEP_2) | instskip(NEXT) | instid1(VALU_DEP_1)
	v_and_b32_e32 v11, 0xfffff, v14
	v_add_nc_u32_e32 v14, v11, v17
                                        ; implicit-def: $vgpr11
	s_delay_alu instid0(VALU_DEP_3)
	v_cmpx_ne_u32_e64 v15, v16
	s_xor_b32 s11, exec_lo, s11
; %bb.266:                              ;   in Loop: Header=BB6_142 Depth=2
	s_delay_alu instid0(VALU_DEP_2) | instskip(SKIP_2) | instid1(VALU_DEP_2)
	v_cmp_lt_u32_e32 vcc_lo, 0xffffff, v14
	v_sub_nc_u32_e32 v11, v15, v16
	v_cndmask_b32_e64 v15, 0, 1, vcc_lo
	v_add_co_ci_u32_e32 v11, vcc_lo, 0, v11, vcc_lo
	s_delay_alu instid0(VALU_DEP_2)
	v_lshrrev_b32_e32 v14, v15, v14
; %bb.267:                              ;   in Loop: Header=BB6_142 Depth=2
	s_and_not1_saveexec_b32 s11, s11
; %bb.268:                              ;   in Loop: Header=BB6_142 Depth=2
	s_delay_alu instid0(VALU_DEP_1)
	v_bfe_u32 v11, v14, 23, 1
; %bb.269:                              ;   in Loop: Header=BB6_142 Depth=2
	s_or_b32 exec_lo, exec_lo, s11
	v_lshrrev_b32_e32 v14, 20, v14
	s_delay_alu instid0(VALU_DEP_2) | instskip(SKIP_2) | instid1(VALU_DEP_4)
	v_cmp_gt_i32_e32 vcc_lo, 16, v11
	v_lshrrev_b32_e32 v10, 24, v10
	v_min_i32_e32 v15, 15, v11
	v_cndmask_b32_e32 v14, 7, v14, vcc_lo
	s_delay_alu instid0(VALU_DEP_3) | instskip(NEXT) | instid1(VALU_DEP_3)
	v_and_b32_e32 v10, 0x80, v10
	v_lshlrev_b32_e32 v15, 3, v15
	s_delay_alu instid0(VALU_DEP_3) | instskip(SKIP_1) | instid1(VALU_DEP_2)
	v_and_b32_e32 v16, 7, v14
	v_or_b32_e32 v11, v11, v14
	v_or3_b32 v10, v15, v10, v16
	s_delay_alu instid0(VALU_DEP_2) | instskip(NEXT) | instid1(VALU_DEP_2)
	v_cmp_ne_u32_e32 vcc_lo, 0, v11
	v_cndmask_b32_e32 v40, 0, v10, vcc_lo
.LBB6_270:                              ;   in Loop: Header=BB6_142 Depth=2
	s_or_b32 exec_lo, exec_lo, s27
.LBB6_271:                              ;   in Loop: Header=BB6_142 Depth=2
	s_delay_alu instid0(SALU_CYCLE_1) | instskip(SKIP_3) | instid1(VALU_DEP_1)
	s_or_b32 exec_lo, exec_lo, s26
	v_lshrrev_b32_e32 v10, 16, v12
	s_mov_b32 s11, 0
	s_mov_b32 s27, exec_lo
                                        ; implicit-def: $sgpr26
	v_and_b32_e32 v14, 0xff, v10
	s_delay_alu instid0(VALU_DEP_1)
	v_cmpx_lt_i16_e32 0x7f, v14
	s_xor_b32 s27, exec_lo, s27
	s_cbranch_execnz .LBB6_1981
; %bb.272:                              ;   in Loop: Header=BB6_142 Depth=2
	s_or_saveexec_b32 s27, s27
	v_mov_b32_e32 v11, s26
	s_xor_b32 exec_lo, exec_lo, s27
	s_cbranch_execnz .LBB6_1984
.LBB6_273:                              ;   in Loop: Header=BB6_142 Depth=2
	s_or_b32 exec_lo, exec_lo, s27
	s_and_saveexec_b32 s26, s11
	s_cbranch_execz .LBB6_275
.LBB6_274:                              ;   in Loop: Header=BB6_142 Depth=2
	v_bfe_u32 v11, v12, 16, 3
	v_lshlrev_b32_e32 v16, 8, v12
	s_delay_alu instid0(VALU_DEP_2) | instskip(NEXT) | instid1(VALU_DEP_1)
	v_clz_i32_u32_e32 v14, v11
	v_min_u32_e32 v14, 32, v14
	s_delay_alu instid0(VALU_DEP_1) | instskip(SKIP_1) | instid1(VALU_DEP_2)
	v_subrev_nc_u32_e32 v15, 28, v14
	v_sub_nc_u32_e32 v14, 29, v14
	v_lshlrev_b32_e32 v10, v15, v10
	v_bfe_u32 v15, v12, 19, 4
	s_delay_alu instid0(VALU_DEP_2) | instskip(NEXT) | instid1(VALU_DEP_2)
	v_and_b32_e32 v10, 7, v10
	v_cmp_eq_u32_e32 vcc_lo, 0, v15
	v_cndmask_b32_e32 v14, v15, v14, vcc_lo
	s_delay_alu instid0(VALU_DEP_3) | instskip(NEXT) | instid1(VALU_DEP_2)
	v_dual_cndmask_b32 v10, v11, v10 :: v_dual_and_b32 v11, 0x80000000, v16
	v_lshl_add_u32 v14, v14, 23, 0x3b800000
	s_delay_alu instid0(VALU_DEP_2) | instskip(NEXT) | instid1(VALU_DEP_1)
	v_lshlrev_b32_e32 v10, 20, v10
	v_or3_b32 v11, v11, v14, v10
.LBB6_275:                              ;   in Loop: Header=BB6_142 Depth=2
	s_or_b32 exec_lo, exec_lo, s26
	s_delay_alu instid0(VALU_DEP_1) | instskip(SKIP_2) | instid1(VALU_DEP_2)
	v_mul_f32_e32 v10, s25, v11
	v_mov_b32_e32 v44, 0x80
	s_mov_b32 s26, exec_lo
	v_and_b32_e32 v11, 0x7f800000, v10
	s_delay_alu instid0(VALU_DEP_1)
	v_cmpx_ne_u32_e32 0x7f800000, v11
	s_cbranch_execz .LBB6_283
; %bb.276:                              ;   in Loop: Header=BB6_142 Depth=2
	v_mov_b32_e32 v44, 0
	s_mov_b32 s27, exec_lo
	v_cmpx_ne_u32_e32 0, v10
	s_cbranch_execz .LBB6_282
; %bb.277:                              ;   in Loop: Header=BB6_142 Depth=2
	v_bfe_u32 v11, v10, 23, 8
	s_delay_alu instid0(VALU_DEP_1) | instskip(SKIP_1) | instid1(VALU_DEP_2)
	v_sub_nc_u32_e32 v15, 0x78, v11
	v_cmp_gt_u32_e32 vcc_lo, 0x79, v11
	v_dual_cndmask_b32 v15, 0, v15 :: v_dual_and_b32 v14, 0x7fffff, v10
	s_delay_alu instid0(VALU_DEP_1) | instskip(SKIP_2) | instid1(VALU_DEP_4)
	v_or_b32_e32 v16, 0x800000, v14
	v_cmp_eq_u32_e32 vcc_lo, 0, v11
	v_add_nc_u32_e32 v11, 0xffffff89, v11
	v_cndmask_b32_e64 v15, v15, 0x77, vcc_lo
	s_delay_alu instid0(VALU_DEP_4) | instskip(NEXT) | instid1(VALU_DEP_3)
	v_cndmask_b32_e32 v14, v16, v14, vcc_lo
	v_cndmask_b32_e64 v11, v11, 0xffffff8a, vcc_lo
	s_delay_alu instid0(VALU_DEP_3) | instskip(NEXT) | instid1(VALU_DEP_3)
	v_lshl_add_u32 v16, 0x100000, v15, -1
	v_lshrrev_b32_e32 v17, v15, v14
	v_lshlrev_b32_e64 v19, v15, 0x80000
	s_delay_alu instid0(VALU_DEP_4) | instskip(NEXT) | instid1(VALU_DEP_4)
	v_add_nc_u32_e32 v15, v15, v11
	v_and_b32_e32 v14, v16, v14
	s_delay_alu instid0(VALU_DEP_4) | instskip(NEXT) | instid1(VALU_DEP_2)
	v_bfe_u32 v18, v17, 20, 1
	v_cmp_eq_u32_e64 s11, v14, v19
	s_delay_alu instid0(VALU_DEP_2) | instskip(NEXT) | instid1(VALU_DEP_1)
	v_add_nc_u32_e32 v16, -1, v18
	v_cndmask_b32_e64 v14, 0, v16, s11
	v_lshrrev_b32_e32 v16, 23, v17
	s_mov_b32 s11, exec_lo
	s_delay_alu instid0(VALU_DEP_2) | instskip(NEXT) | instid1(VALU_DEP_2)
	v_add_nc_u32_e32 v14, v14, v17
	v_xor_b32_e32 v16, 1, v16
	s_delay_alu instid0(VALU_DEP_2) | instskip(NEXT) | instid1(VALU_DEP_1)
	v_and_b32_e32 v11, 0xfffff, v14
	v_add_nc_u32_e32 v14, v11, v17
                                        ; implicit-def: $vgpr11
	s_delay_alu instid0(VALU_DEP_3)
	v_cmpx_ne_u32_e64 v15, v16
	s_xor_b32 s11, exec_lo, s11
; %bb.278:                              ;   in Loop: Header=BB6_142 Depth=2
	s_delay_alu instid0(VALU_DEP_2) | instskip(SKIP_2) | instid1(VALU_DEP_2)
	v_cmp_lt_u32_e32 vcc_lo, 0xffffff, v14
	v_sub_nc_u32_e32 v11, v15, v16
	v_cndmask_b32_e64 v15, 0, 1, vcc_lo
	v_add_co_ci_u32_e32 v11, vcc_lo, 0, v11, vcc_lo
	s_delay_alu instid0(VALU_DEP_2)
	v_lshrrev_b32_e32 v14, v15, v14
; %bb.279:                              ;   in Loop: Header=BB6_142 Depth=2
	s_and_not1_saveexec_b32 s11, s11
; %bb.280:                              ;   in Loop: Header=BB6_142 Depth=2
	s_delay_alu instid0(VALU_DEP_1)
	v_bfe_u32 v11, v14, 23, 1
; %bb.281:                              ;   in Loop: Header=BB6_142 Depth=2
	s_or_b32 exec_lo, exec_lo, s11
	v_lshrrev_b32_e32 v14, 20, v14
	s_delay_alu instid0(VALU_DEP_2) | instskip(SKIP_2) | instid1(VALU_DEP_4)
	v_cmp_gt_i32_e32 vcc_lo, 16, v11
	v_lshrrev_b32_e32 v10, 24, v10
	v_min_i32_e32 v15, 15, v11
	v_cndmask_b32_e32 v14, 7, v14, vcc_lo
	s_delay_alu instid0(VALU_DEP_3) | instskip(NEXT) | instid1(VALU_DEP_3)
	v_and_b32_e32 v10, 0x80, v10
	v_lshlrev_b32_e32 v15, 3, v15
	s_delay_alu instid0(VALU_DEP_3) | instskip(SKIP_1) | instid1(VALU_DEP_2)
	v_and_b32_e32 v16, 7, v14
	v_or_b32_e32 v11, v11, v14
	v_or3_b32 v10, v15, v10, v16
	s_delay_alu instid0(VALU_DEP_2) | instskip(NEXT) | instid1(VALU_DEP_2)
	v_cmp_ne_u32_e32 vcc_lo, 0, v11
	v_cndmask_b32_e32 v44, 0, v10, vcc_lo
.LBB6_282:                              ;   in Loop: Header=BB6_142 Depth=2
	s_or_b32 exec_lo, exec_lo, s27
.LBB6_283:                              ;   in Loop: Header=BB6_142 Depth=2
	s_delay_alu instid0(SALU_CYCLE_1) | instskip(SKIP_3) | instid1(VALU_DEP_1)
	s_or_b32 exec_lo, exec_lo, s26
	v_lshrrev_b32_e32 v10, 24, v12
	s_mov_b32 s11, 0
	s_mov_b32 s27, exec_lo
                                        ; implicit-def: $sgpr26
	v_cmpx_lt_i16_e32 0x7f, v10
	s_xor_b32 s27, exec_lo, s27
	s_cbranch_execnz .LBB6_1985
; %bb.284:                              ;   in Loop: Header=BB6_142 Depth=2
	s_or_saveexec_b32 s27, s27
	v_mov_b32_e32 v11, s26
	s_xor_b32 exec_lo, exec_lo, s27
	s_cbranch_execnz .LBB6_1988
.LBB6_285:                              ;   in Loop: Header=BB6_142 Depth=2
	s_or_b32 exec_lo, exec_lo, s27
	s_and_saveexec_b32 s26, s11
	s_cbranch_execz .LBB6_287
.LBB6_286:                              ;   in Loop: Header=BB6_142 Depth=2
	v_bfe_u32 v11, v12, 24, 3
	s_delay_alu instid0(VALU_DEP_1) | instskip(NEXT) | instid1(VALU_DEP_1)
	v_clz_i32_u32_e32 v14, v11
	v_min_u32_e32 v14, 32, v14
	s_delay_alu instid0(VALU_DEP_1) | instskip(SKIP_1) | instid1(VALU_DEP_2)
	v_subrev_nc_u32_e32 v15, 28, v14
	v_sub_nc_u32_e32 v14, 29, v14
	v_lshlrev_b32_e32 v10, v15, v10
	v_bfe_u32 v15, v12, 27, 4
	s_delay_alu instid0(VALU_DEP_2) | instskip(NEXT) | instid1(VALU_DEP_2)
	v_and_b32_e32 v10, 7, v10
	v_cmp_eq_u32_e32 vcc_lo, 0, v15
	v_cndmask_b32_e32 v14, v15, v14, vcc_lo
	s_delay_alu instid0(VALU_DEP_3) | instskip(NEXT) | instid1(VALU_DEP_2)
	v_dual_cndmask_b32 v10, v11, v10 :: v_dual_and_b32 v11, 0x80000000, v12
	v_lshl_add_u32 v12, v14, 23, 0x3b800000
	s_delay_alu instid0(VALU_DEP_2) | instskip(NEXT) | instid1(VALU_DEP_1)
	v_lshlrev_b32_e32 v10, 20, v10
	v_or3_b32 v11, v11, v12, v10
.LBB6_287:                              ;   in Loop: Header=BB6_142 Depth=2
	s_or_b32 exec_lo, exec_lo, s26
	s_delay_alu instid0(VALU_DEP_1) | instskip(SKIP_1) | instid1(VALU_DEP_1)
	v_dual_mul_f32 v10, s25, v11 :: v_dual_mov_b32 v63, 0x80
	s_mov_b32 s26, exec_lo
	v_and_b32_e32 v11, 0x7f800000, v10
	s_delay_alu instid0(VALU_DEP_1)
	v_cmpx_ne_u32_e32 0x7f800000, v11
	s_cbranch_execz .LBB6_295
; %bb.288:                              ;   in Loop: Header=BB6_142 Depth=2
	v_mov_b32_e32 v63, 0
	s_mov_b32 s27, exec_lo
	v_cmpx_ne_u32_e32 0, v10
	s_cbranch_execz .LBB6_294
; %bb.289:                              ;   in Loop: Header=BB6_142 Depth=2
	v_bfe_u32 v11, v10, 23, 8
	v_and_b32_e32 v12, 0x7fffff, v10
	s_delay_alu instid0(VALU_DEP_2) | instskip(SKIP_1) | instid1(VALU_DEP_3)
	v_sub_nc_u32_e32 v14, 0x78, v11
	v_cmp_gt_u32_e32 vcc_lo, 0x79, v11
	v_or_b32_e32 v15, 0x800000, v12
	s_delay_alu instid0(VALU_DEP_3) | instskip(SKIP_2) | instid1(VALU_DEP_3)
	v_cndmask_b32_e32 v14, 0, v14, vcc_lo
	v_cmp_eq_u32_e32 vcc_lo, 0, v11
	v_add_nc_u32_e32 v11, 0xffffff89, v11
	v_cndmask_b32_e64 v14, v14, 0x77, vcc_lo
	v_cndmask_b32_e32 v12, v15, v12, vcc_lo
	s_delay_alu instid0(VALU_DEP_3) | instskip(NEXT) | instid1(VALU_DEP_3)
	v_cndmask_b32_e64 v11, v11, 0xffffff8a, vcc_lo
	v_lshl_add_u32 v15, 0x100000, v14, -1
	s_delay_alu instid0(VALU_DEP_3) | instskip(SKIP_1) | instid1(VALU_DEP_4)
	v_lshrrev_b32_e32 v16, v14, v12
	v_lshlrev_b32_e64 v18, v14, 0x80000
	v_add_nc_u32_e32 v14, v14, v11
	s_delay_alu instid0(VALU_DEP_4) | instskip(NEXT) | instid1(VALU_DEP_4)
	v_and_b32_e32 v12, v15, v12
	v_bfe_u32 v17, v16, 20, 1
	s_delay_alu instid0(VALU_DEP_2) | instskip(NEXT) | instid1(VALU_DEP_2)
	v_cmp_eq_u32_e64 s11, v12, v18
	v_add_nc_u32_e32 v15, -1, v17
	s_delay_alu instid0(VALU_DEP_1) | instskip(SKIP_2) | instid1(VALU_DEP_2)
	v_cndmask_b32_e64 v12, 0, v15, s11
	v_lshrrev_b32_e32 v15, 23, v16
	s_mov_b32 s11, exec_lo
	v_add_nc_u32_e32 v12, v12, v16
	s_delay_alu instid0(VALU_DEP_2) | instskip(NEXT) | instid1(VALU_DEP_2)
	v_xor_b32_e32 v15, 1, v15
	v_and_b32_e32 v11, 0xfffff, v12
	s_delay_alu instid0(VALU_DEP_1) | instskip(NEXT) | instid1(VALU_DEP_3)
	v_add_nc_u32_e32 v12, v11, v16
                                        ; implicit-def: $vgpr11
	v_cmpx_ne_u32_e64 v14, v15
	s_xor_b32 s11, exec_lo, s11
; %bb.290:                              ;   in Loop: Header=BB6_142 Depth=2
	s_delay_alu instid0(VALU_DEP_2) | instskip(SKIP_2) | instid1(VALU_DEP_2)
	v_cmp_lt_u32_e32 vcc_lo, 0xffffff, v12
	v_sub_nc_u32_e32 v11, v14, v15
	v_cndmask_b32_e64 v14, 0, 1, vcc_lo
	v_add_co_ci_u32_e32 v11, vcc_lo, 0, v11, vcc_lo
	s_delay_alu instid0(VALU_DEP_2)
	v_lshrrev_b32_e32 v12, v14, v12
; %bb.291:                              ;   in Loop: Header=BB6_142 Depth=2
	s_and_not1_saveexec_b32 s11, s11
; %bb.292:                              ;   in Loop: Header=BB6_142 Depth=2
	s_delay_alu instid0(VALU_DEP_1)
	v_bfe_u32 v11, v12, 23, 1
; %bb.293:                              ;   in Loop: Header=BB6_142 Depth=2
	s_or_b32 exec_lo, exec_lo, s11
	v_lshrrev_b32_e32 v12, 20, v12
	s_delay_alu instid0(VALU_DEP_2) | instskip(SKIP_2) | instid1(VALU_DEP_4)
	v_cmp_gt_i32_e32 vcc_lo, 16, v11
	v_lshrrev_b32_e32 v10, 24, v10
	v_min_i32_e32 v14, 15, v11
	v_cndmask_b32_e32 v12, 7, v12, vcc_lo
	s_delay_alu instid0(VALU_DEP_3) | instskip(NEXT) | instid1(VALU_DEP_3)
	v_and_b32_e32 v10, 0x80, v10
	v_lshlrev_b32_e32 v14, 3, v14
	s_delay_alu instid0(VALU_DEP_3) | instskip(SKIP_1) | instid1(VALU_DEP_2)
	v_and_b32_e32 v15, 7, v12
	v_or_b32_e32 v11, v11, v12
	v_or3_b32 v10, v14, v10, v15
	s_delay_alu instid0(VALU_DEP_2) | instskip(NEXT) | instid1(VALU_DEP_2)
	v_cmp_ne_u32_e32 vcc_lo, 0, v11
	v_cndmask_b32_e32 v63, 0, v10, vcc_lo
.LBB6_294:                              ;   in Loop: Header=BB6_142 Depth=2
	s_or_b32 exec_lo, exec_lo, s27
.LBB6_295:                              ;   in Loop: Header=BB6_142 Depth=2
	s_delay_alu instid0(SALU_CYCLE_1) | instskip(SKIP_3) | instid1(VALU_DEP_1)
	s_or_b32 exec_lo, exec_lo, s26
	v_and_b32_e32 v11, 0xff, v13
	s_mov_b32 s11, 0
	s_mov_b32 s27, exec_lo
                                        ; implicit-def: $sgpr26
	v_cmpx_lt_i16_e32 0x7f, v11
	s_xor_b32 s27, exec_lo, s27
	s_cbranch_execnz .LBB6_1989
; %bb.296:                              ;   in Loop: Header=BB6_142 Depth=2
	s_or_saveexec_b32 s27, s27
	v_mov_b32_e32 v10, s26
	s_xor_b32 exec_lo, exec_lo, s27
	s_cbranch_execnz .LBB6_1992
.LBB6_297:                              ;   in Loop: Header=BB6_142 Depth=2
	s_or_b32 exec_lo, exec_lo, s27
	s_and_saveexec_b32 s26, s11
	s_cbranch_execz .LBB6_299
.LBB6_298:                              ;   in Loop: Header=BB6_142 Depth=2
	v_bfe_u32 v14, v13, 3, 4
	s_delay_alu instid0(VALU_DEP_1) | instskip(SKIP_1) | instid1(VALU_DEP_1)
	v_cmp_eq_u32_e32 vcc_lo, 0, v14
	v_and_b32_e32 v10, 7, v13
	v_clz_i32_u32_e32 v11, v10
	s_delay_alu instid0(VALU_DEP_1) | instskip(NEXT) | instid1(VALU_DEP_1)
	v_min_u32_e32 v11, 32, v11
	v_subrev_nc_u32_e32 v12, 28, v11
	v_sub_nc_u32_e32 v11, 29, v11
	s_delay_alu instid0(VALU_DEP_1) | instskip(NEXT) | instid1(VALU_DEP_1)
	v_dual_cndmask_b32 v11, v14, v11 :: v_dual_lshlrev_b32 v12, v12, v13
	v_and_b32_e32 v12, 7, v12
	v_lshlrev_b32_e32 v15, 24, v13
	s_delay_alu instid0(VALU_DEP_3) | instskip(NEXT) | instid1(VALU_DEP_3)
	v_lshl_add_u32 v11, v11, 23, 0x3b800000
	v_cndmask_b32_e32 v10, v10, v12, vcc_lo
	s_delay_alu instid0(VALU_DEP_3) | instskip(NEXT) | instid1(VALU_DEP_2)
	v_and_b32_e32 v12, 0x80000000, v15
	v_lshlrev_b32_e32 v10, 20, v10
	s_delay_alu instid0(VALU_DEP_1)
	v_or3_b32 v10, v12, v11, v10
.LBB6_299:                              ;   in Loop: Header=BB6_142 Depth=2
	s_or_b32 exec_lo, exec_lo, s26
	s_delay_alu instid0(VALU_DEP_1) | instskip(SKIP_1) | instid1(VALU_DEP_1)
	v_dual_mul_f32 v10, s25, v10 :: v_dual_mov_b32 v61, 0x80
	s_mov_b32 s26, exec_lo
	v_and_b32_e32 v11, 0x7f800000, v10
	s_delay_alu instid0(VALU_DEP_1)
	v_cmpx_ne_u32_e32 0x7f800000, v11
	s_cbranch_execz .LBB6_307
; %bb.300:                              ;   in Loop: Header=BB6_142 Depth=2
	v_mov_b32_e32 v61, 0
	s_mov_b32 s27, exec_lo
	v_cmpx_ne_u32_e32 0, v10
	s_cbranch_execz .LBB6_306
; %bb.301:                              ;   in Loop: Header=BB6_142 Depth=2
	v_bfe_u32 v11, v10, 23, 8
	v_and_b32_e32 v12, 0x7fffff, v10
	s_delay_alu instid0(VALU_DEP_2) | instskip(SKIP_1) | instid1(VALU_DEP_3)
	v_sub_nc_u32_e32 v14, 0x78, v11
	v_cmp_gt_u32_e32 vcc_lo, 0x79, v11
	v_or_b32_e32 v15, 0x800000, v12
	s_delay_alu instid0(VALU_DEP_3) | instskip(SKIP_2) | instid1(VALU_DEP_3)
	v_cndmask_b32_e32 v14, 0, v14, vcc_lo
	v_cmp_eq_u32_e32 vcc_lo, 0, v11
	v_add_nc_u32_e32 v11, 0xffffff89, v11
	v_cndmask_b32_e64 v14, v14, 0x77, vcc_lo
	v_cndmask_b32_e32 v12, v15, v12, vcc_lo
	s_delay_alu instid0(VALU_DEP_3) | instskip(NEXT) | instid1(VALU_DEP_3)
	v_cndmask_b32_e64 v11, v11, 0xffffff8a, vcc_lo
	v_lshl_add_u32 v15, 0x100000, v14, -1
	s_delay_alu instid0(VALU_DEP_3) | instskip(SKIP_1) | instid1(VALU_DEP_4)
	v_lshrrev_b32_e32 v16, v14, v12
	v_lshlrev_b32_e64 v18, v14, 0x80000
	v_add_nc_u32_e32 v14, v14, v11
	s_delay_alu instid0(VALU_DEP_4) | instskip(NEXT) | instid1(VALU_DEP_4)
	v_and_b32_e32 v12, v15, v12
	v_bfe_u32 v17, v16, 20, 1
	s_delay_alu instid0(VALU_DEP_2) | instskip(NEXT) | instid1(VALU_DEP_2)
	v_cmp_eq_u32_e64 s11, v12, v18
	v_add_nc_u32_e32 v15, -1, v17
	s_delay_alu instid0(VALU_DEP_1) | instskip(SKIP_2) | instid1(VALU_DEP_2)
	v_cndmask_b32_e64 v12, 0, v15, s11
	v_lshrrev_b32_e32 v15, 23, v16
	s_mov_b32 s11, exec_lo
	v_add_nc_u32_e32 v12, v12, v16
	s_delay_alu instid0(VALU_DEP_2) | instskip(NEXT) | instid1(VALU_DEP_2)
	v_xor_b32_e32 v15, 1, v15
	v_and_b32_e32 v11, 0xfffff, v12
	s_delay_alu instid0(VALU_DEP_1) | instskip(NEXT) | instid1(VALU_DEP_3)
	v_add_nc_u32_e32 v12, v11, v16
                                        ; implicit-def: $vgpr11
	v_cmpx_ne_u32_e64 v14, v15
	s_xor_b32 s11, exec_lo, s11
; %bb.302:                              ;   in Loop: Header=BB6_142 Depth=2
	s_delay_alu instid0(VALU_DEP_2) | instskip(SKIP_2) | instid1(VALU_DEP_2)
	v_cmp_lt_u32_e32 vcc_lo, 0xffffff, v12
	v_sub_nc_u32_e32 v11, v14, v15
	v_cndmask_b32_e64 v14, 0, 1, vcc_lo
	v_add_co_ci_u32_e32 v11, vcc_lo, 0, v11, vcc_lo
	s_delay_alu instid0(VALU_DEP_2)
	v_lshrrev_b32_e32 v12, v14, v12
; %bb.303:                              ;   in Loop: Header=BB6_142 Depth=2
	s_and_not1_saveexec_b32 s11, s11
; %bb.304:                              ;   in Loop: Header=BB6_142 Depth=2
	s_delay_alu instid0(VALU_DEP_1)
	v_bfe_u32 v11, v12, 23, 1
; %bb.305:                              ;   in Loop: Header=BB6_142 Depth=2
	s_or_b32 exec_lo, exec_lo, s11
	v_lshrrev_b32_e32 v12, 20, v12
	s_delay_alu instid0(VALU_DEP_2) | instskip(SKIP_2) | instid1(VALU_DEP_3)
	v_min_i32_e32 v14, 15, v11
	v_cmp_gt_i32_e32 vcc_lo, 16, v11
	v_lshrrev_b32_e32 v10, 24, v10
	v_lshlrev_b32_e32 v14, 3, v14
	v_cndmask_b32_e32 v12, 7, v12, vcc_lo
	s_delay_alu instid0(VALU_DEP_3) | instskip(NEXT) | instid1(VALU_DEP_3)
	v_and_b32_e32 v10, 0x80, v10
	v_and_b32_e32 v14, 0xf8, v14
	s_delay_alu instid0(VALU_DEP_3) | instskip(SKIP_1) | instid1(VALU_DEP_2)
	v_and_b32_e32 v15, 7, v12
	v_or_b32_e32 v11, v11, v12
	v_or3_b32 v10, v14, v10, v15
	s_delay_alu instid0(VALU_DEP_2) | instskip(NEXT) | instid1(VALU_DEP_2)
	v_cmp_ne_u32_e32 vcc_lo, 0, v11
	v_cndmask_b32_e32 v61, 0, v10, vcc_lo
.LBB6_306:                              ;   in Loop: Header=BB6_142 Depth=2
	s_or_b32 exec_lo, exec_lo, s27
.LBB6_307:                              ;   in Loop: Header=BB6_142 Depth=2
	s_delay_alu instid0(SALU_CYCLE_1) | instskip(SKIP_3) | instid1(VALU_DEP_1)
	s_or_b32 exec_lo, exec_lo, s26
	v_lshrrev_b16 v10, 8, v13
	s_mov_b32 s11, 0
	s_mov_b32 s27, exec_lo
                                        ; implicit-def: $sgpr26
	v_cmpx_lt_i16_e32 0x7f, v10
	s_xor_b32 s27, exec_lo, s27
	s_cbranch_execnz .LBB6_1993
; %bb.308:                              ;   in Loop: Header=BB6_142 Depth=2
	s_or_saveexec_b32 s27, s27
	v_mov_b32_e32 v11, s26
	s_xor_b32 exec_lo, exec_lo, s27
	s_cbranch_execnz .LBB6_1996
.LBB6_309:                              ;   in Loop: Header=BB6_142 Depth=2
	s_or_b32 exec_lo, exec_lo, s27
	s_and_saveexec_b32 s26, s11
	s_cbranch_execz .LBB6_311
.LBB6_310:                              ;   in Loop: Header=BB6_142 Depth=2
	v_and_b32_e32 v11, 0xffff, v10
	v_lshlrev_b32_e32 v10, 24, v10
	s_delay_alu instid0(VALU_DEP_2) | instskip(NEXT) | instid1(VALU_DEP_2)
	v_and_b32_e32 v12, 7, v11
	v_and_b32_e32 v10, 0x80000000, v10
	s_delay_alu instid0(VALU_DEP_2) | instskip(NEXT) | instid1(VALU_DEP_1)
	v_clz_i32_u32_e32 v14, v12
	v_min_u32_e32 v14, 32, v14
	s_delay_alu instid0(VALU_DEP_1) | instskip(SKIP_1) | instid1(VALU_DEP_2)
	v_subrev_nc_u32_e32 v15, 28, v14
	v_sub_nc_u32_e32 v14, 29, v14
	v_lshlrev_b32_e32 v15, v15, v11
	v_bfe_u32 v11, v11, 3, 4
	s_delay_alu instid0(VALU_DEP_2) | instskip(NEXT) | instid1(VALU_DEP_2)
	v_and_b32_e32 v15, 7, v15
	v_cmp_eq_u32_e32 vcc_lo, 0, v11
	s_delay_alu instid0(VALU_DEP_2) | instskip(NEXT) | instid1(VALU_DEP_1)
	v_dual_cndmask_b32 v11, v11, v14 :: v_dual_cndmask_b32 v12, v12, v15
	v_lshl_add_u32 v11, v11, 23, 0x3b800000
	s_delay_alu instid0(VALU_DEP_2) | instskip(NEXT) | instid1(VALU_DEP_1)
	v_lshlrev_b32_e32 v12, 20, v12
	v_or3_b32 v11, v10, v11, v12
.LBB6_311:                              ;   in Loop: Header=BB6_142 Depth=2
	s_or_b32 exec_lo, exec_lo, s26
	s_delay_alu instid0(VALU_DEP_1) | instskip(SKIP_1) | instid1(VALU_DEP_1)
	v_dual_mul_f32 v10, s25, v11 :: v_dual_mov_b32 v89, 0x8000
	s_mov_b32 s26, exec_lo
	v_and_b32_e32 v11, 0x7f800000, v10
	s_delay_alu instid0(VALU_DEP_1)
	v_cmpx_ne_u32_e32 0x7f800000, v11
	s_cbranch_execz .LBB6_319
; %bb.312:                              ;   in Loop: Header=BB6_142 Depth=2
	v_mov_b32_e32 v89, 0
	s_mov_b32 s27, exec_lo
	v_cmpx_ne_u32_e32 0, v10
	s_cbranch_execz .LBB6_318
; %bb.313:                              ;   in Loop: Header=BB6_142 Depth=2
	v_bfe_u32 v11, v10, 23, 8
	v_and_b32_e32 v12, 0x7fffff, v10
	s_delay_alu instid0(VALU_DEP_2) | instskip(SKIP_1) | instid1(VALU_DEP_3)
	v_sub_nc_u32_e32 v14, 0x78, v11
	v_cmp_gt_u32_e32 vcc_lo, 0x79, v11
	v_or_b32_e32 v15, 0x800000, v12
	s_delay_alu instid0(VALU_DEP_3) | instskip(SKIP_2) | instid1(VALU_DEP_3)
	v_cndmask_b32_e32 v14, 0, v14, vcc_lo
	v_cmp_eq_u32_e32 vcc_lo, 0, v11
	v_add_nc_u32_e32 v11, 0xffffff89, v11
	v_cndmask_b32_e64 v14, v14, 0x77, vcc_lo
	v_cndmask_b32_e32 v12, v15, v12, vcc_lo
	s_delay_alu instid0(VALU_DEP_3) | instskip(NEXT) | instid1(VALU_DEP_3)
	v_cndmask_b32_e64 v11, v11, 0xffffff8a, vcc_lo
	v_lshl_add_u32 v15, 0x100000, v14, -1
	s_delay_alu instid0(VALU_DEP_3) | instskip(SKIP_1) | instid1(VALU_DEP_4)
	v_lshrrev_b32_e32 v16, v14, v12
	v_lshlrev_b32_e64 v18, v14, 0x80000
	v_add_nc_u32_e32 v14, v14, v11
	s_delay_alu instid0(VALU_DEP_4) | instskip(NEXT) | instid1(VALU_DEP_4)
	v_and_b32_e32 v12, v15, v12
	v_bfe_u32 v17, v16, 20, 1
	s_delay_alu instid0(VALU_DEP_2) | instskip(NEXT) | instid1(VALU_DEP_2)
	v_cmp_eq_u32_e64 s11, v12, v18
	v_add_nc_u32_e32 v15, -1, v17
	s_delay_alu instid0(VALU_DEP_1) | instskip(SKIP_2) | instid1(VALU_DEP_2)
	v_cndmask_b32_e64 v12, 0, v15, s11
	v_lshrrev_b32_e32 v15, 23, v16
	s_mov_b32 s11, exec_lo
	v_add_nc_u32_e32 v12, v12, v16
	s_delay_alu instid0(VALU_DEP_2) | instskip(NEXT) | instid1(VALU_DEP_2)
	v_xor_b32_e32 v15, 1, v15
	v_and_b32_e32 v11, 0xfffff, v12
	s_delay_alu instid0(VALU_DEP_1) | instskip(NEXT) | instid1(VALU_DEP_3)
	v_add_nc_u32_e32 v12, v11, v16
                                        ; implicit-def: $vgpr11
	v_cmpx_ne_u32_e64 v14, v15
	s_xor_b32 s11, exec_lo, s11
; %bb.314:                              ;   in Loop: Header=BB6_142 Depth=2
	s_delay_alu instid0(VALU_DEP_2) | instskip(SKIP_2) | instid1(VALU_DEP_2)
	v_cmp_lt_u32_e32 vcc_lo, 0xffffff, v12
	v_sub_nc_u32_e32 v11, v14, v15
	v_cndmask_b32_e64 v14, 0, 1, vcc_lo
	v_add_co_ci_u32_e32 v11, vcc_lo, 0, v11, vcc_lo
	s_delay_alu instid0(VALU_DEP_2)
	v_lshrrev_b32_e32 v12, v14, v12
; %bb.315:                              ;   in Loop: Header=BB6_142 Depth=2
	s_and_not1_saveexec_b32 s11, s11
; %bb.316:                              ;   in Loop: Header=BB6_142 Depth=2
	s_delay_alu instid0(VALU_DEP_1)
	v_bfe_u32 v11, v12, 23, 1
; %bb.317:                              ;   in Loop: Header=BB6_142 Depth=2
	s_or_b32 exec_lo, exec_lo, s11
	v_lshrrev_b32_e32 v12, 20, v12
	s_delay_alu instid0(VALU_DEP_2) | instskip(SKIP_2) | instid1(VALU_DEP_3)
	v_min_i32_e32 v14, 15, v11
	v_cmp_gt_i32_e32 vcc_lo, 16, v11
	v_lshrrev_b32_e32 v10, 24, v10
	v_lshlrev_b32_e32 v14, 3, v14
	v_cndmask_b32_e32 v12, 7, v12, vcc_lo
	s_delay_alu instid0(VALU_DEP_3) | instskip(NEXT) | instid1(VALU_DEP_3)
	v_and_b32_e32 v10, 0x80, v10
	v_and_b32_e32 v14, 0xf8, v14
	s_delay_alu instid0(VALU_DEP_3) | instskip(SKIP_1) | instid1(VALU_DEP_2)
	v_and_b32_e32 v15, 7, v12
	v_or_b32_e32 v11, v11, v12
	v_or3_b32 v10, v10, v14, v15
	s_delay_alu instid0(VALU_DEP_2) | instskip(NEXT) | instid1(VALU_DEP_2)
	v_cmp_ne_u32_e32 vcc_lo, 0, v11
	v_lshlrev_b32_e32 v10, 8, v10
	s_delay_alu instid0(VALU_DEP_1)
	v_cndmask_b32_e32 v89, 0, v10, vcc_lo
.LBB6_318:                              ;   in Loop: Header=BB6_142 Depth=2
	s_or_b32 exec_lo, exec_lo, s27
.LBB6_319:                              ;   in Loop: Header=BB6_142 Depth=2
	s_delay_alu instid0(SALU_CYCLE_1) | instskip(SKIP_3) | instid1(VALU_DEP_1)
	s_or_b32 exec_lo, exec_lo, s26
	v_lshrrev_b32_e32 v10, 16, v13
	s_mov_b32 s11, 0
	s_mov_b32 s27, exec_lo
                                        ; implicit-def: $sgpr26
	v_and_b32_e32 v12, 0xff, v10
	s_delay_alu instid0(VALU_DEP_1)
	v_cmpx_lt_i16_e32 0x7f, v12
	s_xor_b32 s27, exec_lo, s27
	s_cbranch_execnz .LBB6_1997
; %bb.320:                              ;   in Loop: Header=BB6_142 Depth=2
	s_or_saveexec_b32 s27, s27
	v_mov_b32_e32 v11, s26
	s_xor_b32 exec_lo, exec_lo, s27
	s_cbranch_execnz .LBB6_2000
.LBB6_321:                              ;   in Loop: Header=BB6_142 Depth=2
	s_or_b32 exec_lo, exec_lo, s27
	s_and_saveexec_b32 s26, s11
	s_cbranch_execz .LBB6_323
.LBB6_322:                              ;   in Loop: Header=BB6_142 Depth=2
	v_bfe_u32 v11, v13, 16, 3
	s_delay_alu instid0(VALU_DEP_1) | instskip(NEXT) | instid1(VALU_DEP_1)
	v_clz_i32_u32_e32 v12, v11
	v_min_u32_e32 v12, 32, v12
	s_delay_alu instid0(VALU_DEP_1) | instskip(SKIP_1) | instid1(VALU_DEP_2)
	v_subrev_nc_u32_e32 v14, 28, v12
	v_sub_nc_u32_e32 v12, 29, v12
	v_lshlrev_b32_e32 v10, v14, v10
	v_bfe_u32 v14, v13, 19, 4
	s_delay_alu instid0(VALU_DEP_2) | instskip(NEXT) | instid1(VALU_DEP_2)
	v_and_b32_e32 v10, 7, v10
	v_cmp_eq_u32_e32 vcc_lo, 0, v14
	v_dual_cndmask_b32 v12, v14, v12 :: v_dual_lshlrev_b32 v15, 8, v13
	s_delay_alu instid0(VALU_DEP_1) | instskip(NEXT) | instid1(VALU_DEP_2)
	v_dual_cndmask_b32 v10, v11, v10 :: v_dual_and_b32 v11, 0x80000000, v15
	v_lshl_add_u32 v12, v12, 23, 0x3b800000
	s_delay_alu instid0(VALU_DEP_2) | instskip(NEXT) | instid1(VALU_DEP_1)
	v_lshlrev_b32_e32 v10, 20, v10
	v_or3_b32 v11, v11, v12, v10
.LBB6_323:                              ;   in Loop: Header=BB6_142 Depth=2
	s_or_b32 exec_lo, exec_lo, s26
	s_delay_alu instid0(VALU_DEP_1) | instskip(SKIP_2) | instid1(VALU_DEP_2)
	v_mul_f32_e32 v10, s25, v11
	v_mov_b32_e32 v78, 0x80
	s_mov_b32 s26, exec_lo
	v_and_b32_e32 v11, 0x7f800000, v10
	s_delay_alu instid0(VALU_DEP_1)
	v_cmpx_ne_u32_e32 0x7f800000, v11
	s_cbranch_execz .LBB6_331
; %bb.324:                              ;   in Loop: Header=BB6_142 Depth=2
	v_mov_b32_e32 v78, 0
	s_mov_b32 s27, exec_lo
	v_cmpx_ne_u32_e32 0, v10
	s_cbranch_execz .LBB6_330
; %bb.325:                              ;   in Loop: Header=BB6_142 Depth=2
	v_bfe_u32 v11, v10, 23, 8
	v_and_b32_e32 v12, 0x7fffff, v10
	s_delay_alu instid0(VALU_DEP_2) | instskip(SKIP_1) | instid1(VALU_DEP_3)
	v_sub_nc_u32_e32 v14, 0x78, v11
	v_cmp_gt_u32_e32 vcc_lo, 0x79, v11
	v_or_b32_e32 v15, 0x800000, v12
	s_delay_alu instid0(VALU_DEP_3) | instskip(SKIP_2) | instid1(VALU_DEP_3)
	v_cndmask_b32_e32 v14, 0, v14, vcc_lo
	v_cmp_eq_u32_e32 vcc_lo, 0, v11
	v_add_nc_u32_e32 v11, 0xffffff89, v11
	v_cndmask_b32_e64 v14, v14, 0x77, vcc_lo
	v_cndmask_b32_e32 v12, v15, v12, vcc_lo
	s_delay_alu instid0(VALU_DEP_3) | instskip(NEXT) | instid1(VALU_DEP_3)
	v_cndmask_b32_e64 v11, v11, 0xffffff8a, vcc_lo
	v_lshl_add_u32 v15, 0x100000, v14, -1
	s_delay_alu instid0(VALU_DEP_3) | instskip(SKIP_1) | instid1(VALU_DEP_4)
	v_lshrrev_b32_e32 v16, v14, v12
	v_lshlrev_b32_e64 v18, v14, 0x80000
	v_add_nc_u32_e32 v14, v14, v11
	s_delay_alu instid0(VALU_DEP_4) | instskip(NEXT) | instid1(VALU_DEP_4)
	v_and_b32_e32 v12, v15, v12
	v_bfe_u32 v17, v16, 20, 1
	s_delay_alu instid0(VALU_DEP_2) | instskip(NEXT) | instid1(VALU_DEP_2)
	v_cmp_eq_u32_e64 s11, v12, v18
	v_add_nc_u32_e32 v15, -1, v17
	s_delay_alu instid0(VALU_DEP_1) | instskip(SKIP_2) | instid1(VALU_DEP_2)
	v_cndmask_b32_e64 v12, 0, v15, s11
	v_lshrrev_b32_e32 v15, 23, v16
	s_mov_b32 s11, exec_lo
	v_add_nc_u32_e32 v12, v12, v16
	s_delay_alu instid0(VALU_DEP_2) | instskip(NEXT) | instid1(VALU_DEP_2)
	v_xor_b32_e32 v15, 1, v15
	v_and_b32_e32 v11, 0xfffff, v12
	s_delay_alu instid0(VALU_DEP_1) | instskip(NEXT) | instid1(VALU_DEP_3)
	v_add_nc_u32_e32 v12, v11, v16
                                        ; implicit-def: $vgpr11
	v_cmpx_ne_u32_e64 v14, v15
	s_xor_b32 s11, exec_lo, s11
; %bb.326:                              ;   in Loop: Header=BB6_142 Depth=2
	s_delay_alu instid0(VALU_DEP_2) | instskip(SKIP_2) | instid1(VALU_DEP_2)
	v_cmp_lt_u32_e32 vcc_lo, 0xffffff, v12
	v_sub_nc_u32_e32 v11, v14, v15
	v_cndmask_b32_e64 v14, 0, 1, vcc_lo
	v_add_co_ci_u32_e32 v11, vcc_lo, 0, v11, vcc_lo
	s_delay_alu instid0(VALU_DEP_2)
	v_lshrrev_b32_e32 v12, v14, v12
; %bb.327:                              ;   in Loop: Header=BB6_142 Depth=2
	s_and_not1_saveexec_b32 s11, s11
; %bb.328:                              ;   in Loop: Header=BB6_142 Depth=2
	s_delay_alu instid0(VALU_DEP_1)
	v_bfe_u32 v11, v12, 23, 1
; %bb.329:                              ;   in Loop: Header=BB6_142 Depth=2
	s_or_b32 exec_lo, exec_lo, s11
	v_lshrrev_b32_e32 v12, 20, v12
	s_delay_alu instid0(VALU_DEP_2) | instskip(SKIP_2) | instid1(VALU_DEP_4)
	v_cmp_gt_i32_e32 vcc_lo, 16, v11
	v_min_i32_e32 v14, 15, v11
	v_lshrrev_b32_e32 v10, 24, v10
	v_cndmask_b32_e32 v12, 7, v12, vcc_lo
	s_delay_alu instid0(VALU_DEP_3) | instskip(NEXT) | instid1(VALU_DEP_3)
	v_lshlrev_b32_e32 v14, 3, v14
	v_and_b32_e32 v10, 0x80, v10
	s_delay_alu instid0(VALU_DEP_3) | instskip(NEXT) | instid1(VALU_DEP_3)
	v_or_b32_e32 v11, v11, v12
	v_and_b32_e32 v14, 0xf8, v14
	s_delay_alu instid0(VALU_DEP_2) | instskip(SKIP_1) | instid1(VALU_DEP_1)
	v_cmp_ne_u32_e32 vcc_lo, 0, v11
	v_and_b32_e32 v15, 7, v12
	v_or3_b32 v10, v14, v10, v15
	s_delay_alu instid0(VALU_DEP_1)
	v_cndmask_b32_e32 v78, 0, v10, vcc_lo
.LBB6_330:                              ;   in Loop: Header=BB6_142 Depth=2
	s_or_b32 exec_lo, exec_lo, s27
.LBB6_331:                              ;   in Loop: Header=BB6_142 Depth=2
	s_delay_alu instid0(SALU_CYCLE_1) | instskip(SKIP_3) | instid1(VALU_DEP_1)
	s_or_b32 exec_lo, exec_lo, s26
	v_lshrrev_b32_e32 v10, 24, v13
	s_mov_b32 s11, 0
	s_mov_b32 s27, exec_lo
                                        ; implicit-def: $sgpr26
	v_cmpx_lt_i16_e32 0x7f, v10
	s_xor_b32 s27, exec_lo, s27
	s_cbranch_execnz .LBB6_2001
; %bb.332:                              ;   in Loop: Header=BB6_142 Depth=2
	s_or_saveexec_b32 s27, s27
	v_mov_b32_e32 v11, s26
	s_xor_b32 exec_lo, exec_lo, s27
	s_cbranch_execnz .LBB6_2004
.LBB6_333:                              ;   in Loop: Header=BB6_142 Depth=2
	s_or_b32 exec_lo, exec_lo, s27
	s_and_saveexec_b32 s26, s11
	s_cbranch_execz .LBB6_335
.LBB6_334:                              ;   in Loop: Header=BB6_142 Depth=2
	v_bfe_u32 v11, v13, 24, 3
	s_delay_alu instid0(VALU_DEP_1) | instskip(NEXT) | instid1(VALU_DEP_1)
	v_clz_i32_u32_e32 v12, v11
	v_min_u32_e32 v12, 32, v12
	s_delay_alu instid0(VALU_DEP_1) | instskip(SKIP_1) | instid1(VALU_DEP_2)
	v_subrev_nc_u32_e32 v14, 28, v12
	v_sub_nc_u32_e32 v12, 29, v12
	v_lshlrev_b32_e32 v10, v14, v10
	v_bfe_u32 v14, v13, 27, 4
	s_delay_alu instid0(VALU_DEP_2) | instskip(NEXT) | instid1(VALU_DEP_2)
	v_and_b32_e32 v10, 7, v10
	v_cmp_eq_u32_e32 vcc_lo, 0, v14
	v_cndmask_b32_e32 v12, v14, v12, vcc_lo
	s_delay_alu instid0(VALU_DEP_3) | instskip(NEXT) | instid1(VALU_DEP_2)
	v_dual_cndmask_b32 v10, v11, v10 :: v_dual_and_b32 v11, 0x80000000, v13
	v_lshl_add_u32 v12, v12, 23, 0x3b800000
	s_delay_alu instid0(VALU_DEP_2) | instskip(NEXT) | instid1(VALU_DEP_1)
	v_lshlrev_b32_e32 v10, 20, v10
	v_or3_b32 v11, v11, v12, v10
.LBB6_335:                              ;   in Loop: Header=BB6_142 Depth=2
	s_or_b32 exec_lo, exec_lo, s26
	s_delay_alu instid0(VALU_DEP_1) | instskip(SKIP_2) | instid1(VALU_DEP_2)
	v_mul_f32_e32 v10, s25, v11
	v_mov_b32_e32 v88, 0x8000
	s_mov_b32 s26, exec_lo
	v_and_b32_e32 v11, 0x7f800000, v10
	s_delay_alu instid0(VALU_DEP_1)
	v_cmpx_ne_u32_e32 0x7f800000, v11
	s_cbranch_execz .LBB6_343
; %bb.336:                              ;   in Loop: Header=BB6_142 Depth=2
	v_mov_b32_e32 v88, 0
	s_mov_b32 s27, exec_lo
	v_cmpx_ne_u32_e32 0, v10
	s_cbranch_execz .LBB6_342
; %bb.337:                              ;   in Loop: Header=BB6_142 Depth=2
	v_bfe_u32 v11, v10, 23, 8
	s_delay_alu instid0(VALU_DEP_1) | instskip(SKIP_1) | instid1(VALU_DEP_2)
	v_sub_nc_u32_e32 v13, 0x78, v11
	v_cmp_gt_u32_e32 vcc_lo, 0x79, v11
	v_dual_cndmask_b32 v13, 0, v13 :: v_dual_and_b32 v12, 0x7fffff, v10
	s_delay_alu instid0(VALU_DEP_1) | instskip(SKIP_2) | instid1(VALU_DEP_4)
	v_or_b32_e32 v14, 0x800000, v12
	v_cmp_eq_u32_e32 vcc_lo, 0, v11
	v_add_nc_u32_e32 v11, 0xffffff89, v11
	v_cndmask_b32_e64 v13, v13, 0x77, vcc_lo
	s_delay_alu instid0(VALU_DEP_4) | instskip(NEXT) | instid1(VALU_DEP_3)
	v_cndmask_b32_e32 v12, v14, v12, vcc_lo
	v_cndmask_b32_e64 v11, v11, 0xffffff8a, vcc_lo
	s_delay_alu instid0(VALU_DEP_3) | instskip(NEXT) | instid1(VALU_DEP_3)
	v_lshl_add_u32 v14, 0x100000, v13, -1
	v_lshrrev_b32_e32 v15, v13, v12
	v_lshlrev_b32_e64 v17, v13, 0x80000
	s_delay_alu instid0(VALU_DEP_4) | instskip(NEXT) | instid1(VALU_DEP_4)
	v_add_nc_u32_e32 v13, v13, v11
	v_and_b32_e32 v12, v14, v12
	s_delay_alu instid0(VALU_DEP_4) | instskip(NEXT) | instid1(VALU_DEP_2)
	v_bfe_u32 v16, v15, 20, 1
	v_cmp_eq_u32_e64 s11, v12, v17
	s_delay_alu instid0(VALU_DEP_2) | instskip(NEXT) | instid1(VALU_DEP_1)
	v_add_nc_u32_e32 v14, -1, v16
	v_cndmask_b32_e64 v12, 0, v14, s11
	v_lshrrev_b32_e32 v14, 23, v15
	s_mov_b32 s11, exec_lo
	s_delay_alu instid0(VALU_DEP_2) | instskip(NEXT) | instid1(VALU_DEP_2)
	v_add_nc_u32_e32 v12, v12, v15
	v_xor_b32_e32 v14, 1, v14
	s_delay_alu instid0(VALU_DEP_2) | instskip(NEXT) | instid1(VALU_DEP_1)
	v_and_b32_e32 v11, 0xfffff, v12
	v_add_nc_u32_e32 v12, v11, v15
                                        ; implicit-def: $vgpr11
	s_delay_alu instid0(VALU_DEP_3)
	v_cmpx_ne_u32_e64 v13, v14
	s_xor_b32 s11, exec_lo, s11
; %bb.338:                              ;   in Loop: Header=BB6_142 Depth=2
	s_delay_alu instid0(VALU_DEP_2) | instskip(SKIP_2) | instid1(VALU_DEP_2)
	v_cmp_lt_u32_e32 vcc_lo, 0xffffff, v12
	v_sub_nc_u32_e32 v11, v13, v14
	v_cndmask_b32_e64 v13, 0, 1, vcc_lo
	v_add_co_ci_u32_e32 v11, vcc_lo, 0, v11, vcc_lo
	s_delay_alu instid0(VALU_DEP_2)
	v_lshrrev_b32_e32 v12, v13, v12
; %bb.339:                              ;   in Loop: Header=BB6_142 Depth=2
	s_and_not1_saveexec_b32 s11, s11
; %bb.340:                              ;   in Loop: Header=BB6_142 Depth=2
	s_delay_alu instid0(VALU_DEP_1)
	v_bfe_u32 v11, v12, 23, 1
; %bb.341:                              ;   in Loop: Header=BB6_142 Depth=2
	s_or_b32 exec_lo, exec_lo, s11
	v_lshrrev_b32_e32 v12, 20, v12
	s_delay_alu instid0(VALU_DEP_2) | instskip(SKIP_2) | instid1(VALU_DEP_2)
	v_cmp_gt_i32_e32 vcc_lo, 16, v11
	v_min_i32_e32 v13, 15, v11
	v_lshrrev_b32_e32 v10, 24, v10
	v_dual_cndmask_b32 v12, 7, v12 :: v_dual_lshlrev_b32 v13, 3, v13
	s_delay_alu instid0(VALU_DEP_2) | instskip(NEXT) | instid1(VALU_DEP_2)
	v_and_b32_e32 v10, 0x80, v10
	v_or_b32_e32 v11, v11, v12
	v_and_b32_e32 v14, 7, v12
	s_delay_alu instid0(VALU_DEP_2) | instskip(SKIP_1) | instid1(VALU_DEP_1)
	v_cmp_ne_u32_e32 vcc_lo, 0, v11
	v_and_b32_e32 v13, 0xf8, v13
	v_or3_b32 v10, v10, v13, v14
	s_delay_alu instid0(VALU_DEP_1) | instskip(NEXT) | instid1(VALU_DEP_1)
	v_lshlrev_b32_e32 v10, 8, v10
	v_cndmask_b32_e32 v88, 0, v10, vcc_lo
.LBB6_342:                              ;   in Loop: Header=BB6_142 Depth=2
	s_or_b32 exec_lo, exec_lo, s27
.LBB6_343:                              ;   in Loop: Header=BB6_142 Depth=2
	s_delay_alu instid0(SALU_CYCLE_1)
	s_or_b32 exec_lo, exec_lo, s26
	global_load_b128 v[10:13], v[66:67], off offset:512 slc dlc
	s_mov_b32 s11, 0
	s_mov_b32 s27, exec_lo
                                        ; implicit-def: $sgpr26
	s_waitcnt vmcnt(0)
	v_and_b32_e32 v15, 0xff, v10
	s_delay_alu instid0(VALU_DEP_1)
	v_cmpx_lt_i16_e32 0x7f, v15
	s_xor_b32 s27, exec_lo, s27
	s_cbranch_execnz .LBB6_2005
; %bb.344:                              ;   in Loop: Header=BB6_142 Depth=2
	s_or_saveexec_b32 s27, s27
	v_mov_b32_e32 v14, s26
	s_xor_b32 exec_lo, exec_lo, s27
	s_cbranch_execnz .LBB6_2008
.LBB6_345:                              ;   in Loop: Header=BB6_142 Depth=2
	s_or_b32 exec_lo, exec_lo, s27
	s_and_saveexec_b32 s26, s11
	s_cbranch_execz .LBB6_347
.LBB6_346:                              ;   in Loop: Header=BB6_142 Depth=2
	v_bfe_u32 v17, v10, 3, 4
	v_lshlrev_b32_e32 v18, 24, v10
	s_delay_alu instid0(VALU_DEP_2) | instskip(SKIP_1) | instid1(VALU_DEP_1)
	v_cmp_eq_u32_e32 vcc_lo, 0, v17
	v_and_b32_e32 v14, 7, v10
	v_clz_i32_u32_e32 v15, v14
	s_delay_alu instid0(VALU_DEP_1) | instskip(NEXT) | instid1(VALU_DEP_1)
	v_min_u32_e32 v15, 32, v15
	v_subrev_nc_u32_e32 v16, 28, v15
	v_sub_nc_u32_e32 v15, 29, v15
	s_delay_alu instid0(VALU_DEP_1) | instskip(NEXT) | instid1(VALU_DEP_1)
	v_dual_cndmask_b32 v15, v17, v15 :: v_dual_lshlrev_b32 v16, v16, v10
	v_and_b32_e32 v16, 7, v16
	s_delay_alu instid0(VALU_DEP_2) | instskip(NEXT) | instid1(VALU_DEP_2)
	v_lshl_add_u32 v15, v15, 23, 0x3b800000
	v_cndmask_b32_e32 v14, v14, v16, vcc_lo
	v_and_b32_e32 v16, 0x80000000, v18
	s_delay_alu instid0(VALU_DEP_2) | instskip(NEXT) | instid1(VALU_DEP_1)
	v_lshlrev_b32_e32 v14, 20, v14
	v_or3_b32 v14, v16, v15, v14
.LBB6_347:                              ;   in Loop: Header=BB6_142 Depth=2
	s_or_b32 exec_lo, exec_lo, s26
	s_delay_alu instid0(VALU_DEP_1) | instskip(SKIP_1) | instid1(VALU_DEP_1)
	v_dual_mul_f32 v14, s25, v14 :: v_dual_mov_b32 v79, 0x80
	s_mov_b32 s26, exec_lo
	v_and_b32_e32 v15, 0x7f800000, v14
	s_delay_alu instid0(VALU_DEP_1)
	v_cmpx_ne_u32_e32 0x7f800000, v15
	s_cbranch_execz .LBB6_355
; %bb.348:                              ;   in Loop: Header=BB6_142 Depth=2
	v_mov_b32_e32 v79, 0
	s_mov_b32 s27, exec_lo
	v_cmpx_ne_u32_e32 0, v14
	s_cbranch_execz .LBB6_354
; %bb.349:                              ;   in Loop: Header=BB6_142 Depth=2
	v_bfe_u32 v15, v14, 23, 8
	s_delay_alu instid0(VALU_DEP_1) | instskip(SKIP_1) | instid1(VALU_DEP_2)
	v_sub_nc_u32_e32 v17, 0x78, v15
	v_cmp_gt_u32_e32 vcc_lo, 0x79, v15
	v_dual_cndmask_b32 v17, 0, v17 :: v_dual_and_b32 v16, 0x7fffff, v14
	s_delay_alu instid0(VALU_DEP_1) | instskip(SKIP_2) | instid1(VALU_DEP_4)
	v_or_b32_e32 v18, 0x800000, v16
	v_cmp_eq_u32_e32 vcc_lo, 0, v15
	v_add_nc_u32_e32 v15, 0xffffff89, v15
	v_cndmask_b32_e64 v17, v17, 0x77, vcc_lo
	s_delay_alu instid0(VALU_DEP_4) | instskip(NEXT) | instid1(VALU_DEP_3)
	v_cndmask_b32_e32 v16, v18, v16, vcc_lo
	v_cndmask_b32_e64 v15, v15, 0xffffff8a, vcc_lo
	s_delay_alu instid0(VALU_DEP_3) | instskip(NEXT) | instid1(VALU_DEP_3)
	v_lshl_add_u32 v18, 0x100000, v17, -1
	v_lshrrev_b32_e32 v19, v17, v16
	v_lshlrev_b32_e64 v21, v17, 0x80000
	s_delay_alu instid0(VALU_DEP_4) | instskip(NEXT) | instid1(VALU_DEP_4)
	v_add_nc_u32_e32 v17, v17, v15
	v_and_b32_e32 v16, v18, v16
	s_delay_alu instid0(VALU_DEP_4) | instskip(NEXT) | instid1(VALU_DEP_2)
	v_bfe_u32 v20, v19, 20, 1
	v_cmp_eq_u32_e64 s11, v16, v21
	s_delay_alu instid0(VALU_DEP_2) | instskip(NEXT) | instid1(VALU_DEP_1)
	v_add_nc_u32_e32 v18, -1, v20
	v_cndmask_b32_e64 v16, 0, v18, s11
	v_lshrrev_b32_e32 v18, 23, v19
	s_mov_b32 s11, exec_lo
	s_delay_alu instid0(VALU_DEP_2) | instskip(NEXT) | instid1(VALU_DEP_2)
	v_add_nc_u32_e32 v16, v16, v19
	v_xor_b32_e32 v18, 1, v18
	s_delay_alu instid0(VALU_DEP_2) | instskip(NEXT) | instid1(VALU_DEP_1)
	v_and_b32_e32 v15, 0xfffff, v16
	v_add_nc_u32_e32 v16, v15, v19
                                        ; implicit-def: $vgpr15
	s_delay_alu instid0(VALU_DEP_3)
	v_cmpx_ne_u32_e64 v17, v18
	s_xor_b32 s11, exec_lo, s11
; %bb.350:                              ;   in Loop: Header=BB6_142 Depth=2
	s_delay_alu instid0(VALU_DEP_2) | instskip(SKIP_2) | instid1(VALU_DEP_2)
	v_cmp_lt_u32_e32 vcc_lo, 0xffffff, v16
	v_sub_nc_u32_e32 v15, v17, v18
	v_cndmask_b32_e64 v17, 0, 1, vcc_lo
	v_add_co_ci_u32_e32 v15, vcc_lo, 0, v15, vcc_lo
	s_delay_alu instid0(VALU_DEP_2)
	v_lshrrev_b32_e32 v16, v17, v16
; %bb.351:                              ;   in Loop: Header=BB6_142 Depth=2
	s_and_not1_saveexec_b32 s11, s11
; %bb.352:                              ;   in Loop: Header=BB6_142 Depth=2
	s_delay_alu instid0(VALU_DEP_1)
	v_bfe_u32 v15, v16, 23, 1
; %bb.353:                              ;   in Loop: Header=BB6_142 Depth=2
	s_or_b32 exec_lo, exec_lo, s11
	v_lshrrev_b32_e32 v16, 20, v16
	s_delay_alu instid0(VALU_DEP_2) | instskip(SKIP_2) | instid1(VALU_DEP_2)
	v_cmp_gt_i32_e32 vcc_lo, 16, v15
	v_min_i32_e32 v17, 15, v15
	v_lshrrev_b32_e32 v14, 24, v14
	v_dual_cndmask_b32 v16, 7, v16 :: v_dual_lshlrev_b32 v17, 3, v17
	s_delay_alu instid0(VALU_DEP_2) | instskip(NEXT) | instid1(VALU_DEP_2)
	v_and_b32_e32 v14, 0x80, v14
	v_or_b32_e32 v15, v15, v16
	s_delay_alu instid0(VALU_DEP_1) | instskip(SKIP_1) | instid1(VALU_DEP_1)
	v_cmp_ne_u32_e32 vcc_lo, 0, v15
	v_and_b32_e32 v18, 7, v16
	v_or3_b32 v14, v17, v14, v18
	s_delay_alu instid0(VALU_DEP_1)
	v_cndmask_b32_e32 v79, 0, v14, vcc_lo
.LBB6_354:                              ;   in Loop: Header=BB6_142 Depth=2
	s_or_b32 exec_lo, exec_lo, s27
.LBB6_355:                              ;   in Loop: Header=BB6_142 Depth=2
	s_delay_alu instid0(SALU_CYCLE_1) | instskip(SKIP_3) | instid1(VALU_DEP_1)
	s_or_b32 exec_lo, exec_lo, s26
	v_lshrrev_b16 v14, 8, v10
	s_mov_b32 s11, 0
	s_mov_b32 s27, exec_lo
                                        ; implicit-def: $sgpr26
	v_cmpx_lt_i16_e32 0x7f, v14
	s_xor_b32 s27, exec_lo, s27
	s_cbranch_execnz .LBB6_2009
; %bb.356:                              ;   in Loop: Header=BB6_142 Depth=2
	s_or_saveexec_b32 s27, s27
	v_mov_b32_e32 v15, s26
	s_xor_b32 exec_lo, exec_lo, s27
	s_cbranch_execnz .LBB6_2012
.LBB6_357:                              ;   in Loop: Header=BB6_142 Depth=2
	s_or_b32 exec_lo, exec_lo, s27
	s_and_saveexec_b32 s26, s11
	s_cbranch_execz .LBB6_359
.LBB6_358:                              ;   in Loop: Header=BB6_142 Depth=2
	v_and_b32_e32 v15, 0xffff, v14
	v_lshlrev_b32_e32 v14, 24, v14
	s_delay_alu instid0(VALU_DEP_2) | instskip(NEXT) | instid1(VALU_DEP_2)
	v_and_b32_e32 v16, 7, v15
	v_and_b32_e32 v14, 0x80000000, v14
	s_delay_alu instid0(VALU_DEP_2) | instskip(NEXT) | instid1(VALU_DEP_1)
	v_clz_i32_u32_e32 v17, v16
	v_min_u32_e32 v17, 32, v17
	s_delay_alu instid0(VALU_DEP_1) | instskip(SKIP_1) | instid1(VALU_DEP_2)
	v_subrev_nc_u32_e32 v18, 28, v17
	v_sub_nc_u32_e32 v17, 29, v17
	v_lshlrev_b32_e32 v18, v18, v15
	v_bfe_u32 v15, v15, 3, 4
	s_delay_alu instid0(VALU_DEP_2) | instskip(NEXT) | instid1(VALU_DEP_2)
	v_and_b32_e32 v18, 7, v18
	v_cmp_eq_u32_e32 vcc_lo, 0, v15
	s_delay_alu instid0(VALU_DEP_2) | instskip(NEXT) | instid1(VALU_DEP_1)
	v_dual_cndmask_b32 v15, v15, v17 :: v_dual_cndmask_b32 v16, v16, v18
	v_lshl_add_u32 v15, v15, 23, 0x3b800000
	s_delay_alu instid0(VALU_DEP_2) | instskip(NEXT) | instid1(VALU_DEP_1)
	v_lshlrev_b32_e32 v16, 20, v16
	v_or3_b32 v15, v14, v15, v16
.LBB6_359:                              ;   in Loop: Header=BB6_142 Depth=2
	s_or_b32 exec_lo, exec_lo, s26
	s_delay_alu instid0(VALU_DEP_1) | instskip(SKIP_2) | instid1(VALU_DEP_2)
	v_mul_f32_e32 v14, s25, v15
	v_mov_b32_e32 v76, 0x80
	s_mov_b32 s26, exec_lo
	v_and_b32_e32 v15, 0x7f800000, v14
	s_delay_alu instid0(VALU_DEP_1)
	v_cmpx_ne_u32_e32 0x7f800000, v15
	s_cbranch_execz .LBB6_367
; %bb.360:                              ;   in Loop: Header=BB6_142 Depth=2
	v_mov_b32_e32 v76, 0
	s_mov_b32 s27, exec_lo
	v_cmpx_ne_u32_e32 0, v14
	s_cbranch_execz .LBB6_366
; %bb.361:                              ;   in Loop: Header=BB6_142 Depth=2
	v_bfe_u32 v15, v14, 23, 8
	s_delay_alu instid0(VALU_DEP_1) | instskip(SKIP_1) | instid1(VALU_DEP_2)
	v_sub_nc_u32_e32 v17, 0x78, v15
	v_cmp_gt_u32_e32 vcc_lo, 0x79, v15
	v_dual_cndmask_b32 v17, 0, v17 :: v_dual_and_b32 v16, 0x7fffff, v14
	s_delay_alu instid0(VALU_DEP_1) | instskip(SKIP_2) | instid1(VALU_DEP_4)
	v_or_b32_e32 v18, 0x800000, v16
	v_cmp_eq_u32_e32 vcc_lo, 0, v15
	v_add_nc_u32_e32 v15, 0xffffff89, v15
	v_cndmask_b32_e64 v17, v17, 0x77, vcc_lo
	s_delay_alu instid0(VALU_DEP_4) | instskip(NEXT) | instid1(VALU_DEP_3)
	v_cndmask_b32_e32 v16, v18, v16, vcc_lo
	v_cndmask_b32_e64 v15, v15, 0xffffff8a, vcc_lo
	s_delay_alu instid0(VALU_DEP_3) | instskip(NEXT) | instid1(VALU_DEP_3)
	v_lshl_add_u32 v18, 0x100000, v17, -1
	v_lshrrev_b32_e32 v19, v17, v16
	v_lshlrev_b32_e64 v21, v17, 0x80000
	s_delay_alu instid0(VALU_DEP_4) | instskip(NEXT) | instid1(VALU_DEP_4)
	v_add_nc_u32_e32 v17, v17, v15
	v_and_b32_e32 v16, v18, v16
	s_delay_alu instid0(VALU_DEP_4) | instskip(NEXT) | instid1(VALU_DEP_2)
	v_bfe_u32 v20, v19, 20, 1
	v_cmp_eq_u32_e64 s11, v16, v21
	s_delay_alu instid0(VALU_DEP_2) | instskip(NEXT) | instid1(VALU_DEP_1)
	v_add_nc_u32_e32 v18, -1, v20
	v_cndmask_b32_e64 v16, 0, v18, s11
	v_lshrrev_b32_e32 v18, 23, v19
	s_mov_b32 s11, exec_lo
	s_delay_alu instid0(VALU_DEP_2) | instskip(NEXT) | instid1(VALU_DEP_2)
	v_add_nc_u32_e32 v16, v16, v19
	v_xor_b32_e32 v18, 1, v18
	s_delay_alu instid0(VALU_DEP_2) | instskip(NEXT) | instid1(VALU_DEP_1)
	v_and_b32_e32 v15, 0xfffff, v16
	v_add_nc_u32_e32 v16, v15, v19
                                        ; implicit-def: $vgpr15
	s_delay_alu instid0(VALU_DEP_3)
	v_cmpx_ne_u32_e64 v17, v18
	s_xor_b32 s11, exec_lo, s11
; %bb.362:                              ;   in Loop: Header=BB6_142 Depth=2
	s_delay_alu instid0(VALU_DEP_2) | instskip(SKIP_2) | instid1(VALU_DEP_2)
	v_cmp_lt_u32_e32 vcc_lo, 0xffffff, v16
	v_sub_nc_u32_e32 v15, v17, v18
	v_cndmask_b32_e64 v17, 0, 1, vcc_lo
	v_add_co_ci_u32_e32 v15, vcc_lo, 0, v15, vcc_lo
	s_delay_alu instid0(VALU_DEP_2)
	v_lshrrev_b32_e32 v16, v17, v16
; %bb.363:                              ;   in Loop: Header=BB6_142 Depth=2
	s_and_not1_saveexec_b32 s11, s11
; %bb.364:                              ;   in Loop: Header=BB6_142 Depth=2
	s_delay_alu instid0(VALU_DEP_1)
	v_bfe_u32 v15, v16, 23, 1
; %bb.365:                              ;   in Loop: Header=BB6_142 Depth=2
	s_or_b32 exec_lo, exec_lo, s11
	v_lshrrev_b32_e32 v16, 20, v16
	s_delay_alu instid0(VALU_DEP_2) | instskip(SKIP_2) | instid1(VALU_DEP_4)
	v_cmp_gt_i32_e32 vcc_lo, 16, v15
	v_lshrrev_b32_e32 v14, 24, v14
	v_min_i32_e32 v17, 15, v15
	v_cndmask_b32_e32 v16, 7, v16, vcc_lo
	s_delay_alu instid0(VALU_DEP_3) | instskip(NEXT) | instid1(VALU_DEP_3)
	v_and_b32_e32 v14, 0x80, v14
	v_lshlrev_b32_e32 v17, 3, v17
	s_delay_alu instid0(VALU_DEP_3) | instskip(SKIP_1) | instid1(VALU_DEP_2)
	v_and_b32_e32 v18, 7, v16
	v_or_b32_e32 v15, v15, v16
	v_or3_b32 v14, v17, v14, v18
	s_delay_alu instid0(VALU_DEP_2) | instskip(NEXT) | instid1(VALU_DEP_2)
	v_cmp_ne_u32_e32 vcc_lo, 0, v15
	v_cndmask_b32_e32 v76, 0, v14, vcc_lo
.LBB6_366:                              ;   in Loop: Header=BB6_142 Depth=2
	s_or_b32 exec_lo, exec_lo, s27
.LBB6_367:                              ;   in Loop: Header=BB6_142 Depth=2
	s_delay_alu instid0(SALU_CYCLE_1) | instskip(SKIP_3) | instid1(VALU_DEP_1)
	s_or_b32 exec_lo, exec_lo, s26
	v_lshrrev_b32_e32 v14, 16, v10
	s_mov_b32 s11, 0
	s_mov_b32 s27, exec_lo
                                        ; implicit-def: $sgpr26
	v_and_b32_e32 v16, 0xff, v14
	s_delay_alu instid0(VALU_DEP_1)
	v_cmpx_lt_i16_e32 0x7f, v16
	s_xor_b32 s27, exec_lo, s27
	s_cbranch_execnz .LBB6_2013
; %bb.368:                              ;   in Loop: Header=BB6_142 Depth=2
	s_or_saveexec_b32 s27, s27
	v_mov_b32_e32 v15, s26
	s_xor_b32 exec_lo, exec_lo, s27
	s_cbranch_execnz .LBB6_2016
.LBB6_369:                              ;   in Loop: Header=BB6_142 Depth=2
	s_or_b32 exec_lo, exec_lo, s27
	s_and_saveexec_b32 s26, s11
	s_cbranch_execz .LBB6_371
.LBB6_370:                              ;   in Loop: Header=BB6_142 Depth=2
	v_bfe_u32 v15, v10, 16, 3
	v_lshlrev_b32_e32 v18, 8, v10
	s_delay_alu instid0(VALU_DEP_2) | instskip(NEXT) | instid1(VALU_DEP_1)
	v_clz_i32_u32_e32 v16, v15
	v_min_u32_e32 v16, 32, v16
	s_delay_alu instid0(VALU_DEP_1) | instskip(SKIP_1) | instid1(VALU_DEP_2)
	v_subrev_nc_u32_e32 v17, 28, v16
	v_sub_nc_u32_e32 v16, 29, v16
	v_lshlrev_b32_e32 v14, v17, v14
	v_bfe_u32 v17, v10, 19, 4
	s_delay_alu instid0(VALU_DEP_2) | instskip(NEXT) | instid1(VALU_DEP_2)
	v_and_b32_e32 v14, 7, v14
	v_cmp_eq_u32_e32 vcc_lo, 0, v17
	v_cndmask_b32_e32 v16, v17, v16, vcc_lo
	s_delay_alu instid0(VALU_DEP_3) | instskip(SKIP_1) | instid1(VALU_DEP_3)
	v_cndmask_b32_e32 v14, v15, v14, vcc_lo
	v_and_b32_e32 v15, 0x80000000, v18
	v_lshl_add_u32 v16, v16, 23, 0x3b800000
	s_delay_alu instid0(VALU_DEP_3) | instskip(NEXT) | instid1(VALU_DEP_1)
	v_lshlrev_b32_e32 v14, 20, v14
	v_or3_b32 v15, v15, v16, v14
.LBB6_371:                              ;   in Loop: Header=BB6_142 Depth=2
	s_or_b32 exec_lo, exec_lo, s26
	s_delay_alu instid0(VALU_DEP_1) | instskip(SKIP_1) | instid1(VALU_DEP_1)
	v_dual_mul_f32 v14, s25, v15 :: v_dual_mov_b32 v75, 0x80
	s_mov_b32 s26, exec_lo
	v_and_b32_e32 v15, 0x7f800000, v14
	s_delay_alu instid0(VALU_DEP_1)
	v_cmpx_ne_u32_e32 0x7f800000, v15
	s_cbranch_execz .LBB6_379
; %bb.372:                              ;   in Loop: Header=BB6_142 Depth=2
	v_mov_b32_e32 v75, 0
	s_mov_b32 s27, exec_lo
	v_cmpx_ne_u32_e32 0, v14
	s_cbranch_execz .LBB6_378
; %bb.373:                              ;   in Loop: Header=BB6_142 Depth=2
	v_bfe_u32 v15, v14, 23, 8
	s_delay_alu instid0(VALU_DEP_1) | instskip(SKIP_1) | instid1(VALU_DEP_2)
	v_sub_nc_u32_e32 v17, 0x78, v15
	v_cmp_gt_u32_e32 vcc_lo, 0x79, v15
	v_dual_cndmask_b32 v17, 0, v17 :: v_dual_and_b32 v16, 0x7fffff, v14
	s_delay_alu instid0(VALU_DEP_1) | instskip(SKIP_2) | instid1(VALU_DEP_4)
	v_or_b32_e32 v18, 0x800000, v16
	v_cmp_eq_u32_e32 vcc_lo, 0, v15
	v_add_nc_u32_e32 v15, 0xffffff89, v15
	v_cndmask_b32_e64 v17, v17, 0x77, vcc_lo
	s_delay_alu instid0(VALU_DEP_4) | instskip(NEXT) | instid1(VALU_DEP_3)
	v_cndmask_b32_e32 v16, v18, v16, vcc_lo
	v_cndmask_b32_e64 v15, v15, 0xffffff8a, vcc_lo
	s_delay_alu instid0(VALU_DEP_3) | instskip(NEXT) | instid1(VALU_DEP_3)
	v_lshl_add_u32 v18, 0x100000, v17, -1
	v_lshrrev_b32_e32 v19, v17, v16
	v_lshlrev_b32_e64 v21, v17, 0x80000
	s_delay_alu instid0(VALU_DEP_4) | instskip(NEXT) | instid1(VALU_DEP_4)
	v_add_nc_u32_e32 v17, v17, v15
	v_and_b32_e32 v16, v18, v16
	s_delay_alu instid0(VALU_DEP_4) | instskip(NEXT) | instid1(VALU_DEP_2)
	v_bfe_u32 v20, v19, 20, 1
	v_cmp_eq_u32_e64 s11, v16, v21
	s_delay_alu instid0(VALU_DEP_2) | instskip(NEXT) | instid1(VALU_DEP_1)
	v_add_nc_u32_e32 v18, -1, v20
	v_cndmask_b32_e64 v16, 0, v18, s11
	v_lshrrev_b32_e32 v18, 23, v19
	s_mov_b32 s11, exec_lo
	s_delay_alu instid0(VALU_DEP_2) | instskip(NEXT) | instid1(VALU_DEP_2)
	v_add_nc_u32_e32 v16, v16, v19
	v_xor_b32_e32 v18, 1, v18
	s_delay_alu instid0(VALU_DEP_2) | instskip(NEXT) | instid1(VALU_DEP_1)
	v_and_b32_e32 v15, 0xfffff, v16
	v_add_nc_u32_e32 v16, v15, v19
                                        ; implicit-def: $vgpr15
	s_delay_alu instid0(VALU_DEP_3)
	v_cmpx_ne_u32_e64 v17, v18
	s_xor_b32 s11, exec_lo, s11
; %bb.374:                              ;   in Loop: Header=BB6_142 Depth=2
	s_delay_alu instid0(VALU_DEP_2) | instskip(SKIP_2) | instid1(VALU_DEP_2)
	v_cmp_lt_u32_e32 vcc_lo, 0xffffff, v16
	v_sub_nc_u32_e32 v15, v17, v18
	v_cndmask_b32_e64 v17, 0, 1, vcc_lo
	v_add_co_ci_u32_e32 v15, vcc_lo, 0, v15, vcc_lo
	s_delay_alu instid0(VALU_DEP_2)
	v_lshrrev_b32_e32 v16, v17, v16
; %bb.375:                              ;   in Loop: Header=BB6_142 Depth=2
	s_and_not1_saveexec_b32 s11, s11
; %bb.376:                              ;   in Loop: Header=BB6_142 Depth=2
	s_delay_alu instid0(VALU_DEP_1)
	v_bfe_u32 v15, v16, 23, 1
; %bb.377:                              ;   in Loop: Header=BB6_142 Depth=2
	s_or_b32 exec_lo, exec_lo, s11
	v_lshrrev_b32_e32 v16, 20, v16
	s_delay_alu instid0(VALU_DEP_2) | instskip(SKIP_2) | instid1(VALU_DEP_2)
	v_cmp_gt_i32_e32 vcc_lo, 16, v15
	v_min_i32_e32 v17, 15, v15
	v_lshrrev_b32_e32 v14, 24, v14
	v_dual_cndmask_b32 v16, 7, v16 :: v_dual_lshlrev_b32 v17, 3, v17
	s_delay_alu instid0(VALU_DEP_2) | instskip(NEXT) | instid1(VALU_DEP_2)
	v_and_b32_e32 v14, 0x80, v14
	v_or_b32_e32 v15, v15, v16
	s_delay_alu instid0(VALU_DEP_1) | instskip(SKIP_1) | instid1(VALU_DEP_1)
	v_cmp_ne_u32_e32 vcc_lo, 0, v15
	v_and_b32_e32 v18, 7, v16
	v_or3_b32 v14, v17, v14, v18
	s_delay_alu instid0(VALU_DEP_1)
	v_cndmask_b32_e32 v75, 0, v14, vcc_lo
.LBB6_378:                              ;   in Loop: Header=BB6_142 Depth=2
	s_or_b32 exec_lo, exec_lo, s27
.LBB6_379:                              ;   in Loop: Header=BB6_142 Depth=2
	s_delay_alu instid0(SALU_CYCLE_1) | instskip(SKIP_3) | instid1(VALU_DEP_1)
	s_or_b32 exec_lo, exec_lo, s26
	v_lshrrev_b32_e32 v14, 24, v10
	s_mov_b32 s11, 0
	s_mov_b32 s27, exec_lo
                                        ; implicit-def: $sgpr26
	v_cmpx_lt_i16_e32 0x7f, v14
	s_xor_b32 s27, exec_lo, s27
	s_cbranch_execnz .LBB6_2017
; %bb.380:                              ;   in Loop: Header=BB6_142 Depth=2
	s_or_saveexec_b32 s27, s27
	v_mov_b32_e32 v15, s26
	s_xor_b32 exec_lo, exec_lo, s27
	s_cbranch_execnz .LBB6_2020
.LBB6_381:                              ;   in Loop: Header=BB6_142 Depth=2
	s_or_b32 exec_lo, exec_lo, s27
	s_and_saveexec_b32 s26, s11
	s_cbranch_execz .LBB6_383
.LBB6_382:                              ;   in Loop: Header=BB6_142 Depth=2
	v_bfe_u32 v15, v10, 24, 3
	s_delay_alu instid0(VALU_DEP_1) | instskip(NEXT) | instid1(VALU_DEP_1)
	v_clz_i32_u32_e32 v16, v15
	v_min_u32_e32 v16, 32, v16
	s_delay_alu instid0(VALU_DEP_1) | instskip(SKIP_1) | instid1(VALU_DEP_2)
	v_subrev_nc_u32_e32 v17, 28, v16
	v_sub_nc_u32_e32 v16, 29, v16
	v_lshlrev_b32_e32 v14, v17, v14
	v_bfe_u32 v17, v10, 27, 4
	v_and_b32_e32 v10, 0x80000000, v10
	s_delay_alu instid0(VALU_DEP_3) | instskip(NEXT) | instid1(VALU_DEP_3)
	v_and_b32_e32 v14, 7, v14
	v_cmp_eq_u32_e32 vcc_lo, 0, v17
	v_cndmask_b32_e32 v16, v17, v16, vcc_lo
	s_delay_alu instid0(VALU_DEP_3) | instskip(NEXT) | instid1(VALU_DEP_2)
	v_cndmask_b32_e32 v14, v15, v14, vcc_lo
	v_lshl_add_u32 v15, v16, 23, 0x3b800000
	s_delay_alu instid0(VALU_DEP_2) | instskip(NEXT) | instid1(VALU_DEP_1)
	v_lshlrev_b32_e32 v14, 20, v14
	v_or3_b32 v15, v10, v15, v14
.LBB6_383:                              ;   in Loop: Header=BB6_142 Depth=2
	s_or_b32 exec_lo, exec_lo, s26
	s_delay_alu instid0(VALU_DEP_1) | instskip(SKIP_1) | instid1(VALU_DEP_1)
	v_dual_mul_f32 v10, s25, v15 :: v_dual_mov_b32 v73, 0x80
	s_mov_b32 s26, exec_lo
	v_and_b32_e32 v14, 0x7f800000, v10
	s_delay_alu instid0(VALU_DEP_1)
	v_cmpx_ne_u32_e32 0x7f800000, v14
	s_cbranch_execz .LBB6_391
; %bb.384:                              ;   in Loop: Header=BB6_142 Depth=2
	v_mov_b32_e32 v73, 0
	s_mov_b32 s27, exec_lo
	v_cmpx_ne_u32_e32 0, v10
	s_cbranch_execz .LBB6_390
; %bb.385:                              ;   in Loop: Header=BB6_142 Depth=2
	v_bfe_u32 v14, v10, 23, 8
	s_delay_alu instid0(VALU_DEP_1) | instskip(SKIP_1) | instid1(VALU_DEP_2)
	v_sub_nc_u32_e32 v16, 0x78, v14
	v_cmp_gt_u32_e32 vcc_lo, 0x79, v14
	v_dual_cndmask_b32 v16, 0, v16 :: v_dual_and_b32 v15, 0x7fffff, v10
	s_delay_alu instid0(VALU_DEP_1) | instskip(SKIP_2) | instid1(VALU_DEP_4)
	v_or_b32_e32 v17, 0x800000, v15
	v_cmp_eq_u32_e32 vcc_lo, 0, v14
	v_add_nc_u32_e32 v14, 0xffffff89, v14
	v_cndmask_b32_e64 v16, v16, 0x77, vcc_lo
	s_delay_alu instid0(VALU_DEP_4) | instskip(NEXT) | instid1(VALU_DEP_3)
	v_cndmask_b32_e32 v15, v17, v15, vcc_lo
	v_cndmask_b32_e64 v14, v14, 0xffffff8a, vcc_lo
	s_delay_alu instid0(VALU_DEP_3) | instskip(NEXT) | instid1(VALU_DEP_3)
	v_lshl_add_u32 v17, 0x100000, v16, -1
	v_lshrrev_b32_e32 v18, v16, v15
	v_lshlrev_b32_e64 v20, v16, 0x80000
	s_delay_alu instid0(VALU_DEP_4) | instskip(NEXT) | instid1(VALU_DEP_4)
	v_add_nc_u32_e32 v16, v16, v14
	v_and_b32_e32 v15, v17, v15
	s_delay_alu instid0(VALU_DEP_4) | instskip(NEXT) | instid1(VALU_DEP_2)
	v_bfe_u32 v19, v18, 20, 1
	v_cmp_eq_u32_e64 s11, v15, v20
	s_delay_alu instid0(VALU_DEP_2) | instskip(NEXT) | instid1(VALU_DEP_1)
	v_add_nc_u32_e32 v17, -1, v19
	v_cndmask_b32_e64 v15, 0, v17, s11
	v_lshrrev_b32_e32 v17, 23, v18
	s_mov_b32 s11, exec_lo
	s_delay_alu instid0(VALU_DEP_2) | instskip(NEXT) | instid1(VALU_DEP_2)
	v_add_nc_u32_e32 v15, v15, v18
	v_xor_b32_e32 v17, 1, v17
	s_delay_alu instid0(VALU_DEP_2) | instskip(NEXT) | instid1(VALU_DEP_1)
	v_and_b32_e32 v14, 0xfffff, v15
	v_add_nc_u32_e32 v15, v14, v18
                                        ; implicit-def: $vgpr14
	s_delay_alu instid0(VALU_DEP_3)
	v_cmpx_ne_u32_e64 v16, v17
	s_xor_b32 s11, exec_lo, s11
; %bb.386:                              ;   in Loop: Header=BB6_142 Depth=2
	s_delay_alu instid0(VALU_DEP_2) | instskip(SKIP_2) | instid1(VALU_DEP_2)
	v_cmp_lt_u32_e32 vcc_lo, 0xffffff, v15
	v_sub_nc_u32_e32 v14, v16, v17
	v_cndmask_b32_e64 v16, 0, 1, vcc_lo
	v_add_co_ci_u32_e32 v14, vcc_lo, 0, v14, vcc_lo
	s_delay_alu instid0(VALU_DEP_2)
	v_lshrrev_b32_e32 v15, v16, v15
; %bb.387:                              ;   in Loop: Header=BB6_142 Depth=2
	s_and_not1_saveexec_b32 s11, s11
; %bb.388:                              ;   in Loop: Header=BB6_142 Depth=2
	s_delay_alu instid0(VALU_DEP_1)
	v_bfe_u32 v14, v15, 23, 1
; %bb.389:                              ;   in Loop: Header=BB6_142 Depth=2
	s_or_b32 exec_lo, exec_lo, s11
	v_lshrrev_b32_e32 v15, 20, v15
	s_delay_alu instid0(VALU_DEP_2) | instskip(SKIP_2) | instid1(VALU_DEP_2)
	v_cmp_gt_i32_e32 vcc_lo, 16, v14
	v_lshrrev_b32_e32 v10, 24, v10
	v_min_i32_e32 v16, 15, v14
	v_dual_cndmask_b32 v15, 7, v15 :: v_dual_and_b32 v10, 0x80, v10
	s_delay_alu instid0(VALU_DEP_1) | instskip(SKIP_1) | instid1(VALU_DEP_2)
	v_or_b32_e32 v14, v14, v15
	v_and_b32_e32 v17, 7, v15
	v_cmp_ne_u32_e32 vcc_lo, 0, v14
	v_lshlrev_b32_e32 v16, 3, v16
	s_delay_alu instid0(VALU_DEP_1) | instskip(NEXT) | instid1(VALU_DEP_1)
	v_or3_b32 v10, v16, v10, v17
	v_cndmask_b32_e32 v73, 0, v10, vcc_lo
.LBB6_390:                              ;   in Loop: Header=BB6_142 Depth=2
	s_or_b32 exec_lo, exec_lo, s27
.LBB6_391:                              ;   in Loop: Header=BB6_142 Depth=2
	s_delay_alu instid0(SALU_CYCLE_1) | instskip(SKIP_3) | instid1(VALU_DEP_1)
	s_or_b32 exec_lo, exec_lo, s26
	v_and_b32_e32 v14, 0xff, v11
	s_mov_b32 s11, 0
	s_mov_b32 s27, exec_lo
                                        ; implicit-def: $sgpr26
	v_cmpx_lt_i16_e32 0x7f, v14
	s_xor_b32 s27, exec_lo, s27
	s_cbranch_execnz .LBB6_2021
; %bb.392:                              ;   in Loop: Header=BB6_142 Depth=2
	s_or_saveexec_b32 s27, s27
	v_mov_b32_e32 v10, s26
	s_xor_b32 exec_lo, exec_lo, s27
	s_cbranch_execnz .LBB6_2024
.LBB6_393:                              ;   in Loop: Header=BB6_142 Depth=2
	s_or_b32 exec_lo, exec_lo, s27
	s_and_saveexec_b32 s26, s11
	s_cbranch_execz .LBB6_395
.LBB6_394:                              ;   in Loop: Header=BB6_142 Depth=2
	v_and_b32_e32 v10, 7, v11
	v_bfe_u32 v16, v11, 3, 4
	v_lshlrev_b32_e32 v17, 24, v11
	s_delay_alu instid0(VALU_DEP_3) | instskip(NEXT) | instid1(VALU_DEP_3)
	v_clz_i32_u32_e32 v14, v10
	v_cmp_eq_u32_e32 vcc_lo, 0, v16
	s_delay_alu instid0(VALU_DEP_2) | instskip(NEXT) | instid1(VALU_DEP_1)
	v_min_u32_e32 v14, 32, v14
	v_subrev_nc_u32_e32 v15, 28, v14
	v_sub_nc_u32_e32 v14, 29, v14
	s_delay_alu instid0(VALU_DEP_1) | instskip(NEXT) | instid1(VALU_DEP_1)
	v_dual_cndmask_b32 v14, v16, v14 :: v_dual_lshlrev_b32 v15, v15, v11
	v_and_b32_e32 v15, 7, v15
	s_delay_alu instid0(VALU_DEP_2) | instskip(NEXT) | instid1(VALU_DEP_2)
	v_lshl_add_u32 v14, v14, 23, 0x3b800000
	v_dual_cndmask_b32 v10, v10, v15 :: v_dual_and_b32 v15, 0x80000000, v17
	s_delay_alu instid0(VALU_DEP_1) | instskip(NEXT) | instid1(VALU_DEP_1)
	v_lshlrev_b32_e32 v10, 20, v10
	v_or3_b32 v10, v15, v14, v10
.LBB6_395:                              ;   in Loop: Header=BB6_142 Depth=2
	s_or_b32 exec_lo, exec_lo, s26
	s_delay_alu instid0(VALU_DEP_1) | instskip(SKIP_2) | instid1(VALU_DEP_2)
	v_mul_f32_e32 v10, s25, v10
	v_mov_b32_e32 v72, 0x80
	s_mov_b32 s26, exec_lo
	v_and_b32_e32 v14, 0x7f800000, v10
	s_delay_alu instid0(VALU_DEP_1)
	v_cmpx_ne_u32_e32 0x7f800000, v14
	s_cbranch_execz .LBB6_403
; %bb.396:                              ;   in Loop: Header=BB6_142 Depth=2
	v_mov_b32_e32 v72, 0
	s_mov_b32 s27, exec_lo
	v_cmpx_ne_u32_e32 0, v10
	s_cbranch_execz .LBB6_402
; %bb.397:                              ;   in Loop: Header=BB6_142 Depth=2
	v_bfe_u32 v14, v10, 23, 8
	s_delay_alu instid0(VALU_DEP_1) | instskip(SKIP_1) | instid1(VALU_DEP_2)
	v_sub_nc_u32_e32 v16, 0x78, v14
	v_cmp_gt_u32_e32 vcc_lo, 0x79, v14
	v_dual_cndmask_b32 v16, 0, v16 :: v_dual_and_b32 v15, 0x7fffff, v10
	s_delay_alu instid0(VALU_DEP_1) | instskip(SKIP_2) | instid1(VALU_DEP_4)
	v_or_b32_e32 v17, 0x800000, v15
	v_cmp_eq_u32_e32 vcc_lo, 0, v14
	v_add_nc_u32_e32 v14, 0xffffff89, v14
	v_cndmask_b32_e64 v16, v16, 0x77, vcc_lo
	s_delay_alu instid0(VALU_DEP_4) | instskip(NEXT) | instid1(VALU_DEP_3)
	v_cndmask_b32_e32 v15, v17, v15, vcc_lo
	v_cndmask_b32_e64 v14, v14, 0xffffff8a, vcc_lo
	s_delay_alu instid0(VALU_DEP_3) | instskip(NEXT) | instid1(VALU_DEP_3)
	v_lshl_add_u32 v17, 0x100000, v16, -1
	v_lshrrev_b32_e32 v18, v16, v15
	v_lshlrev_b32_e64 v20, v16, 0x80000
	s_delay_alu instid0(VALU_DEP_4) | instskip(NEXT) | instid1(VALU_DEP_4)
	v_add_nc_u32_e32 v16, v16, v14
	v_and_b32_e32 v15, v17, v15
	s_delay_alu instid0(VALU_DEP_4) | instskip(NEXT) | instid1(VALU_DEP_2)
	v_bfe_u32 v19, v18, 20, 1
	v_cmp_eq_u32_e64 s11, v15, v20
	s_delay_alu instid0(VALU_DEP_2) | instskip(NEXT) | instid1(VALU_DEP_1)
	v_add_nc_u32_e32 v17, -1, v19
	v_cndmask_b32_e64 v15, 0, v17, s11
	v_lshrrev_b32_e32 v17, 23, v18
	s_mov_b32 s11, exec_lo
	s_delay_alu instid0(VALU_DEP_2) | instskip(NEXT) | instid1(VALU_DEP_2)
	v_add_nc_u32_e32 v15, v15, v18
	v_xor_b32_e32 v17, 1, v17
	s_delay_alu instid0(VALU_DEP_2) | instskip(NEXT) | instid1(VALU_DEP_1)
	v_and_b32_e32 v14, 0xfffff, v15
	v_add_nc_u32_e32 v15, v14, v18
                                        ; implicit-def: $vgpr14
	s_delay_alu instid0(VALU_DEP_3)
	v_cmpx_ne_u32_e64 v16, v17
	s_xor_b32 s11, exec_lo, s11
; %bb.398:                              ;   in Loop: Header=BB6_142 Depth=2
	s_delay_alu instid0(VALU_DEP_2) | instskip(SKIP_2) | instid1(VALU_DEP_2)
	v_cmp_lt_u32_e32 vcc_lo, 0xffffff, v15
	v_sub_nc_u32_e32 v14, v16, v17
	v_cndmask_b32_e64 v16, 0, 1, vcc_lo
	v_add_co_ci_u32_e32 v14, vcc_lo, 0, v14, vcc_lo
	s_delay_alu instid0(VALU_DEP_2)
	v_lshrrev_b32_e32 v15, v16, v15
; %bb.399:                              ;   in Loop: Header=BB6_142 Depth=2
	s_and_not1_saveexec_b32 s11, s11
; %bb.400:                              ;   in Loop: Header=BB6_142 Depth=2
	s_delay_alu instid0(VALU_DEP_1)
	v_bfe_u32 v14, v15, 23, 1
; %bb.401:                              ;   in Loop: Header=BB6_142 Depth=2
	s_or_b32 exec_lo, exec_lo, s11
	v_lshrrev_b32_e32 v15, 20, v15
	s_delay_alu instid0(VALU_DEP_2) | instskip(SKIP_2) | instid1(VALU_DEP_2)
	v_cmp_gt_i32_e32 vcc_lo, 16, v14
	v_min_i32_e32 v16, 15, v14
	v_lshrrev_b32_e32 v10, 24, v10
	v_dual_cndmask_b32 v15, 7, v15 :: v_dual_lshlrev_b32 v16, 3, v16
	s_delay_alu instid0(VALU_DEP_2) | instskip(NEXT) | instid1(VALU_DEP_2)
	v_and_b32_e32 v10, 0x80, v10
	v_or_b32_e32 v14, v14, v15
	s_delay_alu instid0(VALU_DEP_3) | instskip(NEXT) | instid1(VALU_DEP_2)
	v_and_b32_e32 v16, 0xf8, v16
	v_cmp_ne_u32_e32 vcc_lo, 0, v14
	v_and_b32_e32 v17, 7, v15
	s_delay_alu instid0(VALU_DEP_1) | instskip(NEXT) | instid1(VALU_DEP_1)
	v_or3_b32 v10, v16, v10, v17
	v_cndmask_b32_e32 v72, 0, v10, vcc_lo
.LBB6_402:                              ;   in Loop: Header=BB6_142 Depth=2
	s_or_b32 exec_lo, exec_lo, s27
.LBB6_403:                              ;   in Loop: Header=BB6_142 Depth=2
	s_delay_alu instid0(SALU_CYCLE_1) | instskip(SKIP_3) | instid1(VALU_DEP_1)
	s_or_b32 exec_lo, exec_lo, s26
	v_lshrrev_b16 v10, 8, v11
	s_mov_b32 s11, 0
	s_mov_b32 s27, exec_lo
                                        ; implicit-def: $sgpr26
	v_cmpx_lt_i16_e32 0x7f, v10
	s_xor_b32 s27, exec_lo, s27
	s_cbranch_execnz .LBB6_2025
; %bb.404:                              ;   in Loop: Header=BB6_142 Depth=2
	s_or_saveexec_b32 s27, s27
	v_mov_b32_e32 v14, s26
	s_xor_b32 exec_lo, exec_lo, s27
	s_cbranch_execnz .LBB6_2028
.LBB6_405:                              ;   in Loop: Header=BB6_142 Depth=2
	s_or_b32 exec_lo, exec_lo, s27
	s_and_saveexec_b32 s26, s11
	s_cbranch_execz .LBB6_407
.LBB6_406:                              ;   in Loop: Header=BB6_142 Depth=2
	v_and_b32_e32 v14, 0xffff, v10
	v_lshlrev_b32_e32 v10, 24, v10
	s_delay_alu instid0(VALU_DEP_2) | instskip(NEXT) | instid1(VALU_DEP_2)
	v_and_b32_e32 v15, 7, v14
	v_and_b32_e32 v10, 0x80000000, v10
	s_delay_alu instid0(VALU_DEP_2) | instskip(NEXT) | instid1(VALU_DEP_1)
	v_clz_i32_u32_e32 v16, v15
	v_min_u32_e32 v16, 32, v16
	s_delay_alu instid0(VALU_DEP_1) | instskip(SKIP_1) | instid1(VALU_DEP_2)
	v_subrev_nc_u32_e32 v17, 28, v16
	v_sub_nc_u32_e32 v16, 29, v16
	v_lshlrev_b32_e32 v17, v17, v14
	v_bfe_u32 v14, v14, 3, 4
	s_delay_alu instid0(VALU_DEP_2) | instskip(NEXT) | instid1(VALU_DEP_2)
	v_and_b32_e32 v17, 7, v17
	v_cmp_eq_u32_e32 vcc_lo, 0, v14
	s_delay_alu instid0(VALU_DEP_2) | instskip(NEXT) | instid1(VALU_DEP_1)
	v_dual_cndmask_b32 v14, v14, v16 :: v_dual_cndmask_b32 v15, v15, v17
	v_lshl_add_u32 v14, v14, 23, 0x3b800000
	s_delay_alu instid0(VALU_DEP_2) | instskip(NEXT) | instid1(VALU_DEP_1)
	v_lshlrev_b32_e32 v15, 20, v15
	v_or3_b32 v14, v10, v14, v15
.LBB6_407:                              ;   in Loop: Header=BB6_142 Depth=2
	s_or_b32 exec_lo, exec_lo, s26
	s_delay_alu instid0(VALU_DEP_1) | instskip(SKIP_1) | instid1(VALU_DEP_1)
	v_dual_mul_f32 v10, s25, v14 :: v_dual_mov_b32 v77, 0x8000
	s_mov_b32 s26, exec_lo
	v_and_b32_e32 v14, 0x7f800000, v10
	s_delay_alu instid0(VALU_DEP_1)
	v_cmpx_ne_u32_e32 0x7f800000, v14
	s_cbranch_execz .LBB6_415
; %bb.408:                              ;   in Loop: Header=BB6_142 Depth=2
	v_mov_b32_e32 v77, 0
	s_mov_b32 s27, exec_lo
	v_cmpx_ne_u32_e32 0, v10
	s_cbranch_execz .LBB6_414
; %bb.409:                              ;   in Loop: Header=BB6_142 Depth=2
	v_bfe_u32 v14, v10, 23, 8
	s_delay_alu instid0(VALU_DEP_1) | instskip(SKIP_1) | instid1(VALU_DEP_2)
	v_sub_nc_u32_e32 v16, 0x78, v14
	v_cmp_gt_u32_e32 vcc_lo, 0x79, v14
	v_dual_cndmask_b32 v16, 0, v16 :: v_dual_and_b32 v15, 0x7fffff, v10
	s_delay_alu instid0(VALU_DEP_1) | instskip(SKIP_2) | instid1(VALU_DEP_4)
	v_or_b32_e32 v17, 0x800000, v15
	v_cmp_eq_u32_e32 vcc_lo, 0, v14
	v_add_nc_u32_e32 v14, 0xffffff89, v14
	v_cndmask_b32_e64 v16, v16, 0x77, vcc_lo
	s_delay_alu instid0(VALU_DEP_4) | instskip(NEXT) | instid1(VALU_DEP_3)
	v_cndmask_b32_e32 v15, v17, v15, vcc_lo
	v_cndmask_b32_e64 v14, v14, 0xffffff8a, vcc_lo
	s_delay_alu instid0(VALU_DEP_3) | instskip(NEXT) | instid1(VALU_DEP_3)
	v_lshl_add_u32 v17, 0x100000, v16, -1
	v_lshrrev_b32_e32 v18, v16, v15
	v_lshlrev_b32_e64 v20, v16, 0x80000
	s_delay_alu instid0(VALU_DEP_4) | instskip(NEXT) | instid1(VALU_DEP_4)
	v_add_nc_u32_e32 v16, v16, v14
	v_and_b32_e32 v15, v17, v15
	s_delay_alu instid0(VALU_DEP_4) | instskip(NEXT) | instid1(VALU_DEP_2)
	v_bfe_u32 v19, v18, 20, 1
	v_cmp_eq_u32_e64 s11, v15, v20
	s_delay_alu instid0(VALU_DEP_2) | instskip(NEXT) | instid1(VALU_DEP_1)
	v_add_nc_u32_e32 v17, -1, v19
	v_cndmask_b32_e64 v15, 0, v17, s11
	v_lshrrev_b32_e32 v17, 23, v18
	s_mov_b32 s11, exec_lo
	s_delay_alu instid0(VALU_DEP_2) | instskip(NEXT) | instid1(VALU_DEP_2)
	v_add_nc_u32_e32 v15, v15, v18
	v_xor_b32_e32 v17, 1, v17
	s_delay_alu instid0(VALU_DEP_2) | instskip(NEXT) | instid1(VALU_DEP_1)
	v_and_b32_e32 v14, 0xfffff, v15
	v_add_nc_u32_e32 v15, v14, v18
                                        ; implicit-def: $vgpr14
	s_delay_alu instid0(VALU_DEP_3)
	v_cmpx_ne_u32_e64 v16, v17
	s_xor_b32 s11, exec_lo, s11
; %bb.410:                              ;   in Loop: Header=BB6_142 Depth=2
	s_delay_alu instid0(VALU_DEP_2) | instskip(SKIP_2) | instid1(VALU_DEP_2)
	v_cmp_lt_u32_e32 vcc_lo, 0xffffff, v15
	v_sub_nc_u32_e32 v14, v16, v17
	v_cndmask_b32_e64 v16, 0, 1, vcc_lo
	v_add_co_ci_u32_e32 v14, vcc_lo, 0, v14, vcc_lo
	s_delay_alu instid0(VALU_DEP_2)
	v_lshrrev_b32_e32 v15, v16, v15
; %bb.411:                              ;   in Loop: Header=BB6_142 Depth=2
	s_and_not1_saveexec_b32 s11, s11
; %bb.412:                              ;   in Loop: Header=BB6_142 Depth=2
	s_delay_alu instid0(VALU_DEP_1)
	v_bfe_u32 v14, v15, 23, 1
; %bb.413:                              ;   in Loop: Header=BB6_142 Depth=2
	s_or_b32 exec_lo, exec_lo, s11
	v_lshrrev_b32_e32 v15, 20, v15
	s_delay_alu instid0(VALU_DEP_2) | instskip(SKIP_2) | instid1(VALU_DEP_2)
	v_cmp_gt_i32_e32 vcc_lo, 16, v14
	v_min_i32_e32 v16, 15, v14
	v_lshrrev_b32_e32 v10, 24, v10
	v_dual_cndmask_b32 v15, 7, v15 :: v_dual_lshlrev_b32 v16, 3, v16
	s_delay_alu instid0(VALU_DEP_2) | instskip(NEXT) | instid1(VALU_DEP_2)
	v_and_b32_e32 v10, 0x80, v10
	v_or_b32_e32 v14, v14, v15
	v_and_b32_e32 v17, 7, v15
	s_delay_alu instid0(VALU_DEP_2) | instskip(SKIP_1) | instid1(VALU_DEP_1)
	v_cmp_ne_u32_e32 vcc_lo, 0, v14
	v_and_b32_e32 v16, 0xf8, v16
	v_or3_b32 v10, v10, v16, v17
	s_delay_alu instid0(VALU_DEP_1) | instskip(NEXT) | instid1(VALU_DEP_1)
	v_lshlrev_b32_e32 v10, 8, v10
	v_cndmask_b32_e32 v77, 0, v10, vcc_lo
.LBB6_414:                              ;   in Loop: Header=BB6_142 Depth=2
	s_or_b32 exec_lo, exec_lo, s27
.LBB6_415:                              ;   in Loop: Header=BB6_142 Depth=2
	s_delay_alu instid0(SALU_CYCLE_1) | instskip(SKIP_3) | instid1(VALU_DEP_1)
	s_or_b32 exec_lo, exec_lo, s26
	v_lshrrev_b32_e32 v10, 16, v11
	s_mov_b32 s11, 0
	s_mov_b32 s27, exec_lo
                                        ; implicit-def: $sgpr26
	v_and_b32_e32 v15, 0xff, v10
	s_delay_alu instid0(VALU_DEP_1)
	v_cmpx_lt_i16_e32 0x7f, v15
	s_xor_b32 s27, exec_lo, s27
	s_cbranch_execnz .LBB6_2029
; %bb.416:                              ;   in Loop: Header=BB6_142 Depth=2
	s_or_saveexec_b32 s27, s27
	v_mov_b32_e32 v14, s26
	s_xor_b32 exec_lo, exec_lo, s27
	s_cbranch_execnz .LBB6_2032
.LBB6_417:                              ;   in Loop: Header=BB6_142 Depth=2
	s_or_b32 exec_lo, exec_lo, s27
	s_and_saveexec_b32 s26, s11
	s_cbranch_execz .LBB6_419
.LBB6_418:                              ;   in Loop: Header=BB6_142 Depth=2
	v_bfe_u32 v14, v11, 16, 3
	s_delay_alu instid0(VALU_DEP_1) | instskip(NEXT) | instid1(VALU_DEP_1)
	v_clz_i32_u32_e32 v15, v14
	v_min_u32_e32 v15, 32, v15
	s_delay_alu instid0(VALU_DEP_1) | instskip(SKIP_1) | instid1(VALU_DEP_2)
	v_subrev_nc_u32_e32 v16, 28, v15
	v_sub_nc_u32_e32 v15, 29, v15
	v_lshlrev_b32_e32 v10, v16, v10
	v_bfe_u32 v16, v11, 19, 4
	s_delay_alu instid0(VALU_DEP_1) | instskip(NEXT) | instid1(VALU_DEP_3)
	v_cmp_eq_u32_e32 vcc_lo, 0, v16
	v_dual_cndmask_b32 v15, v16, v15 :: v_dual_and_b32 v10, 7, v10
	s_delay_alu instid0(VALU_DEP_1) | instskip(NEXT) | instid1(VALU_DEP_2)
	v_dual_cndmask_b32 v10, v14, v10 :: v_dual_lshlrev_b32 v17, 8, v11
	v_lshl_add_u32 v15, v15, 23, 0x3b800000
	s_delay_alu instid0(VALU_DEP_2) | instskip(NEXT) | instid1(VALU_DEP_3)
	v_and_b32_e32 v14, 0x80000000, v17
	v_lshlrev_b32_e32 v10, 20, v10
	s_delay_alu instid0(VALU_DEP_1)
	v_or3_b32 v14, v14, v15, v10
.LBB6_419:                              ;   in Loop: Header=BB6_142 Depth=2
	s_or_b32 exec_lo, exec_lo, s26
	s_delay_alu instid0(VALU_DEP_1) | instskip(SKIP_2) | instid1(VALU_DEP_2)
	v_mul_f32_e32 v10, s25, v14
	v_mov_b32_e32 v62, 0x80
	s_mov_b32 s26, exec_lo
	v_and_b32_e32 v14, 0x7f800000, v10
	s_delay_alu instid0(VALU_DEP_1)
	v_cmpx_ne_u32_e32 0x7f800000, v14
	s_cbranch_execz .LBB6_427
; %bb.420:                              ;   in Loop: Header=BB6_142 Depth=2
	v_mov_b32_e32 v62, 0
	s_mov_b32 s27, exec_lo
	v_cmpx_ne_u32_e32 0, v10
	s_cbranch_execz .LBB6_426
; %bb.421:                              ;   in Loop: Header=BB6_142 Depth=2
	v_bfe_u32 v14, v10, 23, 8
	s_delay_alu instid0(VALU_DEP_1) | instskip(SKIP_1) | instid1(VALU_DEP_2)
	v_sub_nc_u32_e32 v16, 0x78, v14
	v_cmp_gt_u32_e32 vcc_lo, 0x79, v14
	v_dual_cndmask_b32 v16, 0, v16 :: v_dual_and_b32 v15, 0x7fffff, v10
	s_delay_alu instid0(VALU_DEP_1) | instskip(SKIP_2) | instid1(VALU_DEP_4)
	v_or_b32_e32 v17, 0x800000, v15
	v_cmp_eq_u32_e32 vcc_lo, 0, v14
	v_add_nc_u32_e32 v14, 0xffffff89, v14
	v_cndmask_b32_e64 v16, v16, 0x77, vcc_lo
	s_delay_alu instid0(VALU_DEP_4) | instskip(NEXT) | instid1(VALU_DEP_3)
	v_cndmask_b32_e32 v15, v17, v15, vcc_lo
	v_cndmask_b32_e64 v14, v14, 0xffffff8a, vcc_lo
	s_delay_alu instid0(VALU_DEP_3) | instskip(NEXT) | instid1(VALU_DEP_3)
	v_lshl_add_u32 v17, 0x100000, v16, -1
	v_lshrrev_b32_e32 v18, v16, v15
	v_lshlrev_b32_e64 v20, v16, 0x80000
	s_delay_alu instid0(VALU_DEP_4) | instskip(NEXT) | instid1(VALU_DEP_4)
	v_add_nc_u32_e32 v16, v16, v14
	v_and_b32_e32 v15, v17, v15
	s_delay_alu instid0(VALU_DEP_4) | instskip(NEXT) | instid1(VALU_DEP_2)
	v_bfe_u32 v19, v18, 20, 1
	v_cmp_eq_u32_e64 s11, v15, v20
	s_delay_alu instid0(VALU_DEP_2) | instskip(NEXT) | instid1(VALU_DEP_1)
	v_add_nc_u32_e32 v17, -1, v19
	v_cndmask_b32_e64 v15, 0, v17, s11
	v_lshrrev_b32_e32 v17, 23, v18
	s_mov_b32 s11, exec_lo
	s_delay_alu instid0(VALU_DEP_2) | instskip(NEXT) | instid1(VALU_DEP_2)
	v_add_nc_u32_e32 v15, v15, v18
	v_xor_b32_e32 v17, 1, v17
	s_delay_alu instid0(VALU_DEP_2) | instskip(NEXT) | instid1(VALU_DEP_1)
	v_and_b32_e32 v14, 0xfffff, v15
	v_add_nc_u32_e32 v15, v14, v18
                                        ; implicit-def: $vgpr14
	s_delay_alu instid0(VALU_DEP_3)
	v_cmpx_ne_u32_e64 v16, v17
	s_xor_b32 s11, exec_lo, s11
; %bb.422:                              ;   in Loop: Header=BB6_142 Depth=2
	s_delay_alu instid0(VALU_DEP_2) | instskip(SKIP_2) | instid1(VALU_DEP_2)
	v_cmp_lt_u32_e32 vcc_lo, 0xffffff, v15
	v_sub_nc_u32_e32 v14, v16, v17
	v_cndmask_b32_e64 v16, 0, 1, vcc_lo
	v_add_co_ci_u32_e32 v14, vcc_lo, 0, v14, vcc_lo
	s_delay_alu instid0(VALU_DEP_2)
	v_lshrrev_b32_e32 v15, v16, v15
; %bb.423:                              ;   in Loop: Header=BB6_142 Depth=2
	s_and_not1_saveexec_b32 s11, s11
; %bb.424:                              ;   in Loop: Header=BB6_142 Depth=2
	s_delay_alu instid0(VALU_DEP_1)
	v_bfe_u32 v14, v15, 23, 1
; %bb.425:                              ;   in Loop: Header=BB6_142 Depth=2
	s_or_b32 exec_lo, exec_lo, s11
	v_lshrrev_b32_e32 v15, 20, v15
	s_delay_alu instid0(VALU_DEP_2) | instskip(SKIP_2) | instid1(VALU_DEP_2)
	v_cmp_gt_i32_e32 vcc_lo, 16, v14
	v_min_i32_e32 v16, 15, v14
	v_lshrrev_b32_e32 v10, 24, v10
	v_dual_cndmask_b32 v15, 7, v15 :: v_dual_lshlrev_b32 v16, 3, v16
	s_delay_alu instid0(VALU_DEP_2) | instskip(NEXT) | instid1(VALU_DEP_2)
	v_and_b32_e32 v10, 0x80, v10
	v_or_b32_e32 v14, v14, v15
	s_delay_alu instid0(VALU_DEP_3) | instskip(NEXT) | instid1(VALU_DEP_2)
	v_and_b32_e32 v16, 0xf8, v16
	v_cmp_ne_u32_e32 vcc_lo, 0, v14
	v_and_b32_e32 v17, 7, v15
	s_delay_alu instid0(VALU_DEP_1) | instskip(NEXT) | instid1(VALU_DEP_1)
	v_or3_b32 v10, v16, v10, v17
	v_cndmask_b32_e32 v62, 0, v10, vcc_lo
.LBB6_426:                              ;   in Loop: Header=BB6_142 Depth=2
	s_or_b32 exec_lo, exec_lo, s27
.LBB6_427:                              ;   in Loop: Header=BB6_142 Depth=2
	s_delay_alu instid0(SALU_CYCLE_1) | instskip(SKIP_3) | instid1(VALU_DEP_1)
	s_or_b32 exec_lo, exec_lo, s26
	v_lshrrev_b32_e32 v10, 24, v11
	s_mov_b32 s11, 0
	s_mov_b32 s27, exec_lo
                                        ; implicit-def: $sgpr26
	v_cmpx_lt_i16_e32 0x7f, v10
	s_xor_b32 s27, exec_lo, s27
	s_cbranch_execnz .LBB6_2033
; %bb.428:                              ;   in Loop: Header=BB6_142 Depth=2
	s_or_saveexec_b32 s27, s27
	v_mov_b32_e32 v14, s26
	s_xor_b32 exec_lo, exec_lo, s27
	s_cbranch_execnz .LBB6_2036
.LBB6_429:                              ;   in Loop: Header=BB6_142 Depth=2
	s_or_b32 exec_lo, exec_lo, s27
	s_and_saveexec_b32 s26, s11
	s_cbranch_execz .LBB6_431
.LBB6_430:                              ;   in Loop: Header=BB6_142 Depth=2
	v_bfe_u32 v14, v11, 24, 3
	s_delay_alu instid0(VALU_DEP_1) | instskip(NEXT) | instid1(VALU_DEP_1)
	v_clz_i32_u32_e32 v15, v14
	v_min_u32_e32 v15, 32, v15
	s_delay_alu instid0(VALU_DEP_1) | instskip(SKIP_1) | instid1(VALU_DEP_2)
	v_subrev_nc_u32_e32 v16, 28, v15
	v_sub_nc_u32_e32 v15, 29, v15
	v_lshlrev_b32_e32 v10, v16, v10
	v_bfe_u32 v16, v11, 27, 4
	v_and_b32_e32 v11, 0x80000000, v11
	s_delay_alu instid0(VALU_DEP_2) | instskip(NEXT) | instid1(VALU_DEP_4)
	v_cmp_eq_u32_e32 vcc_lo, 0, v16
	v_dual_cndmask_b32 v15, v16, v15 :: v_dual_and_b32 v10, 7, v10
	s_delay_alu instid0(VALU_DEP_1) | instskip(NEXT) | instid1(VALU_DEP_2)
	v_cndmask_b32_e32 v10, v14, v10, vcc_lo
	v_lshl_add_u32 v14, v15, 23, 0x3b800000
	s_delay_alu instid0(VALU_DEP_2) | instskip(NEXT) | instid1(VALU_DEP_1)
	v_lshlrev_b32_e32 v10, 20, v10
	v_or3_b32 v14, v11, v14, v10
.LBB6_431:                              ;   in Loop: Header=BB6_142 Depth=2
	s_or_b32 exec_lo, exec_lo, s26
	s_delay_alu instid0(VALU_DEP_1) | instskip(SKIP_2) | instid1(VALU_DEP_2)
	v_mul_f32_e32 v10, s25, v14
	v_mov_b32_e32 v74, 0x8000
	s_mov_b32 s26, exec_lo
	v_and_b32_e32 v11, 0x7f800000, v10
	s_delay_alu instid0(VALU_DEP_1)
	v_cmpx_ne_u32_e32 0x7f800000, v11
	s_cbranch_execz .LBB6_439
; %bb.432:                              ;   in Loop: Header=BB6_142 Depth=2
	v_mov_b32_e32 v74, 0
	s_mov_b32 s27, exec_lo
	v_cmpx_ne_u32_e32 0, v10
	s_cbranch_execz .LBB6_438
; %bb.433:                              ;   in Loop: Header=BB6_142 Depth=2
	v_bfe_u32 v11, v10, 23, 8
	s_delay_alu instid0(VALU_DEP_1) | instskip(SKIP_1) | instid1(VALU_DEP_2)
	v_sub_nc_u32_e32 v15, 0x78, v11
	v_cmp_gt_u32_e32 vcc_lo, 0x79, v11
	v_dual_cndmask_b32 v15, 0, v15 :: v_dual_and_b32 v14, 0x7fffff, v10
	s_delay_alu instid0(VALU_DEP_1) | instskip(SKIP_2) | instid1(VALU_DEP_4)
	v_or_b32_e32 v16, 0x800000, v14
	v_cmp_eq_u32_e32 vcc_lo, 0, v11
	v_add_nc_u32_e32 v11, 0xffffff89, v11
	v_cndmask_b32_e64 v15, v15, 0x77, vcc_lo
	s_delay_alu instid0(VALU_DEP_4) | instskip(NEXT) | instid1(VALU_DEP_3)
	v_cndmask_b32_e32 v14, v16, v14, vcc_lo
	v_cndmask_b32_e64 v11, v11, 0xffffff8a, vcc_lo
	s_delay_alu instid0(VALU_DEP_3) | instskip(NEXT) | instid1(VALU_DEP_3)
	v_lshl_add_u32 v16, 0x100000, v15, -1
	v_lshrrev_b32_e32 v17, v15, v14
	v_lshlrev_b32_e64 v19, v15, 0x80000
	s_delay_alu instid0(VALU_DEP_4) | instskip(NEXT) | instid1(VALU_DEP_4)
	v_add_nc_u32_e32 v15, v15, v11
	v_and_b32_e32 v14, v16, v14
	s_delay_alu instid0(VALU_DEP_4) | instskip(NEXT) | instid1(VALU_DEP_2)
	v_bfe_u32 v18, v17, 20, 1
	v_cmp_eq_u32_e64 s11, v14, v19
	s_delay_alu instid0(VALU_DEP_2) | instskip(NEXT) | instid1(VALU_DEP_1)
	v_add_nc_u32_e32 v16, -1, v18
	v_cndmask_b32_e64 v14, 0, v16, s11
	v_lshrrev_b32_e32 v16, 23, v17
	s_mov_b32 s11, exec_lo
	s_delay_alu instid0(VALU_DEP_2) | instskip(NEXT) | instid1(VALU_DEP_2)
	v_add_nc_u32_e32 v14, v14, v17
	v_xor_b32_e32 v16, 1, v16
	s_delay_alu instid0(VALU_DEP_2) | instskip(NEXT) | instid1(VALU_DEP_1)
	v_and_b32_e32 v11, 0xfffff, v14
	v_add_nc_u32_e32 v14, v11, v17
                                        ; implicit-def: $vgpr11
	s_delay_alu instid0(VALU_DEP_3)
	v_cmpx_ne_u32_e64 v15, v16
	s_xor_b32 s11, exec_lo, s11
; %bb.434:                              ;   in Loop: Header=BB6_142 Depth=2
	s_delay_alu instid0(VALU_DEP_2) | instskip(SKIP_2) | instid1(VALU_DEP_2)
	v_cmp_lt_u32_e32 vcc_lo, 0xffffff, v14
	v_sub_nc_u32_e32 v11, v15, v16
	v_cndmask_b32_e64 v15, 0, 1, vcc_lo
	v_add_co_ci_u32_e32 v11, vcc_lo, 0, v11, vcc_lo
	s_delay_alu instid0(VALU_DEP_2)
	v_lshrrev_b32_e32 v14, v15, v14
; %bb.435:                              ;   in Loop: Header=BB6_142 Depth=2
	s_and_not1_saveexec_b32 s11, s11
; %bb.436:                              ;   in Loop: Header=BB6_142 Depth=2
	s_delay_alu instid0(VALU_DEP_1)
	v_bfe_u32 v11, v14, 23, 1
; %bb.437:                              ;   in Loop: Header=BB6_142 Depth=2
	s_or_b32 exec_lo, exec_lo, s11
	v_lshrrev_b32_e32 v14, 20, v14
	s_delay_alu instid0(VALU_DEP_2) | instskip(SKIP_2) | instid1(VALU_DEP_2)
	v_cmp_gt_i32_e32 vcc_lo, 16, v11
	v_min_i32_e32 v15, 15, v11
	v_lshrrev_b32_e32 v10, 24, v10
	v_dual_cndmask_b32 v14, 7, v14 :: v_dual_lshlrev_b32 v15, 3, v15
	s_delay_alu instid0(VALU_DEP_2) | instskip(NEXT) | instid1(VALU_DEP_2)
	v_and_b32_e32 v10, 0x80, v10
	v_or_b32_e32 v11, v11, v14
	v_and_b32_e32 v16, 7, v14
	s_delay_alu instid0(VALU_DEP_2) | instskip(SKIP_1) | instid1(VALU_DEP_1)
	v_cmp_ne_u32_e32 vcc_lo, 0, v11
	v_and_b32_e32 v15, 0xf8, v15
	v_or3_b32 v10, v10, v15, v16
	s_delay_alu instid0(VALU_DEP_1) | instskip(NEXT) | instid1(VALU_DEP_1)
	v_lshlrev_b32_e32 v10, 8, v10
	v_cndmask_b32_e32 v74, 0, v10, vcc_lo
.LBB6_438:                              ;   in Loop: Header=BB6_142 Depth=2
	s_or_b32 exec_lo, exec_lo, s27
.LBB6_439:                              ;   in Loop: Header=BB6_142 Depth=2
	s_delay_alu instid0(SALU_CYCLE_1) | instskip(SKIP_3) | instid1(VALU_DEP_1)
	s_or_b32 exec_lo, exec_lo, s26
	v_and_b32_e32 v11, 0xff, v12
	s_mov_b32 s11, 0
	s_mov_b32 s27, exec_lo
                                        ; implicit-def: $sgpr26
	v_cmpx_lt_i16_e32 0x7f, v11
	s_xor_b32 s27, exec_lo, s27
	s_cbranch_execnz .LBB6_2037
; %bb.440:                              ;   in Loop: Header=BB6_142 Depth=2
	s_or_saveexec_b32 s27, s27
	v_mov_b32_e32 v10, s26
	s_xor_b32 exec_lo, exec_lo, s27
	s_cbranch_execnz .LBB6_2040
.LBB6_441:                              ;   in Loop: Header=BB6_142 Depth=2
	s_or_b32 exec_lo, exec_lo, s27
	s_and_saveexec_b32 s26, s11
	s_cbranch_execz .LBB6_443
.LBB6_442:                              ;   in Loop: Header=BB6_142 Depth=2
	v_bfe_u32 v15, v12, 3, 4
	v_lshlrev_b32_e32 v16, 24, v12
	s_delay_alu instid0(VALU_DEP_2) | instskip(SKIP_1) | instid1(VALU_DEP_1)
	v_cmp_eq_u32_e32 vcc_lo, 0, v15
	v_and_b32_e32 v10, 7, v12
	v_clz_i32_u32_e32 v11, v10
	s_delay_alu instid0(VALU_DEP_1) | instskip(NEXT) | instid1(VALU_DEP_1)
	v_min_u32_e32 v11, 32, v11
	v_subrev_nc_u32_e32 v14, 28, v11
	v_sub_nc_u32_e32 v11, 29, v11
	s_delay_alu instid0(VALU_DEP_1) | instskip(NEXT) | instid1(VALU_DEP_1)
	v_dual_cndmask_b32 v11, v15, v11 :: v_dual_lshlrev_b32 v14, v14, v12
	v_and_b32_e32 v14, 7, v14
	s_delay_alu instid0(VALU_DEP_2) | instskip(NEXT) | instid1(VALU_DEP_2)
	v_lshl_add_u32 v11, v11, 23, 0x3b800000
	v_cndmask_b32_e32 v10, v10, v14, vcc_lo
	v_and_b32_e32 v14, 0x80000000, v16
	s_delay_alu instid0(VALU_DEP_2) | instskip(NEXT) | instid1(VALU_DEP_1)
	v_lshlrev_b32_e32 v10, 20, v10
	v_or3_b32 v10, v14, v11, v10
.LBB6_443:                              ;   in Loop: Header=BB6_142 Depth=2
	s_or_b32 exec_lo, exec_lo, s26
	s_delay_alu instid0(VALU_DEP_1) | instskip(SKIP_2) | instid1(VALU_DEP_2)
	v_mul_f32_e32 v10, s25, v10
	v_mov_b32_e32 v60, 0x80
	s_mov_b32 s26, exec_lo
	v_and_b32_e32 v11, 0x7f800000, v10
	s_delay_alu instid0(VALU_DEP_1)
	v_cmpx_ne_u32_e32 0x7f800000, v11
	s_cbranch_execz .LBB6_451
; %bb.444:                              ;   in Loop: Header=BB6_142 Depth=2
	v_mov_b32_e32 v60, 0
	s_mov_b32 s27, exec_lo
	v_cmpx_ne_u32_e32 0, v10
	s_cbranch_execz .LBB6_450
; %bb.445:                              ;   in Loop: Header=BB6_142 Depth=2
	v_bfe_u32 v11, v10, 23, 8
	s_delay_alu instid0(VALU_DEP_1) | instskip(SKIP_1) | instid1(VALU_DEP_2)
	v_sub_nc_u32_e32 v15, 0x78, v11
	v_cmp_gt_u32_e32 vcc_lo, 0x79, v11
	v_dual_cndmask_b32 v15, 0, v15 :: v_dual_and_b32 v14, 0x7fffff, v10
	s_delay_alu instid0(VALU_DEP_1) | instskip(SKIP_2) | instid1(VALU_DEP_4)
	v_or_b32_e32 v16, 0x800000, v14
	v_cmp_eq_u32_e32 vcc_lo, 0, v11
	v_add_nc_u32_e32 v11, 0xffffff89, v11
	v_cndmask_b32_e64 v15, v15, 0x77, vcc_lo
	s_delay_alu instid0(VALU_DEP_4) | instskip(NEXT) | instid1(VALU_DEP_3)
	v_cndmask_b32_e32 v14, v16, v14, vcc_lo
	v_cndmask_b32_e64 v11, v11, 0xffffff8a, vcc_lo
	s_delay_alu instid0(VALU_DEP_3) | instskip(NEXT) | instid1(VALU_DEP_3)
	v_lshl_add_u32 v16, 0x100000, v15, -1
	v_lshrrev_b32_e32 v17, v15, v14
	v_lshlrev_b32_e64 v19, v15, 0x80000
	s_delay_alu instid0(VALU_DEP_4) | instskip(NEXT) | instid1(VALU_DEP_4)
	v_add_nc_u32_e32 v15, v15, v11
	v_and_b32_e32 v14, v16, v14
	s_delay_alu instid0(VALU_DEP_4) | instskip(NEXT) | instid1(VALU_DEP_2)
	v_bfe_u32 v18, v17, 20, 1
	v_cmp_eq_u32_e64 s11, v14, v19
	s_delay_alu instid0(VALU_DEP_2) | instskip(NEXT) | instid1(VALU_DEP_1)
	v_add_nc_u32_e32 v16, -1, v18
	v_cndmask_b32_e64 v14, 0, v16, s11
	v_lshrrev_b32_e32 v16, 23, v17
	s_mov_b32 s11, exec_lo
	s_delay_alu instid0(VALU_DEP_2) | instskip(NEXT) | instid1(VALU_DEP_2)
	v_add_nc_u32_e32 v14, v14, v17
	v_xor_b32_e32 v16, 1, v16
	s_delay_alu instid0(VALU_DEP_2) | instskip(NEXT) | instid1(VALU_DEP_1)
	v_and_b32_e32 v11, 0xfffff, v14
	v_add_nc_u32_e32 v14, v11, v17
                                        ; implicit-def: $vgpr11
	s_delay_alu instid0(VALU_DEP_3)
	v_cmpx_ne_u32_e64 v15, v16
	s_xor_b32 s11, exec_lo, s11
; %bb.446:                              ;   in Loop: Header=BB6_142 Depth=2
	s_delay_alu instid0(VALU_DEP_2) | instskip(SKIP_2) | instid1(VALU_DEP_2)
	v_cmp_lt_u32_e32 vcc_lo, 0xffffff, v14
	v_sub_nc_u32_e32 v11, v15, v16
	v_cndmask_b32_e64 v15, 0, 1, vcc_lo
	v_add_co_ci_u32_e32 v11, vcc_lo, 0, v11, vcc_lo
	s_delay_alu instid0(VALU_DEP_2)
	v_lshrrev_b32_e32 v14, v15, v14
; %bb.447:                              ;   in Loop: Header=BB6_142 Depth=2
	s_and_not1_saveexec_b32 s11, s11
; %bb.448:                              ;   in Loop: Header=BB6_142 Depth=2
	s_delay_alu instid0(VALU_DEP_1)
	v_bfe_u32 v11, v14, 23, 1
; %bb.449:                              ;   in Loop: Header=BB6_142 Depth=2
	s_or_b32 exec_lo, exec_lo, s11
	v_lshrrev_b32_e32 v14, 20, v14
	s_delay_alu instid0(VALU_DEP_2) | instskip(SKIP_2) | instid1(VALU_DEP_4)
	v_cmp_gt_i32_e32 vcc_lo, 16, v11
	v_lshrrev_b32_e32 v10, 24, v10
	v_min_i32_e32 v15, 15, v11
	v_cndmask_b32_e32 v14, 7, v14, vcc_lo
	s_delay_alu instid0(VALU_DEP_3) | instskip(NEXT) | instid1(VALU_DEP_3)
	v_and_b32_e32 v10, 0x80, v10
	v_lshlrev_b32_e32 v15, 3, v15
	s_delay_alu instid0(VALU_DEP_3) | instskip(SKIP_1) | instid1(VALU_DEP_2)
	v_and_b32_e32 v16, 7, v14
	v_or_b32_e32 v11, v11, v14
	v_or3_b32 v10, v15, v10, v16
	s_delay_alu instid0(VALU_DEP_2) | instskip(NEXT) | instid1(VALU_DEP_2)
	v_cmp_ne_u32_e32 vcc_lo, 0, v11
	v_cndmask_b32_e32 v60, 0, v10, vcc_lo
.LBB6_450:                              ;   in Loop: Header=BB6_142 Depth=2
	s_or_b32 exec_lo, exec_lo, s27
.LBB6_451:                              ;   in Loop: Header=BB6_142 Depth=2
	s_delay_alu instid0(SALU_CYCLE_1) | instskip(SKIP_3) | instid1(VALU_DEP_1)
	s_or_b32 exec_lo, exec_lo, s26
	v_lshrrev_b16 v10, 8, v12
	s_mov_b32 s11, 0
	s_mov_b32 s27, exec_lo
                                        ; implicit-def: $sgpr26
	v_cmpx_lt_i16_e32 0x7f, v10
	s_xor_b32 s27, exec_lo, s27
	s_cbranch_execnz .LBB6_2041
; %bb.452:                              ;   in Loop: Header=BB6_142 Depth=2
	s_or_saveexec_b32 s27, s27
	v_mov_b32_e32 v11, s26
	s_xor_b32 exec_lo, exec_lo, s27
	s_cbranch_execnz .LBB6_2044
.LBB6_453:                              ;   in Loop: Header=BB6_142 Depth=2
	s_or_b32 exec_lo, exec_lo, s27
	s_and_saveexec_b32 s26, s11
	s_cbranch_execz .LBB6_455
.LBB6_454:                              ;   in Loop: Header=BB6_142 Depth=2
	v_and_b32_e32 v11, 0xffff, v10
	v_lshlrev_b32_e32 v10, 24, v10
	s_delay_alu instid0(VALU_DEP_2) | instskip(NEXT) | instid1(VALU_DEP_2)
	v_and_b32_e32 v14, 7, v11
	v_and_b32_e32 v10, 0x80000000, v10
	s_delay_alu instid0(VALU_DEP_2) | instskip(NEXT) | instid1(VALU_DEP_1)
	v_clz_i32_u32_e32 v15, v14
	v_min_u32_e32 v15, 32, v15
	s_delay_alu instid0(VALU_DEP_1) | instskip(SKIP_1) | instid1(VALU_DEP_2)
	v_subrev_nc_u32_e32 v16, 28, v15
	v_sub_nc_u32_e32 v15, 29, v15
	v_lshlrev_b32_e32 v16, v16, v11
	v_bfe_u32 v11, v11, 3, 4
	s_delay_alu instid0(VALU_DEP_1) | instskip(NEXT) | instid1(VALU_DEP_3)
	v_cmp_eq_u32_e32 vcc_lo, 0, v11
	v_dual_cndmask_b32 v11, v11, v15 :: v_dual_and_b32 v16, 7, v16
	s_delay_alu instid0(VALU_DEP_1) | instskip(NEXT) | instid1(VALU_DEP_2)
	v_cndmask_b32_e32 v14, v14, v16, vcc_lo
	v_lshl_add_u32 v11, v11, 23, 0x3b800000
	s_delay_alu instid0(VALU_DEP_2) | instskip(NEXT) | instid1(VALU_DEP_1)
	v_lshlrev_b32_e32 v14, 20, v14
	v_or3_b32 v11, v10, v11, v14
.LBB6_455:                              ;   in Loop: Header=BB6_142 Depth=2
	s_or_b32 exec_lo, exec_lo, s26
	s_delay_alu instid0(VALU_DEP_1) | instskip(SKIP_2) | instid1(VALU_DEP_2)
	v_mul_f32_e32 v10, s25, v11
	v_mov_b32_e32 v58, 0x80
	s_mov_b32 s26, exec_lo
	v_and_b32_e32 v11, 0x7f800000, v10
	s_delay_alu instid0(VALU_DEP_1)
	v_cmpx_ne_u32_e32 0x7f800000, v11
	s_cbranch_execz .LBB6_463
; %bb.456:                              ;   in Loop: Header=BB6_142 Depth=2
	v_mov_b32_e32 v58, 0
	s_mov_b32 s27, exec_lo
	v_cmpx_ne_u32_e32 0, v10
	s_cbranch_execz .LBB6_462
; %bb.457:                              ;   in Loop: Header=BB6_142 Depth=2
	v_bfe_u32 v11, v10, 23, 8
	s_delay_alu instid0(VALU_DEP_1) | instskip(SKIP_1) | instid1(VALU_DEP_2)
	v_sub_nc_u32_e32 v15, 0x78, v11
	v_cmp_gt_u32_e32 vcc_lo, 0x79, v11
	v_dual_cndmask_b32 v15, 0, v15 :: v_dual_and_b32 v14, 0x7fffff, v10
	s_delay_alu instid0(VALU_DEP_1) | instskip(SKIP_2) | instid1(VALU_DEP_4)
	v_or_b32_e32 v16, 0x800000, v14
	v_cmp_eq_u32_e32 vcc_lo, 0, v11
	v_add_nc_u32_e32 v11, 0xffffff89, v11
	v_cndmask_b32_e64 v15, v15, 0x77, vcc_lo
	s_delay_alu instid0(VALU_DEP_4) | instskip(NEXT) | instid1(VALU_DEP_3)
	v_cndmask_b32_e32 v14, v16, v14, vcc_lo
	v_cndmask_b32_e64 v11, v11, 0xffffff8a, vcc_lo
	s_delay_alu instid0(VALU_DEP_3) | instskip(NEXT) | instid1(VALU_DEP_3)
	v_lshl_add_u32 v16, 0x100000, v15, -1
	v_lshrrev_b32_e32 v17, v15, v14
	v_lshlrev_b32_e64 v19, v15, 0x80000
	s_delay_alu instid0(VALU_DEP_4) | instskip(NEXT) | instid1(VALU_DEP_4)
	v_add_nc_u32_e32 v15, v15, v11
	v_and_b32_e32 v14, v16, v14
	s_delay_alu instid0(VALU_DEP_4) | instskip(NEXT) | instid1(VALU_DEP_2)
	v_bfe_u32 v18, v17, 20, 1
	v_cmp_eq_u32_e64 s11, v14, v19
	s_delay_alu instid0(VALU_DEP_2) | instskip(NEXT) | instid1(VALU_DEP_1)
	v_add_nc_u32_e32 v16, -1, v18
	v_cndmask_b32_e64 v14, 0, v16, s11
	v_lshrrev_b32_e32 v16, 23, v17
	s_mov_b32 s11, exec_lo
	s_delay_alu instid0(VALU_DEP_2) | instskip(NEXT) | instid1(VALU_DEP_2)
	v_add_nc_u32_e32 v14, v14, v17
	v_xor_b32_e32 v16, 1, v16
	s_delay_alu instid0(VALU_DEP_2) | instskip(NEXT) | instid1(VALU_DEP_1)
	v_and_b32_e32 v11, 0xfffff, v14
	v_add_nc_u32_e32 v14, v11, v17
                                        ; implicit-def: $vgpr11
	s_delay_alu instid0(VALU_DEP_3)
	v_cmpx_ne_u32_e64 v15, v16
	s_xor_b32 s11, exec_lo, s11
; %bb.458:                              ;   in Loop: Header=BB6_142 Depth=2
	s_delay_alu instid0(VALU_DEP_2) | instskip(SKIP_2) | instid1(VALU_DEP_2)
	v_cmp_lt_u32_e32 vcc_lo, 0xffffff, v14
	v_sub_nc_u32_e32 v11, v15, v16
	v_cndmask_b32_e64 v15, 0, 1, vcc_lo
	v_add_co_ci_u32_e32 v11, vcc_lo, 0, v11, vcc_lo
	s_delay_alu instid0(VALU_DEP_2)
	v_lshrrev_b32_e32 v14, v15, v14
; %bb.459:                              ;   in Loop: Header=BB6_142 Depth=2
	s_and_not1_saveexec_b32 s11, s11
; %bb.460:                              ;   in Loop: Header=BB6_142 Depth=2
	s_delay_alu instid0(VALU_DEP_1)
	v_bfe_u32 v11, v14, 23, 1
; %bb.461:                              ;   in Loop: Header=BB6_142 Depth=2
	s_or_b32 exec_lo, exec_lo, s11
	v_lshrrev_b32_e32 v14, 20, v14
	s_delay_alu instid0(VALU_DEP_2) | instskip(SKIP_2) | instid1(VALU_DEP_4)
	v_cmp_gt_i32_e32 vcc_lo, 16, v11
	v_lshrrev_b32_e32 v10, 24, v10
	v_min_i32_e32 v15, 15, v11
	v_cndmask_b32_e32 v14, 7, v14, vcc_lo
	s_delay_alu instid0(VALU_DEP_3) | instskip(NEXT) | instid1(VALU_DEP_3)
	v_and_b32_e32 v10, 0x80, v10
	v_lshlrev_b32_e32 v15, 3, v15
	s_delay_alu instid0(VALU_DEP_3) | instskip(SKIP_1) | instid1(VALU_DEP_2)
	v_and_b32_e32 v16, 7, v14
	v_or_b32_e32 v11, v11, v14
	v_or3_b32 v10, v15, v10, v16
	s_delay_alu instid0(VALU_DEP_2) | instskip(NEXT) | instid1(VALU_DEP_2)
	v_cmp_ne_u32_e32 vcc_lo, 0, v11
	v_cndmask_b32_e32 v58, 0, v10, vcc_lo
.LBB6_462:                              ;   in Loop: Header=BB6_142 Depth=2
	s_or_b32 exec_lo, exec_lo, s27
.LBB6_463:                              ;   in Loop: Header=BB6_142 Depth=2
	s_delay_alu instid0(SALU_CYCLE_1) | instskip(SKIP_3) | instid1(VALU_DEP_1)
	s_or_b32 exec_lo, exec_lo, s26
	v_lshrrev_b32_e32 v10, 16, v12
	s_mov_b32 s11, 0
	s_mov_b32 s27, exec_lo
                                        ; implicit-def: $sgpr26
	v_and_b32_e32 v14, 0xff, v10
	s_delay_alu instid0(VALU_DEP_1)
	v_cmpx_lt_i16_e32 0x7f, v14
	s_xor_b32 s27, exec_lo, s27
	s_cbranch_execnz .LBB6_2045
; %bb.464:                              ;   in Loop: Header=BB6_142 Depth=2
	s_or_saveexec_b32 s27, s27
	v_mov_b32_e32 v11, s26
	s_xor_b32 exec_lo, exec_lo, s27
	s_cbranch_execnz .LBB6_2048
.LBB6_465:                              ;   in Loop: Header=BB6_142 Depth=2
	s_or_b32 exec_lo, exec_lo, s27
	s_and_saveexec_b32 s26, s11
	s_cbranch_execz .LBB6_467
.LBB6_466:                              ;   in Loop: Header=BB6_142 Depth=2
	v_bfe_u32 v11, v12, 16, 3
	v_lshlrev_b32_e32 v16, 8, v12
	s_delay_alu instid0(VALU_DEP_2) | instskip(NEXT) | instid1(VALU_DEP_1)
	v_clz_i32_u32_e32 v14, v11
	v_min_u32_e32 v14, 32, v14
	s_delay_alu instid0(VALU_DEP_1) | instskip(SKIP_1) | instid1(VALU_DEP_2)
	v_subrev_nc_u32_e32 v15, 28, v14
	v_sub_nc_u32_e32 v14, 29, v14
	v_lshlrev_b32_e32 v10, v15, v10
	v_bfe_u32 v15, v12, 19, 4
	s_delay_alu instid0(VALU_DEP_2) | instskip(NEXT) | instid1(VALU_DEP_2)
	v_and_b32_e32 v10, 7, v10
	v_cmp_eq_u32_e32 vcc_lo, 0, v15
	v_cndmask_b32_e32 v14, v15, v14, vcc_lo
	s_delay_alu instid0(VALU_DEP_3) | instskip(NEXT) | instid1(VALU_DEP_2)
	v_dual_cndmask_b32 v10, v11, v10 :: v_dual_and_b32 v11, 0x80000000, v16
	v_lshl_add_u32 v14, v14, 23, 0x3b800000
	s_delay_alu instid0(VALU_DEP_2) | instskip(NEXT) | instid1(VALU_DEP_1)
	v_lshlrev_b32_e32 v10, 20, v10
	v_or3_b32 v11, v11, v14, v10
.LBB6_467:                              ;   in Loop: Header=BB6_142 Depth=2
	s_or_b32 exec_lo, exec_lo, s26
	s_delay_alu instid0(VALU_DEP_1) | instskip(SKIP_1) | instid1(VALU_DEP_1)
	v_dual_mul_f32 v10, s25, v11 :: v_dual_mov_b32 v57, 0x80
	s_mov_b32 s26, exec_lo
	v_and_b32_e32 v11, 0x7f800000, v10
	s_delay_alu instid0(VALU_DEP_1)
	v_cmpx_ne_u32_e32 0x7f800000, v11
	s_cbranch_execz .LBB6_475
; %bb.468:                              ;   in Loop: Header=BB6_142 Depth=2
	v_mov_b32_e32 v57, 0
	s_mov_b32 s27, exec_lo
	v_cmpx_ne_u32_e32 0, v10
	s_cbranch_execz .LBB6_474
; %bb.469:                              ;   in Loop: Header=BB6_142 Depth=2
	v_bfe_u32 v11, v10, 23, 8
	s_delay_alu instid0(VALU_DEP_1) | instskip(SKIP_1) | instid1(VALU_DEP_2)
	v_sub_nc_u32_e32 v15, 0x78, v11
	v_cmp_gt_u32_e32 vcc_lo, 0x79, v11
	v_dual_cndmask_b32 v15, 0, v15 :: v_dual_and_b32 v14, 0x7fffff, v10
	s_delay_alu instid0(VALU_DEP_1) | instskip(SKIP_2) | instid1(VALU_DEP_4)
	v_or_b32_e32 v16, 0x800000, v14
	v_cmp_eq_u32_e32 vcc_lo, 0, v11
	v_add_nc_u32_e32 v11, 0xffffff89, v11
	v_cndmask_b32_e64 v15, v15, 0x77, vcc_lo
	s_delay_alu instid0(VALU_DEP_4) | instskip(NEXT) | instid1(VALU_DEP_3)
	v_cndmask_b32_e32 v14, v16, v14, vcc_lo
	v_cndmask_b32_e64 v11, v11, 0xffffff8a, vcc_lo
	s_delay_alu instid0(VALU_DEP_3) | instskip(NEXT) | instid1(VALU_DEP_3)
	v_lshl_add_u32 v16, 0x100000, v15, -1
	v_lshrrev_b32_e32 v17, v15, v14
	v_lshlrev_b32_e64 v19, v15, 0x80000
	s_delay_alu instid0(VALU_DEP_4) | instskip(NEXT) | instid1(VALU_DEP_4)
	v_add_nc_u32_e32 v15, v15, v11
	v_and_b32_e32 v14, v16, v14
	s_delay_alu instid0(VALU_DEP_4) | instskip(NEXT) | instid1(VALU_DEP_2)
	v_bfe_u32 v18, v17, 20, 1
	v_cmp_eq_u32_e64 s11, v14, v19
	s_delay_alu instid0(VALU_DEP_2) | instskip(NEXT) | instid1(VALU_DEP_1)
	v_add_nc_u32_e32 v16, -1, v18
	v_cndmask_b32_e64 v14, 0, v16, s11
	v_lshrrev_b32_e32 v16, 23, v17
	s_mov_b32 s11, exec_lo
	s_delay_alu instid0(VALU_DEP_2) | instskip(NEXT) | instid1(VALU_DEP_2)
	v_add_nc_u32_e32 v14, v14, v17
	v_xor_b32_e32 v16, 1, v16
	s_delay_alu instid0(VALU_DEP_2) | instskip(NEXT) | instid1(VALU_DEP_1)
	v_and_b32_e32 v11, 0xfffff, v14
	v_add_nc_u32_e32 v14, v11, v17
                                        ; implicit-def: $vgpr11
	s_delay_alu instid0(VALU_DEP_3)
	v_cmpx_ne_u32_e64 v15, v16
	s_xor_b32 s11, exec_lo, s11
; %bb.470:                              ;   in Loop: Header=BB6_142 Depth=2
	s_delay_alu instid0(VALU_DEP_2) | instskip(SKIP_2) | instid1(VALU_DEP_2)
	v_cmp_lt_u32_e32 vcc_lo, 0xffffff, v14
	v_sub_nc_u32_e32 v11, v15, v16
	v_cndmask_b32_e64 v15, 0, 1, vcc_lo
	v_add_co_ci_u32_e32 v11, vcc_lo, 0, v11, vcc_lo
	s_delay_alu instid0(VALU_DEP_2)
	v_lshrrev_b32_e32 v14, v15, v14
; %bb.471:                              ;   in Loop: Header=BB6_142 Depth=2
	s_and_not1_saveexec_b32 s11, s11
; %bb.472:                              ;   in Loop: Header=BB6_142 Depth=2
	s_delay_alu instid0(VALU_DEP_1)
	v_bfe_u32 v11, v14, 23, 1
; %bb.473:                              ;   in Loop: Header=BB6_142 Depth=2
	s_or_b32 exec_lo, exec_lo, s11
	v_lshrrev_b32_e32 v14, 20, v14
	s_delay_alu instid0(VALU_DEP_2) | instskip(SKIP_2) | instid1(VALU_DEP_4)
	v_cmp_gt_i32_e32 vcc_lo, 16, v11
	v_lshrrev_b32_e32 v10, 24, v10
	v_min_i32_e32 v15, 15, v11
	v_cndmask_b32_e32 v14, 7, v14, vcc_lo
	s_delay_alu instid0(VALU_DEP_3) | instskip(NEXT) | instid1(VALU_DEP_3)
	v_and_b32_e32 v10, 0x80, v10
	v_lshlrev_b32_e32 v15, 3, v15
	s_delay_alu instid0(VALU_DEP_3) | instskip(SKIP_1) | instid1(VALU_DEP_2)
	v_and_b32_e32 v16, 7, v14
	v_or_b32_e32 v11, v11, v14
	v_or3_b32 v10, v15, v10, v16
	s_delay_alu instid0(VALU_DEP_2) | instskip(NEXT) | instid1(VALU_DEP_2)
	v_cmp_ne_u32_e32 vcc_lo, 0, v11
	v_cndmask_b32_e32 v57, 0, v10, vcc_lo
.LBB6_474:                              ;   in Loop: Header=BB6_142 Depth=2
	s_or_b32 exec_lo, exec_lo, s27
.LBB6_475:                              ;   in Loop: Header=BB6_142 Depth=2
	s_delay_alu instid0(SALU_CYCLE_1) | instskip(SKIP_3) | instid1(VALU_DEP_1)
	s_or_b32 exec_lo, exec_lo, s26
	v_lshrrev_b32_e32 v10, 24, v12
	s_mov_b32 s11, 0
	s_mov_b32 s27, exec_lo
                                        ; implicit-def: $sgpr26
	v_cmpx_lt_i16_e32 0x7f, v10
	s_xor_b32 s27, exec_lo, s27
	s_cbranch_execnz .LBB6_2049
; %bb.476:                              ;   in Loop: Header=BB6_142 Depth=2
	s_or_saveexec_b32 s27, s27
	v_mov_b32_e32 v11, s26
	s_xor_b32 exec_lo, exec_lo, s27
	s_cbranch_execnz .LBB6_2052
.LBB6_477:                              ;   in Loop: Header=BB6_142 Depth=2
	s_or_b32 exec_lo, exec_lo, s27
	s_and_saveexec_b32 s26, s11
	s_cbranch_execz .LBB6_479
.LBB6_478:                              ;   in Loop: Header=BB6_142 Depth=2
	v_bfe_u32 v11, v12, 24, 3
	s_delay_alu instid0(VALU_DEP_1) | instskip(NEXT) | instid1(VALU_DEP_1)
	v_clz_i32_u32_e32 v14, v11
	v_min_u32_e32 v14, 32, v14
	s_delay_alu instid0(VALU_DEP_1) | instskip(SKIP_1) | instid1(VALU_DEP_2)
	v_subrev_nc_u32_e32 v15, 28, v14
	v_sub_nc_u32_e32 v14, 29, v14
	v_lshlrev_b32_e32 v10, v15, v10
	v_bfe_u32 v15, v12, 27, 4
	s_delay_alu instid0(VALU_DEP_2) | instskip(NEXT) | instid1(VALU_DEP_2)
	v_and_b32_e32 v10, 7, v10
	v_cmp_eq_u32_e32 vcc_lo, 0, v15
	v_cndmask_b32_e32 v14, v15, v14, vcc_lo
	s_delay_alu instid0(VALU_DEP_3) | instskip(NEXT) | instid1(VALU_DEP_2)
	v_dual_cndmask_b32 v10, v11, v10 :: v_dual_and_b32 v11, 0x80000000, v12
	v_lshl_add_u32 v12, v14, 23, 0x3b800000
	s_delay_alu instid0(VALU_DEP_2) | instskip(NEXT) | instid1(VALU_DEP_1)
	v_lshlrev_b32_e32 v10, 20, v10
	v_or3_b32 v11, v11, v12, v10
.LBB6_479:                              ;   in Loop: Header=BB6_142 Depth=2
	s_or_b32 exec_lo, exec_lo, s26
	s_delay_alu instid0(VALU_DEP_1) | instskip(SKIP_1) | instid1(VALU_DEP_1)
	v_dual_mul_f32 v10, s25, v11 :: v_dual_mov_b32 v47, 0x80
	s_mov_b32 s26, exec_lo
	v_and_b32_e32 v11, 0x7f800000, v10
	s_delay_alu instid0(VALU_DEP_1)
	v_cmpx_ne_u32_e32 0x7f800000, v11
	s_cbranch_execz .LBB6_487
; %bb.480:                              ;   in Loop: Header=BB6_142 Depth=2
	v_mov_b32_e32 v47, 0
	s_mov_b32 s27, exec_lo
	v_cmpx_ne_u32_e32 0, v10
	s_cbranch_execz .LBB6_486
; %bb.481:                              ;   in Loop: Header=BB6_142 Depth=2
	v_bfe_u32 v11, v10, 23, 8
	v_and_b32_e32 v12, 0x7fffff, v10
	s_delay_alu instid0(VALU_DEP_2) | instskip(SKIP_1) | instid1(VALU_DEP_3)
	v_sub_nc_u32_e32 v14, 0x78, v11
	v_cmp_gt_u32_e32 vcc_lo, 0x79, v11
	v_or_b32_e32 v15, 0x800000, v12
	s_delay_alu instid0(VALU_DEP_3) | instskip(SKIP_2) | instid1(VALU_DEP_3)
	v_cndmask_b32_e32 v14, 0, v14, vcc_lo
	v_cmp_eq_u32_e32 vcc_lo, 0, v11
	v_add_nc_u32_e32 v11, 0xffffff89, v11
	v_cndmask_b32_e64 v14, v14, 0x77, vcc_lo
	v_cndmask_b32_e32 v12, v15, v12, vcc_lo
	s_delay_alu instid0(VALU_DEP_3) | instskip(NEXT) | instid1(VALU_DEP_3)
	v_cndmask_b32_e64 v11, v11, 0xffffff8a, vcc_lo
	v_lshl_add_u32 v15, 0x100000, v14, -1
	s_delay_alu instid0(VALU_DEP_3) | instskip(SKIP_1) | instid1(VALU_DEP_4)
	v_lshrrev_b32_e32 v16, v14, v12
	v_lshlrev_b32_e64 v18, v14, 0x80000
	v_add_nc_u32_e32 v14, v14, v11
	s_delay_alu instid0(VALU_DEP_4) | instskip(NEXT) | instid1(VALU_DEP_4)
	v_and_b32_e32 v12, v15, v12
	v_bfe_u32 v17, v16, 20, 1
	s_delay_alu instid0(VALU_DEP_2) | instskip(NEXT) | instid1(VALU_DEP_2)
	v_cmp_eq_u32_e64 s11, v12, v18
	v_add_nc_u32_e32 v15, -1, v17
	s_delay_alu instid0(VALU_DEP_1) | instskip(SKIP_2) | instid1(VALU_DEP_2)
	v_cndmask_b32_e64 v12, 0, v15, s11
	v_lshrrev_b32_e32 v15, 23, v16
	s_mov_b32 s11, exec_lo
	v_add_nc_u32_e32 v12, v12, v16
	s_delay_alu instid0(VALU_DEP_2) | instskip(NEXT) | instid1(VALU_DEP_2)
	v_xor_b32_e32 v15, 1, v15
	v_and_b32_e32 v11, 0xfffff, v12
	s_delay_alu instid0(VALU_DEP_1) | instskip(NEXT) | instid1(VALU_DEP_3)
	v_add_nc_u32_e32 v12, v11, v16
                                        ; implicit-def: $vgpr11
	v_cmpx_ne_u32_e64 v14, v15
	s_xor_b32 s11, exec_lo, s11
; %bb.482:                              ;   in Loop: Header=BB6_142 Depth=2
	s_delay_alu instid0(VALU_DEP_2) | instskip(SKIP_2) | instid1(VALU_DEP_2)
	v_cmp_lt_u32_e32 vcc_lo, 0xffffff, v12
	v_sub_nc_u32_e32 v11, v14, v15
	v_cndmask_b32_e64 v14, 0, 1, vcc_lo
	v_add_co_ci_u32_e32 v11, vcc_lo, 0, v11, vcc_lo
	s_delay_alu instid0(VALU_DEP_2)
	v_lshrrev_b32_e32 v12, v14, v12
; %bb.483:                              ;   in Loop: Header=BB6_142 Depth=2
	s_and_not1_saveexec_b32 s11, s11
; %bb.484:                              ;   in Loop: Header=BB6_142 Depth=2
	s_delay_alu instid0(VALU_DEP_1)
	v_bfe_u32 v11, v12, 23, 1
; %bb.485:                              ;   in Loop: Header=BB6_142 Depth=2
	s_or_b32 exec_lo, exec_lo, s11
	v_lshrrev_b32_e32 v12, 20, v12
	s_delay_alu instid0(VALU_DEP_2) | instskip(SKIP_2) | instid1(VALU_DEP_4)
	v_cmp_gt_i32_e32 vcc_lo, 16, v11
	v_lshrrev_b32_e32 v10, 24, v10
	v_min_i32_e32 v14, 15, v11
	v_cndmask_b32_e32 v12, 7, v12, vcc_lo
	s_delay_alu instid0(VALU_DEP_3) | instskip(NEXT) | instid1(VALU_DEP_3)
	v_and_b32_e32 v10, 0x80, v10
	v_lshlrev_b32_e32 v14, 3, v14
	s_delay_alu instid0(VALU_DEP_3) | instskip(SKIP_1) | instid1(VALU_DEP_2)
	v_and_b32_e32 v15, 7, v12
	v_or_b32_e32 v11, v11, v12
	v_or3_b32 v10, v14, v10, v15
	s_delay_alu instid0(VALU_DEP_2) | instskip(NEXT) | instid1(VALU_DEP_2)
	v_cmp_ne_u32_e32 vcc_lo, 0, v11
	v_cndmask_b32_e32 v47, 0, v10, vcc_lo
.LBB6_486:                              ;   in Loop: Header=BB6_142 Depth=2
	s_or_b32 exec_lo, exec_lo, s27
.LBB6_487:                              ;   in Loop: Header=BB6_142 Depth=2
	s_delay_alu instid0(SALU_CYCLE_1) | instskip(SKIP_3) | instid1(VALU_DEP_1)
	s_or_b32 exec_lo, exec_lo, s26
	v_and_b32_e32 v11, 0xff, v13
	s_mov_b32 s11, 0
	s_mov_b32 s27, exec_lo
                                        ; implicit-def: $sgpr26
	v_cmpx_lt_i16_e32 0x7f, v11
	s_xor_b32 s27, exec_lo, s27
	s_cbranch_execnz .LBB6_2053
; %bb.488:                              ;   in Loop: Header=BB6_142 Depth=2
	s_or_saveexec_b32 s27, s27
	v_mov_b32_e32 v10, s26
	s_xor_b32 exec_lo, exec_lo, s27
	s_cbranch_execnz .LBB6_2056
.LBB6_489:                              ;   in Loop: Header=BB6_142 Depth=2
	s_or_b32 exec_lo, exec_lo, s27
	s_and_saveexec_b32 s26, s11
	s_cbranch_execz .LBB6_491
.LBB6_490:                              ;   in Loop: Header=BB6_142 Depth=2
	v_bfe_u32 v14, v13, 3, 4
	s_delay_alu instid0(VALU_DEP_1) | instskip(SKIP_1) | instid1(VALU_DEP_1)
	v_cmp_eq_u32_e32 vcc_lo, 0, v14
	v_and_b32_e32 v10, 7, v13
	v_clz_i32_u32_e32 v11, v10
	s_delay_alu instid0(VALU_DEP_1) | instskip(NEXT) | instid1(VALU_DEP_1)
	v_min_u32_e32 v11, 32, v11
	v_subrev_nc_u32_e32 v12, 28, v11
	v_sub_nc_u32_e32 v11, 29, v11
	s_delay_alu instid0(VALU_DEP_1) | instskip(NEXT) | instid1(VALU_DEP_1)
	v_dual_cndmask_b32 v11, v14, v11 :: v_dual_lshlrev_b32 v12, v12, v13
	v_and_b32_e32 v12, 7, v12
	v_lshlrev_b32_e32 v15, 24, v13
	s_delay_alu instid0(VALU_DEP_3) | instskip(NEXT) | instid1(VALU_DEP_3)
	v_lshl_add_u32 v11, v11, 23, 0x3b800000
	v_cndmask_b32_e32 v10, v10, v12, vcc_lo
	s_delay_alu instid0(VALU_DEP_3) | instskip(NEXT) | instid1(VALU_DEP_2)
	v_and_b32_e32 v12, 0x80000000, v15
	v_lshlrev_b32_e32 v10, 20, v10
	s_delay_alu instid0(VALU_DEP_1)
	v_or3_b32 v10, v12, v11, v10
.LBB6_491:                              ;   in Loop: Header=BB6_142 Depth=2
	s_or_b32 exec_lo, exec_lo, s26
	s_delay_alu instid0(VALU_DEP_1) | instskip(SKIP_2) | instid1(VALU_DEP_2)
	v_mul_f32_e32 v10, s25, v10
	v_mov_b32_e32 v46, 0x80
	s_mov_b32 s26, exec_lo
	v_and_b32_e32 v11, 0x7f800000, v10
	s_delay_alu instid0(VALU_DEP_1)
	v_cmpx_ne_u32_e32 0x7f800000, v11
	s_cbranch_execz .LBB6_499
; %bb.492:                              ;   in Loop: Header=BB6_142 Depth=2
	v_mov_b32_e32 v46, 0
	s_mov_b32 s27, exec_lo
	v_cmpx_ne_u32_e32 0, v10
	s_cbranch_execz .LBB6_498
; %bb.493:                              ;   in Loop: Header=BB6_142 Depth=2
	v_bfe_u32 v11, v10, 23, 8
	v_and_b32_e32 v12, 0x7fffff, v10
	s_delay_alu instid0(VALU_DEP_2) | instskip(SKIP_1) | instid1(VALU_DEP_3)
	v_sub_nc_u32_e32 v14, 0x78, v11
	v_cmp_gt_u32_e32 vcc_lo, 0x79, v11
	v_or_b32_e32 v15, 0x800000, v12
	s_delay_alu instid0(VALU_DEP_3) | instskip(SKIP_2) | instid1(VALU_DEP_3)
	v_cndmask_b32_e32 v14, 0, v14, vcc_lo
	v_cmp_eq_u32_e32 vcc_lo, 0, v11
	v_add_nc_u32_e32 v11, 0xffffff89, v11
	v_cndmask_b32_e64 v14, v14, 0x77, vcc_lo
	v_cndmask_b32_e32 v12, v15, v12, vcc_lo
	s_delay_alu instid0(VALU_DEP_3) | instskip(NEXT) | instid1(VALU_DEP_3)
	v_cndmask_b32_e64 v11, v11, 0xffffff8a, vcc_lo
	v_lshl_add_u32 v15, 0x100000, v14, -1
	s_delay_alu instid0(VALU_DEP_3) | instskip(SKIP_1) | instid1(VALU_DEP_4)
	v_lshrrev_b32_e32 v16, v14, v12
	v_lshlrev_b32_e64 v18, v14, 0x80000
	v_add_nc_u32_e32 v14, v14, v11
	s_delay_alu instid0(VALU_DEP_4) | instskip(NEXT) | instid1(VALU_DEP_4)
	v_and_b32_e32 v12, v15, v12
	v_bfe_u32 v17, v16, 20, 1
	s_delay_alu instid0(VALU_DEP_2) | instskip(NEXT) | instid1(VALU_DEP_2)
	v_cmp_eq_u32_e64 s11, v12, v18
	v_add_nc_u32_e32 v15, -1, v17
	s_delay_alu instid0(VALU_DEP_1) | instskip(SKIP_2) | instid1(VALU_DEP_2)
	v_cndmask_b32_e64 v12, 0, v15, s11
	v_lshrrev_b32_e32 v15, 23, v16
	s_mov_b32 s11, exec_lo
	v_add_nc_u32_e32 v12, v12, v16
	s_delay_alu instid0(VALU_DEP_2) | instskip(NEXT) | instid1(VALU_DEP_2)
	v_xor_b32_e32 v15, 1, v15
	v_and_b32_e32 v11, 0xfffff, v12
	s_delay_alu instid0(VALU_DEP_1) | instskip(NEXT) | instid1(VALU_DEP_3)
	v_add_nc_u32_e32 v12, v11, v16
                                        ; implicit-def: $vgpr11
	v_cmpx_ne_u32_e64 v14, v15
	s_xor_b32 s11, exec_lo, s11
; %bb.494:                              ;   in Loop: Header=BB6_142 Depth=2
	s_delay_alu instid0(VALU_DEP_2) | instskip(SKIP_2) | instid1(VALU_DEP_2)
	v_cmp_lt_u32_e32 vcc_lo, 0xffffff, v12
	v_sub_nc_u32_e32 v11, v14, v15
	v_cndmask_b32_e64 v14, 0, 1, vcc_lo
	v_add_co_ci_u32_e32 v11, vcc_lo, 0, v11, vcc_lo
	s_delay_alu instid0(VALU_DEP_2)
	v_lshrrev_b32_e32 v12, v14, v12
; %bb.495:                              ;   in Loop: Header=BB6_142 Depth=2
	s_and_not1_saveexec_b32 s11, s11
; %bb.496:                              ;   in Loop: Header=BB6_142 Depth=2
	s_delay_alu instid0(VALU_DEP_1)
	v_bfe_u32 v11, v12, 23, 1
; %bb.497:                              ;   in Loop: Header=BB6_142 Depth=2
	s_or_b32 exec_lo, exec_lo, s11
	v_lshrrev_b32_e32 v12, 20, v12
	s_delay_alu instid0(VALU_DEP_2) | instskip(SKIP_2) | instid1(VALU_DEP_4)
	v_cmp_gt_i32_e32 vcc_lo, 16, v11
	v_min_i32_e32 v14, 15, v11
	v_lshrrev_b32_e32 v10, 24, v10
	v_cndmask_b32_e32 v12, 7, v12, vcc_lo
	s_delay_alu instid0(VALU_DEP_3) | instskip(NEXT) | instid1(VALU_DEP_3)
	v_lshlrev_b32_e32 v14, 3, v14
	v_and_b32_e32 v10, 0x80, v10
	s_delay_alu instid0(VALU_DEP_3) | instskip(NEXT) | instid1(VALU_DEP_3)
	v_or_b32_e32 v11, v11, v12
	v_and_b32_e32 v14, 0xf8, v14
	s_delay_alu instid0(VALU_DEP_2) | instskip(SKIP_1) | instid1(VALU_DEP_1)
	v_cmp_ne_u32_e32 vcc_lo, 0, v11
	v_and_b32_e32 v15, 7, v12
	v_or3_b32 v10, v14, v10, v15
	s_delay_alu instid0(VALU_DEP_1)
	v_cndmask_b32_e32 v46, 0, v10, vcc_lo
.LBB6_498:                              ;   in Loop: Header=BB6_142 Depth=2
	s_or_b32 exec_lo, exec_lo, s27
.LBB6_499:                              ;   in Loop: Header=BB6_142 Depth=2
	s_delay_alu instid0(SALU_CYCLE_1) | instskip(SKIP_3) | instid1(VALU_DEP_1)
	s_or_b32 exec_lo, exec_lo, s26
	v_lshrrev_b16 v10, 8, v13
	s_mov_b32 s11, 0
	s_mov_b32 s27, exec_lo
                                        ; implicit-def: $sgpr26
	v_cmpx_lt_i16_e32 0x7f, v10
	s_xor_b32 s27, exec_lo, s27
	s_cbranch_execnz .LBB6_2057
; %bb.500:                              ;   in Loop: Header=BB6_142 Depth=2
	s_or_saveexec_b32 s27, s27
	v_mov_b32_e32 v11, s26
	s_xor_b32 exec_lo, exec_lo, s27
	s_cbranch_execnz .LBB6_2060
.LBB6_501:                              ;   in Loop: Header=BB6_142 Depth=2
	s_or_b32 exec_lo, exec_lo, s27
	s_and_saveexec_b32 s26, s11
	s_cbranch_execz .LBB6_503
.LBB6_502:                              ;   in Loop: Header=BB6_142 Depth=2
	v_and_b32_e32 v11, 0xffff, v10
	v_lshlrev_b32_e32 v10, 24, v10
	s_delay_alu instid0(VALU_DEP_2) | instskip(NEXT) | instid1(VALU_DEP_2)
	v_and_b32_e32 v12, 7, v11
	v_and_b32_e32 v10, 0x80000000, v10
	s_delay_alu instid0(VALU_DEP_2) | instskip(NEXT) | instid1(VALU_DEP_1)
	v_clz_i32_u32_e32 v14, v12
	v_min_u32_e32 v14, 32, v14
	s_delay_alu instid0(VALU_DEP_1) | instskip(SKIP_1) | instid1(VALU_DEP_2)
	v_subrev_nc_u32_e32 v15, 28, v14
	v_sub_nc_u32_e32 v14, 29, v14
	v_lshlrev_b32_e32 v15, v15, v11
	v_bfe_u32 v11, v11, 3, 4
	s_delay_alu instid0(VALU_DEP_2) | instskip(NEXT) | instid1(VALU_DEP_2)
	v_and_b32_e32 v15, 7, v15
	v_cmp_eq_u32_e32 vcc_lo, 0, v11
	s_delay_alu instid0(VALU_DEP_2) | instskip(NEXT) | instid1(VALU_DEP_1)
	v_dual_cndmask_b32 v11, v11, v14 :: v_dual_cndmask_b32 v12, v12, v15
	v_lshl_add_u32 v11, v11, 23, 0x3b800000
	s_delay_alu instid0(VALU_DEP_2) | instskip(NEXT) | instid1(VALU_DEP_1)
	v_lshlrev_b32_e32 v12, 20, v12
	v_or3_b32 v11, v10, v11, v12
.LBB6_503:                              ;   in Loop: Header=BB6_142 Depth=2
	s_or_b32 exec_lo, exec_lo, s26
	s_delay_alu instid0(VALU_DEP_1) | instskip(SKIP_1) | instid1(VALU_DEP_1)
	v_dual_mul_f32 v10, s25, v11 :: v_dual_mov_b32 v59, 0x8000
	s_mov_b32 s26, exec_lo
	v_and_b32_e32 v11, 0x7f800000, v10
	s_delay_alu instid0(VALU_DEP_1)
	v_cmpx_ne_u32_e32 0x7f800000, v11
	s_cbranch_execz .LBB6_511
; %bb.504:                              ;   in Loop: Header=BB6_142 Depth=2
	v_mov_b32_e32 v59, 0
	s_mov_b32 s27, exec_lo
	v_cmpx_ne_u32_e32 0, v10
	s_cbranch_execz .LBB6_510
; %bb.505:                              ;   in Loop: Header=BB6_142 Depth=2
	v_bfe_u32 v11, v10, 23, 8
	v_and_b32_e32 v12, 0x7fffff, v10
	s_delay_alu instid0(VALU_DEP_2) | instskip(SKIP_1) | instid1(VALU_DEP_3)
	v_sub_nc_u32_e32 v14, 0x78, v11
	v_cmp_gt_u32_e32 vcc_lo, 0x79, v11
	v_or_b32_e32 v15, 0x800000, v12
	s_delay_alu instid0(VALU_DEP_3) | instskip(SKIP_2) | instid1(VALU_DEP_3)
	v_cndmask_b32_e32 v14, 0, v14, vcc_lo
	v_cmp_eq_u32_e32 vcc_lo, 0, v11
	v_add_nc_u32_e32 v11, 0xffffff89, v11
	v_cndmask_b32_e64 v14, v14, 0x77, vcc_lo
	v_cndmask_b32_e32 v12, v15, v12, vcc_lo
	s_delay_alu instid0(VALU_DEP_3) | instskip(NEXT) | instid1(VALU_DEP_3)
	v_cndmask_b32_e64 v11, v11, 0xffffff8a, vcc_lo
	v_lshl_add_u32 v15, 0x100000, v14, -1
	s_delay_alu instid0(VALU_DEP_3) | instskip(SKIP_1) | instid1(VALU_DEP_4)
	v_lshrrev_b32_e32 v16, v14, v12
	v_lshlrev_b32_e64 v18, v14, 0x80000
	v_add_nc_u32_e32 v14, v14, v11
	s_delay_alu instid0(VALU_DEP_4) | instskip(NEXT) | instid1(VALU_DEP_4)
	v_and_b32_e32 v12, v15, v12
	v_bfe_u32 v17, v16, 20, 1
	s_delay_alu instid0(VALU_DEP_2) | instskip(NEXT) | instid1(VALU_DEP_2)
	v_cmp_eq_u32_e64 s11, v12, v18
	v_add_nc_u32_e32 v15, -1, v17
	s_delay_alu instid0(VALU_DEP_1) | instskip(SKIP_2) | instid1(VALU_DEP_2)
	v_cndmask_b32_e64 v12, 0, v15, s11
	v_lshrrev_b32_e32 v15, 23, v16
	s_mov_b32 s11, exec_lo
	v_add_nc_u32_e32 v12, v12, v16
	s_delay_alu instid0(VALU_DEP_2) | instskip(NEXT) | instid1(VALU_DEP_2)
	v_xor_b32_e32 v15, 1, v15
	v_and_b32_e32 v11, 0xfffff, v12
	s_delay_alu instid0(VALU_DEP_1) | instskip(NEXT) | instid1(VALU_DEP_3)
	v_add_nc_u32_e32 v12, v11, v16
                                        ; implicit-def: $vgpr11
	v_cmpx_ne_u32_e64 v14, v15
	s_xor_b32 s11, exec_lo, s11
; %bb.506:                              ;   in Loop: Header=BB6_142 Depth=2
	s_delay_alu instid0(VALU_DEP_2) | instskip(SKIP_2) | instid1(VALU_DEP_2)
	v_cmp_lt_u32_e32 vcc_lo, 0xffffff, v12
	v_sub_nc_u32_e32 v11, v14, v15
	v_cndmask_b32_e64 v14, 0, 1, vcc_lo
	v_add_co_ci_u32_e32 v11, vcc_lo, 0, v11, vcc_lo
	s_delay_alu instid0(VALU_DEP_2)
	v_lshrrev_b32_e32 v12, v14, v12
; %bb.507:                              ;   in Loop: Header=BB6_142 Depth=2
	s_and_not1_saveexec_b32 s11, s11
; %bb.508:                              ;   in Loop: Header=BB6_142 Depth=2
	s_delay_alu instid0(VALU_DEP_1)
	v_bfe_u32 v11, v12, 23, 1
; %bb.509:                              ;   in Loop: Header=BB6_142 Depth=2
	s_or_b32 exec_lo, exec_lo, s11
	v_lshrrev_b32_e32 v12, 20, v12
	s_delay_alu instid0(VALU_DEP_2) | instskip(SKIP_2) | instid1(VALU_DEP_3)
	v_min_i32_e32 v14, 15, v11
	v_cmp_gt_i32_e32 vcc_lo, 16, v11
	v_lshrrev_b32_e32 v10, 24, v10
	v_lshlrev_b32_e32 v14, 3, v14
	v_cndmask_b32_e32 v12, 7, v12, vcc_lo
	s_delay_alu instid0(VALU_DEP_3) | instskip(NEXT) | instid1(VALU_DEP_3)
	v_and_b32_e32 v10, 0x80, v10
	v_and_b32_e32 v14, 0xf8, v14
	s_delay_alu instid0(VALU_DEP_3) | instskip(SKIP_1) | instid1(VALU_DEP_2)
	v_and_b32_e32 v15, 7, v12
	v_or_b32_e32 v11, v11, v12
	v_or3_b32 v10, v10, v14, v15
	s_delay_alu instid0(VALU_DEP_2) | instskip(NEXT) | instid1(VALU_DEP_2)
	v_cmp_ne_u32_e32 vcc_lo, 0, v11
	v_lshlrev_b32_e32 v10, 8, v10
	s_delay_alu instid0(VALU_DEP_1)
	v_cndmask_b32_e32 v59, 0, v10, vcc_lo
.LBB6_510:                              ;   in Loop: Header=BB6_142 Depth=2
	s_or_b32 exec_lo, exec_lo, s27
.LBB6_511:                              ;   in Loop: Header=BB6_142 Depth=2
	s_delay_alu instid0(SALU_CYCLE_1) | instskip(SKIP_3) | instid1(VALU_DEP_1)
	s_or_b32 exec_lo, exec_lo, s26
	v_lshrrev_b32_e32 v10, 16, v13
	s_mov_b32 s11, 0
	s_mov_b32 s27, exec_lo
                                        ; implicit-def: $sgpr26
	v_and_b32_e32 v12, 0xff, v10
	s_delay_alu instid0(VALU_DEP_1)
	v_cmpx_lt_i16_e32 0x7f, v12
	s_xor_b32 s27, exec_lo, s27
	s_cbranch_execnz .LBB6_2061
; %bb.512:                              ;   in Loop: Header=BB6_142 Depth=2
	s_or_saveexec_b32 s27, s27
	v_mov_b32_e32 v11, s26
	s_xor_b32 exec_lo, exec_lo, s27
	s_cbranch_execnz .LBB6_2064
.LBB6_513:                              ;   in Loop: Header=BB6_142 Depth=2
	s_or_b32 exec_lo, exec_lo, s27
	s_and_saveexec_b32 s26, s11
	s_cbranch_execz .LBB6_515
.LBB6_514:                              ;   in Loop: Header=BB6_142 Depth=2
	v_bfe_u32 v11, v13, 16, 3
	s_delay_alu instid0(VALU_DEP_1) | instskip(NEXT) | instid1(VALU_DEP_1)
	v_clz_i32_u32_e32 v12, v11
	v_min_u32_e32 v12, 32, v12
	s_delay_alu instid0(VALU_DEP_1) | instskip(SKIP_1) | instid1(VALU_DEP_2)
	v_subrev_nc_u32_e32 v14, 28, v12
	v_sub_nc_u32_e32 v12, 29, v12
	v_lshlrev_b32_e32 v10, v14, v10
	v_bfe_u32 v14, v13, 19, 4
	s_delay_alu instid0(VALU_DEP_2) | instskip(NEXT) | instid1(VALU_DEP_2)
	v_and_b32_e32 v10, 7, v10
	v_cmp_eq_u32_e32 vcc_lo, 0, v14
	v_dual_cndmask_b32 v12, v14, v12 :: v_dual_lshlrev_b32 v15, 8, v13
	s_delay_alu instid0(VALU_DEP_1) | instskip(NEXT) | instid1(VALU_DEP_2)
	v_dual_cndmask_b32 v10, v11, v10 :: v_dual_and_b32 v11, 0x80000000, v15
	v_lshl_add_u32 v12, v12, 23, 0x3b800000
	s_delay_alu instid0(VALU_DEP_2) | instskip(NEXT) | instid1(VALU_DEP_1)
	v_lshlrev_b32_e32 v10, 20, v10
	v_or3_b32 v11, v11, v12, v10
.LBB6_515:                              ;   in Loop: Header=BB6_142 Depth=2
	s_or_b32 exec_lo, exec_lo, s26
	s_delay_alu instid0(VALU_DEP_1) | instskip(SKIP_1) | instid1(VALU_DEP_1)
	v_dual_mul_f32 v10, s25, v11 :: v_dual_mov_b32 v45, 0x80
	s_mov_b32 s26, exec_lo
	v_and_b32_e32 v11, 0x7f800000, v10
	s_delay_alu instid0(VALU_DEP_1)
	v_cmpx_ne_u32_e32 0x7f800000, v11
	s_cbranch_execz .LBB6_523
; %bb.516:                              ;   in Loop: Header=BB6_142 Depth=2
	v_mov_b32_e32 v45, 0
	s_mov_b32 s27, exec_lo
	v_cmpx_ne_u32_e32 0, v10
	s_cbranch_execz .LBB6_522
; %bb.517:                              ;   in Loop: Header=BB6_142 Depth=2
	v_bfe_u32 v11, v10, 23, 8
	v_and_b32_e32 v12, 0x7fffff, v10
	s_delay_alu instid0(VALU_DEP_2) | instskip(SKIP_1) | instid1(VALU_DEP_3)
	v_sub_nc_u32_e32 v14, 0x78, v11
	v_cmp_gt_u32_e32 vcc_lo, 0x79, v11
	v_or_b32_e32 v15, 0x800000, v12
	s_delay_alu instid0(VALU_DEP_3) | instskip(SKIP_2) | instid1(VALU_DEP_3)
	v_cndmask_b32_e32 v14, 0, v14, vcc_lo
	v_cmp_eq_u32_e32 vcc_lo, 0, v11
	v_add_nc_u32_e32 v11, 0xffffff89, v11
	v_cndmask_b32_e64 v14, v14, 0x77, vcc_lo
	v_cndmask_b32_e32 v12, v15, v12, vcc_lo
	s_delay_alu instid0(VALU_DEP_3) | instskip(NEXT) | instid1(VALU_DEP_3)
	v_cndmask_b32_e64 v11, v11, 0xffffff8a, vcc_lo
	v_lshl_add_u32 v15, 0x100000, v14, -1
	s_delay_alu instid0(VALU_DEP_3) | instskip(SKIP_1) | instid1(VALU_DEP_4)
	v_lshrrev_b32_e32 v16, v14, v12
	v_lshlrev_b32_e64 v18, v14, 0x80000
	v_add_nc_u32_e32 v14, v14, v11
	s_delay_alu instid0(VALU_DEP_4) | instskip(NEXT) | instid1(VALU_DEP_4)
	v_and_b32_e32 v12, v15, v12
	v_bfe_u32 v17, v16, 20, 1
	s_delay_alu instid0(VALU_DEP_2) | instskip(NEXT) | instid1(VALU_DEP_2)
	v_cmp_eq_u32_e64 s11, v12, v18
	v_add_nc_u32_e32 v15, -1, v17
	s_delay_alu instid0(VALU_DEP_1) | instskip(SKIP_2) | instid1(VALU_DEP_2)
	v_cndmask_b32_e64 v12, 0, v15, s11
	v_lshrrev_b32_e32 v15, 23, v16
	s_mov_b32 s11, exec_lo
	v_add_nc_u32_e32 v12, v12, v16
	s_delay_alu instid0(VALU_DEP_2) | instskip(NEXT) | instid1(VALU_DEP_2)
	v_xor_b32_e32 v15, 1, v15
	v_and_b32_e32 v11, 0xfffff, v12
	s_delay_alu instid0(VALU_DEP_1) | instskip(NEXT) | instid1(VALU_DEP_3)
	v_add_nc_u32_e32 v12, v11, v16
                                        ; implicit-def: $vgpr11
	v_cmpx_ne_u32_e64 v14, v15
	s_xor_b32 s11, exec_lo, s11
; %bb.518:                              ;   in Loop: Header=BB6_142 Depth=2
	s_delay_alu instid0(VALU_DEP_2) | instskip(SKIP_2) | instid1(VALU_DEP_2)
	v_cmp_lt_u32_e32 vcc_lo, 0xffffff, v12
	v_sub_nc_u32_e32 v11, v14, v15
	v_cndmask_b32_e64 v14, 0, 1, vcc_lo
	v_add_co_ci_u32_e32 v11, vcc_lo, 0, v11, vcc_lo
	s_delay_alu instid0(VALU_DEP_2)
	v_lshrrev_b32_e32 v12, v14, v12
; %bb.519:                              ;   in Loop: Header=BB6_142 Depth=2
	s_and_not1_saveexec_b32 s11, s11
; %bb.520:                              ;   in Loop: Header=BB6_142 Depth=2
	s_delay_alu instid0(VALU_DEP_1)
	v_bfe_u32 v11, v12, 23, 1
; %bb.521:                              ;   in Loop: Header=BB6_142 Depth=2
	s_or_b32 exec_lo, exec_lo, s11
	v_lshrrev_b32_e32 v12, 20, v12
	s_delay_alu instid0(VALU_DEP_2) | instskip(SKIP_2) | instid1(VALU_DEP_3)
	v_min_i32_e32 v14, 15, v11
	v_cmp_gt_i32_e32 vcc_lo, 16, v11
	v_lshrrev_b32_e32 v10, 24, v10
	v_lshlrev_b32_e32 v14, 3, v14
	v_cndmask_b32_e32 v12, 7, v12, vcc_lo
	s_delay_alu instid0(VALU_DEP_3) | instskip(NEXT) | instid1(VALU_DEP_3)
	v_and_b32_e32 v10, 0x80, v10
	v_and_b32_e32 v14, 0xf8, v14
	s_delay_alu instid0(VALU_DEP_3) | instskip(SKIP_1) | instid1(VALU_DEP_2)
	v_and_b32_e32 v15, 7, v12
	v_or_b32_e32 v11, v11, v12
	v_or3_b32 v10, v14, v10, v15
	s_delay_alu instid0(VALU_DEP_2) | instskip(NEXT) | instid1(VALU_DEP_2)
	v_cmp_ne_u32_e32 vcc_lo, 0, v11
	v_cndmask_b32_e32 v45, 0, v10, vcc_lo
.LBB6_522:                              ;   in Loop: Header=BB6_142 Depth=2
	s_or_b32 exec_lo, exec_lo, s27
.LBB6_523:                              ;   in Loop: Header=BB6_142 Depth=2
	s_delay_alu instid0(SALU_CYCLE_1) | instskip(SKIP_3) | instid1(VALU_DEP_1)
	s_or_b32 exec_lo, exec_lo, s26
	v_lshrrev_b32_e32 v10, 24, v13
	s_mov_b32 s11, 0
	s_mov_b32 s27, exec_lo
                                        ; implicit-def: $sgpr26
	v_cmpx_lt_i16_e32 0x7f, v10
	s_xor_b32 s27, exec_lo, s27
	s_cbranch_execnz .LBB6_2065
; %bb.524:                              ;   in Loop: Header=BB6_142 Depth=2
	s_or_saveexec_b32 s27, s27
	v_mov_b32_e32 v11, s26
	s_xor_b32 exec_lo, exec_lo, s27
	s_cbranch_execnz .LBB6_2068
.LBB6_525:                              ;   in Loop: Header=BB6_142 Depth=2
	s_or_b32 exec_lo, exec_lo, s27
	s_and_saveexec_b32 s26, s11
	s_cbranch_execz .LBB6_527
.LBB6_526:                              ;   in Loop: Header=BB6_142 Depth=2
	v_bfe_u32 v11, v13, 24, 3
	s_delay_alu instid0(VALU_DEP_1) | instskip(NEXT) | instid1(VALU_DEP_1)
	v_clz_i32_u32_e32 v12, v11
	v_min_u32_e32 v12, 32, v12
	s_delay_alu instid0(VALU_DEP_1) | instskip(SKIP_1) | instid1(VALU_DEP_2)
	v_subrev_nc_u32_e32 v14, 28, v12
	v_sub_nc_u32_e32 v12, 29, v12
	v_lshlrev_b32_e32 v10, v14, v10
	v_bfe_u32 v14, v13, 27, 4
	s_delay_alu instid0(VALU_DEP_2) | instskip(NEXT) | instid1(VALU_DEP_2)
	v_and_b32_e32 v10, 7, v10
	v_cmp_eq_u32_e32 vcc_lo, 0, v14
	v_cndmask_b32_e32 v12, v14, v12, vcc_lo
	s_delay_alu instid0(VALU_DEP_3) | instskip(NEXT) | instid1(VALU_DEP_2)
	v_dual_cndmask_b32 v10, v11, v10 :: v_dual_and_b32 v11, 0x80000000, v13
	v_lshl_add_u32 v12, v12, 23, 0x3b800000
	s_delay_alu instid0(VALU_DEP_2) | instskip(NEXT) | instid1(VALU_DEP_1)
	v_lshlrev_b32_e32 v10, 20, v10
	v_or3_b32 v11, v11, v12, v10
.LBB6_527:                              ;   in Loop: Header=BB6_142 Depth=2
	s_or_b32 exec_lo, exec_lo, s26
	s_delay_alu instid0(VALU_DEP_1) | instskip(SKIP_2) | instid1(VALU_DEP_2)
	v_mul_f32_e32 v10, s25, v11
	v_mov_b32_e32 v56, 0x8000
	s_mov_b32 s26, exec_lo
	v_and_b32_e32 v11, 0x7f800000, v10
	s_delay_alu instid0(VALU_DEP_1)
	v_cmpx_ne_u32_e32 0x7f800000, v11
	s_cbranch_execz .LBB6_535
; %bb.528:                              ;   in Loop: Header=BB6_142 Depth=2
	v_mov_b32_e32 v56, 0
	s_mov_b32 s27, exec_lo
	v_cmpx_ne_u32_e32 0, v10
	s_cbranch_execz .LBB6_534
; %bb.529:                              ;   in Loop: Header=BB6_142 Depth=2
	v_bfe_u32 v11, v10, 23, 8
	s_delay_alu instid0(VALU_DEP_1) | instskip(SKIP_1) | instid1(VALU_DEP_2)
	v_sub_nc_u32_e32 v13, 0x78, v11
	v_cmp_gt_u32_e32 vcc_lo, 0x79, v11
	v_dual_cndmask_b32 v13, 0, v13 :: v_dual_and_b32 v12, 0x7fffff, v10
	s_delay_alu instid0(VALU_DEP_1) | instskip(SKIP_2) | instid1(VALU_DEP_4)
	v_or_b32_e32 v14, 0x800000, v12
	v_cmp_eq_u32_e32 vcc_lo, 0, v11
	v_add_nc_u32_e32 v11, 0xffffff89, v11
	v_cndmask_b32_e64 v13, v13, 0x77, vcc_lo
	s_delay_alu instid0(VALU_DEP_4) | instskip(NEXT) | instid1(VALU_DEP_3)
	v_cndmask_b32_e32 v12, v14, v12, vcc_lo
	v_cndmask_b32_e64 v11, v11, 0xffffff8a, vcc_lo
	s_delay_alu instid0(VALU_DEP_3) | instskip(NEXT) | instid1(VALU_DEP_3)
	v_lshl_add_u32 v14, 0x100000, v13, -1
	v_lshrrev_b32_e32 v15, v13, v12
	v_lshlrev_b32_e64 v17, v13, 0x80000
	s_delay_alu instid0(VALU_DEP_4) | instskip(NEXT) | instid1(VALU_DEP_4)
	v_add_nc_u32_e32 v13, v13, v11
	v_and_b32_e32 v12, v14, v12
	s_delay_alu instid0(VALU_DEP_4) | instskip(NEXT) | instid1(VALU_DEP_2)
	v_bfe_u32 v16, v15, 20, 1
	v_cmp_eq_u32_e64 s11, v12, v17
	s_delay_alu instid0(VALU_DEP_2) | instskip(NEXT) | instid1(VALU_DEP_1)
	v_add_nc_u32_e32 v14, -1, v16
	v_cndmask_b32_e64 v12, 0, v14, s11
	v_lshrrev_b32_e32 v14, 23, v15
	s_mov_b32 s11, exec_lo
	s_delay_alu instid0(VALU_DEP_2) | instskip(NEXT) | instid1(VALU_DEP_2)
	v_add_nc_u32_e32 v12, v12, v15
	v_xor_b32_e32 v14, 1, v14
	s_delay_alu instid0(VALU_DEP_2) | instskip(NEXT) | instid1(VALU_DEP_1)
	v_and_b32_e32 v11, 0xfffff, v12
	v_add_nc_u32_e32 v12, v11, v15
                                        ; implicit-def: $vgpr11
	s_delay_alu instid0(VALU_DEP_3)
	v_cmpx_ne_u32_e64 v13, v14
	s_xor_b32 s11, exec_lo, s11
; %bb.530:                              ;   in Loop: Header=BB6_142 Depth=2
	s_delay_alu instid0(VALU_DEP_2) | instskip(SKIP_2) | instid1(VALU_DEP_2)
	v_cmp_lt_u32_e32 vcc_lo, 0xffffff, v12
	v_sub_nc_u32_e32 v11, v13, v14
	v_cndmask_b32_e64 v13, 0, 1, vcc_lo
	v_add_co_ci_u32_e32 v11, vcc_lo, 0, v11, vcc_lo
	s_delay_alu instid0(VALU_DEP_2)
	v_lshrrev_b32_e32 v12, v13, v12
; %bb.531:                              ;   in Loop: Header=BB6_142 Depth=2
	s_and_not1_saveexec_b32 s11, s11
; %bb.532:                              ;   in Loop: Header=BB6_142 Depth=2
	s_delay_alu instid0(VALU_DEP_1)
	v_bfe_u32 v11, v12, 23, 1
; %bb.533:                              ;   in Loop: Header=BB6_142 Depth=2
	s_or_b32 exec_lo, exec_lo, s11
	v_lshrrev_b32_e32 v12, 20, v12
	s_delay_alu instid0(VALU_DEP_2) | instskip(SKIP_2) | instid1(VALU_DEP_2)
	v_cmp_gt_i32_e32 vcc_lo, 16, v11
	v_min_i32_e32 v13, 15, v11
	v_lshrrev_b32_e32 v10, 24, v10
	v_dual_cndmask_b32 v12, 7, v12 :: v_dual_lshlrev_b32 v13, 3, v13
	s_delay_alu instid0(VALU_DEP_2) | instskip(NEXT) | instid1(VALU_DEP_2)
	v_and_b32_e32 v10, 0x80, v10
	v_or_b32_e32 v11, v11, v12
	v_and_b32_e32 v14, 7, v12
	s_delay_alu instid0(VALU_DEP_2) | instskip(SKIP_1) | instid1(VALU_DEP_1)
	v_cmp_ne_u32_e32 vcc_lo, 0, v11
	v_and_b32_e32 v13, 0xf8, v13
	v_or3_b32 v10, v10, v13, v14
	s_delay_alu instid0(VALU_DEP_1) | instskip(NEXT) | instid1(VALU_DEP_1)
	v_lshlrev_b32_e32 v10, 8, v10
	v_cndmask_b32_e32 v56, 0, v10, vcc_lo
.LBB6_534:                              ;   in Loop: Header=BB6_142 Depth=2
	s_or_b32 exec_lo, exec_lo, s27
.LBB6_535:                              ;   in Loop: Header=BB6_142 Depth=2
	s_delay_alu instid0(SALU_CYCLE_1)
	s_or_b32 exec_lo, exec_lo, s26
	global_load_b128 v[10:13], v[66:67], off offset:1024 slc dlc
	s_mov_b32 s11, 0
	s_mov_b32 s27, exec_lo
                                        ; implicit-def: $sgpr26
	s_waitcnt vmcnt(0)
	v_and_b32_e32 v15, 0xff, v10
	s_delay_alu instid0(VALU_DEP_1)
	v_cmpx_lt_i16_e32 0x7f, v15
	s_xor_b32 s27, exec_lo, s27
	s_cbranch_execnz .LBB6_2069
; %bb.536:                              ;   in Loop: Header=BB6_142 Depth=2
	s_or_saveexec_b32 s27, s27
	v_mov_b32_e32 v14, s26
	s_xor_b32 exec_lo, exec_lo, s27
	s_cbranch_execnz .LBB6_2072
.LBB6_537:                              ;   in Loop: Header=BB6_142 Depth=2
	s_or_b32 exec_lo, exec_lo, s27
	s_and_saveexec_b32 s26, s11
	s_cbranch_execz .LBB6_539
.LBB6_538:                              ;   in Loop: Header=BB6_142 Depth=2
	v_bfe_u32 v17, v10, 3, 4
	v_lshlrev_b32_e32 v18, 24, v10
	s_delay_alu instid0(VALU_DEP_2) | instskip(SKIP_1) | instid1(VALU_DEP_1)
	v_cmp_eq_u32_e32 vcc_lo, 0, v17
	v_and_b32_e32 v14, 7, v10
	v_clz_i32_u32_e32 v15, v14
	s_delay_alu instid0(VALU_DEP_1) | instskip(NEXT) | instid1(VALU_DEP_1)
	v_min_u32_e32 v15, 32, v15
	v_subrev_nc_u32_e32 v16, 28, v15
	v_sub_nc_u32_e32 v15, 29, v15
	s_delay_alu instid0(VALU_DEP_1) | instskip(NEXT) | instid1(VALU_DEP_1)
	v_dual_cndmask_b32 v15, v17, v15 :: v_dual_lshlrev_b32 v16, v16, v10
	v_and_b32_e32 v16, 7, v16
	s_delay_alu instid0(VALU_DEP_2) | instskip(NEXT) | instid1(VALU_DEP_2)
	v_lshl_add_u32 v15, v15, 23, 0x3b800000
	v_cndmask_b32_e32 v14, v14, v16, vcc_lo
	v_and_b32_e32 v16, 0x80000000, v18
	s_delay_alu instid0(VALU_DEP_2) | instskip(NEXT) | instid1(VALU_DEP_1)
	v_lshlrev_b32_e32 v14, 20, v14
	v_or3_b32 v14, v16, v15, v14
.LBB6_539:                              ;   in Loop: Header=BB6_142 Depth=2
	s_or_b32 exec_lo, exec_lo, s26
	s_delay_alu instid0(VALU_DEP_1) | instskip(SKIP_1) | instid1(VALU_DEP_1)
	v_dual_mul_f32 v14, s25, v14 :: v_dual_mov_b32 v43, 0x80
	s_mov_b32 s26, exec_lo
	v_and_b32_e32 v15, 0x7f800000, v14
	s_delay_alu instid0(VALU_DEP_1)
	v_cmpx_ne_u32_e32 0x7f800000, v15
	s_cbranch_execz .LBB6_547
; %bb.540:                              ;   in Loop: Header=BB6_142 Depth=2
	v_mov_b32_e32 v43, 0
	s_mov_b32 s27, exec_lo
	v_cmpx_ne_u32_e32 0, v14
	s_cbranch_execz .LBB6_546
; %bb.541:                              ;   in Loop: Header=BB6_142 Depth=2
	v_bfe_u32 v15, v14, 23, 8
	s_delay_alu instid0(VALU_DEP_1) | instskip(SKIP_1) | instid1(VALU_DEP_2)
	v_sub_nc_u32_e32 v17, 0x78, v15
	v_cmp_gt_u32_e32 vcc_lo, 0x79, v15
	v_dual_cndmask_b32 v17, 0, v17 :: v_dual_and_b32 v16, 0x7fffff, v14
	s_delay_alu instid0(VALU_DEP_1) | instskip(SKIP_2) | instid1(VALU_DEP_4)
	v_or_b32_e32 v18, 0x800000, v16
	v_cmp_eq_u32_e32 vcc_lo, 0, v15
	v_add_nc_u32_e32 v15, 0xffffff89, v15
	v_cndmask_b32_e64 v17, v17, 0x77, vcc_lo
	s_delay_alu instid0(VALU_DEP_4) | instskip(NEXT) | instid1(VALU_DEP_3)
	v_cndmask_b32_e32 v16, v18, v16, vcc_lo
	v_cndmask_b32_e64 v15, v15, 0xffffff8a, vcc_lo
	s_delay_alu instid0(VALU_DEP_3) | instskip(NEXT) | instid1(VALU_DEP_3)
	v_lshl_add_u32 v18, 0x100000, v17, -1
	v_lshrrev_b32_e32 v19, v17, v16
	v_lshlrev_b32_e64 v21, v17, 0x80000
	s_delay_alu instid0(VALU_DEP_4) | instskip(NEXT) | instid1(VALU_DEP_4)
	v_add_nc_u32_e32 v17, v17, v15
	v_and_b32_e32 v16, v18, v16
	s_delay_alu instid0(VALU_DEP_4) | instskip(NEXT) | instid1(VALU_DEP_2)
	v_bfe_u32 v20, v19, 20, 1
	v_cmp_eq_u32_e64 s11, v16, v21
	s_delay_alu instid0(VALU_DEP_2) | instskip(NEXT) | instid1(VALU_DEP_1)
	v_add_nc_u32_e32 v18, -1, v20
	v_cndmask_b32_e64 v16, 0, v18, s11
	v_lshrrev_b32_e32 v18, 23, v19
	s_mov_b32 s11, exec_lo
	s_delay_alu instid0(VALU_DEP_2) | instskip(NEXT) | instid1(VALU_DEP_2)
	v_add_nc_u32_e32 v16, v16, v19
	v_xor_b32_e32 v18, 1, v18
	s_delay_alu instid0(VALU_DEP_2) | instskip(NEXT) | instid1(VALU_DEP_1)
	v_and_b32_e32 v15, 0xfffff, v16
	v_add_nc_u32_e32 v16, v15, v19
                                        ; implicit-def: $vgpr15
	s_delay_alu instid0(VALU_DEP_3)
	v_cmpx_ne_u32_e64 v17, v18
	s_xor_b32 s11, exec_lo, s11
; %bb.542:                              ;   in Loop: Header=BB6_142 Depth=2
	s_delay_alu instid0(VALU_DEP_2) | instskip(SKIP_2) | instid1(VALU_DEP_2)
	v_cmp_lt_u32_e32 vcc_lo, 0xffffff, v16
	v_sub_nc_u32_e32 v15, v17, v18
	v_cndmask_b32_e64 v17, 0, 1, vcc_lo
	v_add_co_ci_u32_e32 v15, vcc_lo, 0, v15, vcc_lo
	s_delay_alu instid0(VALU_DEP_2)
	v_lshrrev_b32_e32 v16, v17, v16
; %bb.543:                              ;   in Loop: Header=BB6_142 Depth=2
	s_and_not1_saveexec_b32 s11, s11
; %bb.544:                              ;   in Loop: Header=BB6_142 Depth=2
	s_delay_alu instid0(VALU_DEP_1)
	v_bfe_u32 v15, v16, 23, 1
; %bb.545:                              ;   in Loop: Header=BB6_142 Depth=2
	s_or_b32 exec_lo, exec_lo, s11
	v_lshrrev_b32_e32 v16, 20, v16
	s_delay_alu instid0(VALU_DEP_2) | instskip(SKIP_2) | instid1(VALU_DEP_2)
	v_cmp_gt_i32_e32 vcc_lo, 16, v15
	v_min_i32_e32 v17, 15, v15
	v_lshrrev_b32_e32 v14, 24, v14
	v_dual_cndmask_b32 v16, 7, v16 :: v_dual_lshlrev_b32 v17, 3, v17
	s_delay_alu instid0(VALU_DEP_2) | instskip(NEXT) | instid1(VALU_DEP_2)
	v_and_b32_e32 v14, 0x80, v14
	v_or_b32_e32 v15, v15, v16
	s_delay_alu instid0(VALU_DEP_1) | instskip(SKIP_1) | instid1(VALU_DEP_1)
	v_cmp_ne_u32_e32 vcc_lo, 0, v15
	v_and_b32_e32 v18, 7, v16
	v_or3_b32 v14, v17, v14, v18
	s_delay_alu instid0(VALU_DEP_1)
	v_cndmask_b32_e32 v43, 0, v14, vcc_lo
.LBB6_546:                              ;   in Loop: Header=BB6_142 Depth=2
	s_or_b32 exec_lo, exec_lo, s27
.LBB6_547:                              ;   in Loop: Header=BB6_142 Depth=2
	s_delay_alu instid0(SALU_CYCLE_1) | instskip(SKIP_3) | instid1(VALU_DEP_1)
	s_or_b32 exec_lo, exec_lo, s26
	v_lshrrev_b16 v14, 8, v10
	s_mov_b32 s11, 0
	s_mov_b32 s27, exec_lo
                                        ; implicit-def: $sgpr26
	v_cmpx_lt_i16_e32 0x7f, v14
	s_xor_b32 s27, exec_lo, s27
	s_cbranch_execnz .LBB6_2073
; %bb.548:                              ;   in Loop: Header=BB6_142 Depth=2
	s_or_saveexec_b32 s27, s27
	v_mov_b32_e32 v15, s26
	s_xor_b32 exec_lo, exec_lo, s27
	s_cbranch_execnz .LBB6_2076
.LBB6_549:                              ;   in Loop: Header=BB6_142 Depth=2
	s_or_b32 exec_lo, exec_lo, s27
	s_and_saveexec_b32 s26, s11
	s_cbranch_execz .LBB6_551
.LBB6_550:                              ;   in Loop: Header=BB6_142 Depth=2
	v_and_b32_e32 v15, 0xffff, v14
	v_lshlrev_b32_e32 v14, 24, v14
	s_delay_alu instid0(VALU_DEP_2) | instskip(NEXT) | instid1(VALU_DEP_2)
	v_and_b32_e32 v16, 7, v15
	v_and_b32_e32 v14, 0x80000000, v14
	s_delay_alu instid0(VALU_DEP_2) | instskip(NEXT) | instid1(VALU_DEP_1)
	v_clz_i32_u32_e32 v17, v16
	v_min_u32_e32 v17, 32, v17
	s_delay_alu instid0(VALU_DEP_1) | instskip(SKIP_1) | instid1(VALU_DEP_2)
	v_subrev_nc_u32_e32 v18, 28, v17
	v_sub_nc_u32_e32 v17, 29, v17
	v_lshlrev_b32_e32 v18, v18, v15
	v_bfe_u32 v15, v15, 3, 4
	s_delay_alu instid0(VALU_DEP_2) | instskip(NEXT) | instid1(VALU_DEP_2)
	v_and_b32_e32 v18, 7, v18
	v_cmp_eq_u32_e32 vcc_lo, 0, v15
	s_delay_alu instid0(VALU_DEP_2) | instskip(NEXT) | instid1(VALU_DEP_1)
	v_dual_cndmask_b32 v15, v15, v17 :: v_dual_cndmask_b32 v16, v16, v18
	v_lshl_add_u32 v15, v15, 23, 0x3b800000
	s_delay_alu instid0(VALU_DEP_2) | instskip(NEXT) | instid1(VALU_DEP_1)
	v_lshlrev_b32_e32 v16, 20, v16
	v_or3_b32 v15, v14, v15, v16
.LBB6_551:                              ;   in Loop: Header=BB6_142 Depth=2
	s_or_b32 exec_lo, exec_lo, s26
	s_delay_alu instid0(VALU_DEP_1) | instskip(SKIP_1) | instid1(VALU_DEP_1)
	v_dual_mul_f32 v14, s25, v15 :: v_dual_mov_b32 v41, 0x80
	s_mov_b32 s26, exec_lo
	v_and_b32_e32 v15, 0x7f800000, v14
	s_delay_alu instid0(VALU_DEP_1)
	v_cmpx_ne_u32_e32 0x7f800000, v15
	s_cbranch_execz .LBB6_559
; %bb.552:                              ;   in Loop: Header=BB6_142 Depth=2
	v_mov_b32_e32 v41, 0
	s_mov_b32 s27, exec_lo
	v_cmpx_ne_u32_e32 0, v14
	s_cbranch_execz .LBB6_558
; %bb.553:                              ;   in Loop: Header=BB6_142 Depth=2
	v_bfe_u32 v15, v14, 23, 8
	s_delay_alu instid0(VALU_DEP_1) | instskip(SKIP_1) | instid1(VALU_DEP_2)
	v_sub_nc_u32_e32 v17, 0x78, v15
	v_cmp_gt_u32_e32 vcc_lo, 0x79, v15
	v_dual_cndmask_b32 v17, 0, v17 :: v_dual_and_b32 v16, 0x7fffff, v14
	s_delay_alu instid0(VALU_DEP_1) | instskip(SKIP_2) | instid1(VALU_DEP_4)
	v_or_b32_e32 v18, 0x800000, v16
	v_cmp_eq_u32_e32 vcc_lo, 0, v15
	v_add_nc_u32_e32 v15, 0xffffff89, v15
	v_cndmask_b32_e64 v17, v17, 0x77, vcc_lo
	s_delay_alu instid0(VALU_DEP_4) | instskip(NEXT) | instid1(VALU_DEP_3)
	v_cndmask_b32_e32 v16, v18, v16, vcc_lo
	v_cndmask_b32_e64 v15, v15, 0xffffff8a, vcc_lo
	s_delay_alu instid0(VALU_DEP_3) | instskip(NEXT) | instid1(VALU_DEP_3)
	v_lshl_add_u32 v18, 0x100000, v17, -1
	v_lshrrev_b32_e32 v19, v17, v16
	v_lshlrev_b32_e64 v21, v17, 0x80000
	s_delay_alu instid0(VALU_DEP_4) | instskip(NEXT) | instid1(VALU_DEP_4)
	v_add_nc_u32_e32 v17, v17, v15
	v_and_b32_e32 v16, v18, v16
	s_delay_alu instid0(VALU_DEP_4) | instskip(NEXT) | instid1(VALU_DEP_2)
	v_bfe_u32 v20, v19, 20, 1
	v_cmp_eq_u32_e64 s11, v16, v21
	s_delay_alu instid0(VALU_DEP_2) | instskip(NEXT) | instid1(VALU_DEP_1)
	v_add_nc_u32_e32 v18, -1, v20
	v_cndmask_b32_e64 v16, 0, v18, s11
	v_lshrrev_b32_e32 v18, 23, v19
	s_mov_b32 s11, exec_lo
	s_delay_alu instid0(VALU_DEP_2) | instskip(NEXT) | instid1(VALU_DEP_2)
	v_add_nc_u32_e32 v16, v16, v19
	v_xor_b32_e32 v18, 1, v18
	s_delay_alu instid0(VALU_DEP_2) | instskip(NEXT) | instid1(VALU_DEP_1)
	v_and_b32_e32 v15, 0xfffff, v16
	v_add_nc_u32_e32 v16, v15, v19
                                        ; implicit-def: $vgpr15
	s_delay_alu instid0(VALU_DEP_3)
	v_cmpx_ne_u32_e64 v17, v18
	s_xor_b32 s11, exec_lo, s11
; %bb.554:                              ;   in Loop: Header=BB6_142 Depth=2
	s_delay_alu instid0(VALU_DEP_2) | instskip(SKIP_2) | instid1(VALU_DEP_2)
	v_cmp_lt_u32_e32 vcc_lo, 0xffffff, v16
	v_sub_nc_u32_e32 v15, v17, v18
	v_cndmask_b32_e64 v17, 0, 1, vcc_lo
	v_add_co_ci_u32_e32 v15, vcc_lo, 0, v15, vcc_lo
	s_delay_alu instid0(VALU_DEP_2)
	v_lshrrev_b32_e32 v16, v17, v16
; %bb.555:                              ;   in Loop: Header=BB6_142 Depth=2
	s_and_not1_saveexec_b32 s11, s11
; %bb.556:                              ;   in Loop: Header=BB6_142 Depth=2
	s_delay_alu instid0(VALU_DEP_1)
	v_bfe_u32 v15, v16, 23, 1
; %bb.557:                              ;   in Loop: Header=BB6_142 Depth=2
	s_or_b32 exec_lo, exec_lo, s11
	v_lshrrev_b32_e32 v16, 20, v16
	s_delay_alu instid0(VALU_DEP_2) | instskip(SKIP_2) | instid1(VALU_DEP_2)
	v_cmp_gt_i32_e32 vcc_lo, 16, v15
	v_min_i32_e32 v17, 15, v15
	v_lshrrev_b32_e32 v14, 24, v14
	v_dual_cndmask_b32 v16, 7, v16 :: v_dual_lshlrev_b32 v17, 3, v17
	s_delay_alu instid0(VALU_DEP_2) | instskip(NEXT) | instid1(VALU_DEP_2)
	v_and_b32_e32 v14, 0x80, v14
	v_or_b32_e32 v15, v15, v16
	s_delay_alu instid0(VALU_DEP_1) | instskip(SKIP_1) | instid1(VALU_DEP_1)
	v_cmp_ne_u32_e32 vcc_lo, 0, v15
	v_and_b32_e32 v18, 7, v16
	v_or3_b32 v14, v17, v14, v18
	s_delay_alu instid0(VALU_DEP_1)
	v_cndmask_b32_e32 v41, 0, v14, vcc_lo
.LBB6_558:                              ;   in Loop: Header=BB6_142 Depth=2
	s_or_b32 exec_lo, exec_lo, s27
.LBB6_559:                              ;   in Loop: Header=BB6_142 Depth=2
	s_delay_alu instid0(SALU_CYCLE_1) | instskip(SKIP_3) | instid1(VALU_DEP_1)
	s_or_b32 exec_lo, exec_lo, s26
	v_lshrrev_b32_e32 v14, 16, v10
	s_mov_b32 s11, 0
	s_mov_b32 s27, exec_lo
                                        ; implicit-def: $sgpr26
	v_and_b32_e32 v16, 0xff, v14
	s_delay_alu instid0(VALU_DEP_1)
	v_cmpx_lt_i16_e32 0x7f, v16
	s_xor_b32 s27, exec_lo, s27
	s_cbranch_execnz .LBB6_2077
; %bb.560:                              ;   in Loop: Header=BB6_142 Depth=2
	s_or_saveexec_b32 s27, s27
	v_mov_b32_e32 v15, s26
	s_xor_b32 exec_lo, exec_lo, s27
	s_cbranch_execnz .LBB6_2080
.LBB6_561:                              ;   in Loop: Header=BB6_142 Depth=2
	s_or_b32 exec_lo, exec_lo, s27
	s_and_saveexec_b32 s26, s11
	s_cbranch_execz .LBB6_563
.LBB6_562:                              ;   in Loop: Header=BB6_142 Depth=2
	v_bfe_u32 v15, v10, 16, 3
	v_lshlrev_b32_e32 v18, 8, v10
	s_delay_alu instid0(VALU_DEP_2) | instskip(NEXT) | instid1(VALU_DEP_1)
	v_clz_i32_u32_e32 v16, v15
	v_min_u32_e32 v16, 32, v16
	s_delay_alu instid0(VALU_DEP_1) | instskip(SKIP_1) | instid1(VALU_DEP_2)
	v_subrev_nc_u32_e32 v17, 28, v16
	v_sub_nc_u32_e32 v16, 29, v16
	v_lshlrev_b32_e32 v14, v17, v14
	v_bfe_u32 v17, v10, 19, 4
	s_delay_alu instid0(VALU_DEP_2) | instskip(NEXT) | instid1(VALU_DEP_2)
	v_and_b32_e32 v14, 7, v14
	v_cmp_eq_u32_e32 vcc_lo, 0, v17
	v_cndmask_b32_e32 v16, v17, v16, vcc_lo
	s_delay_alu instid0(VALU_DEP_3) | instskip(SKIP_1) | instid1(VALU_DEP_3)
	v_cndmask_b32_e32 v14, v15, v14, vcc_lo
	v_and_b32_e32 v15, 0x80000000, v18
	v_lshl_add_u32 v16, v16, 23, 0x3b800000
	s_delay_alu instid0(VALU_DEP_3) | instskip(NEXT) | instid1(VALU_DEP_1)
	v_lshlrev_b32_e32 v14, 20, v14
	v_or3_b32 v15, v15, v16, v14
.LBB6_563:                              ;   in Loop: Header=BB6_142 Depth=2
	s_or_b32 exec_lo, exec_lo, s26
	s_delay_alu instid0(VALU_DEP_1) | instskip(SKIP_1) | instid1(VALU_DEP_1)
	v_dual_mul_f32 v14, s25, v15 :: v_dual_mov_b32 v183, 0x80
	s_mov_b32 s26, exec_lo
	v_and_b32_e32 v15, 0x7f800000, v14
	s_delay_alu instid0(VALU_DEP_1)
	v_cmpx_ne_u32_e32 0x7f800000, v15
	s_cbranch_execz .LBB6_571
; %bb.564:                              ;   in Loop: Header=BB6_142 Depth=2
	v_mov_b32_e32 v183, 0
	s_mov_b32 s27, exec_lo
	v_cmpx_ne_u32_e32 0, v14
	s_cbranch_execz .LBB6_570
; %bb.565:                              ;   in Loop: Header=BB6_142 Depth=2
	v_bfe_u32 v15, v14, 23, 8
	s_delay_alu instid0(VALU_DEP_1) | instskip(SKIP_1) | instid1(VALU_DEP_2)
	v_sub_nc_u32_e32 v17, 0x78, v15
	v_cmp_gt_u32_e32 vcc_lo, 0x79, v15
	v_dual_cndmask_b32 v17, 0, v17 :: v_dual_and_b32 v16, 0x7fffff, v14
	s_delay_alu instid0(VALU_DEP_1) | instskip(SKIP_2) | instid1(VALU_DEP_4)
	v_or_b32_e32 v18, 0x800000, v16
	v_cmp_eq_u32_e32 vcc_lo, 0, v15
	v_add_nc_u32_e32 v15, 0xffffff89, v15
	v_cndmask_b32_e64 v17, v17, 0x77, vcc_lo
	s_delay_alu instid0(VALU_DEP_4) | instskip(NEXT) | instid1(VALU_DEP_3)
	v_cndmask_b32_e32 v16, v18, v16, vcc_lo
	v_cndmask_b32_e64 v15, v15, 0xffffff8a, vcc_lo
	s_delay_alu instid0(VALU_DEP_3) | instskip(NEXT) | instid1(VALU_DEP_3)
	v_lshl_add_u32 v18, 0x100000, v17, -1
	v_lshrrev_b32_e32 v19, v17, v16
	v_lshlrev_b32_e64 v21, v17, 0x80000
	s_delay_alu instid0(VALU_DEP_4) | instskip(NEXT) | instid1(VALU_DEP_4)
	v_add_nc_u32_e32 v17, v17, v15
	v_and_b32_e32 v16, v18, v16
	s_delay_alu instid0(VALU_DEP_4) | instskip(NEXT) | instid1(VALU_DEP_2)
	v_bfe_u32 v20, v19, 20, 1
	v_cmp_eq_u32_e64 s11, v16, v21
	s_delay_alu instid0(VALU_DEP_2) | instskip(NEXT) | instid1(VALU_DEP_1)
	v_add_nc_u32_e32 v18, -1, v20
	v_cndmask_b32_e64 v16, 0, v18, s11
	v_lshrrev_b32_e32 v18, 23, v19
	s_mov_b32 s11, exec_lo
	s_delay_alu instid0(VALU_DEP_2) | instskip(NEXT) | instid1(VALU_DEP_2)
	v_add_nc_u32_e32 v16, v16, v19
	v_xor_b32_e32 v18, 1, v18
	s_delay_alu instid0(VALU_DEP_2) | instskip(NEXT) | instid1(VALU_DEP_1)
	v_and_b32_e32 v15, 0xfffff, v16
	v_add_nc_u32_e32 v16, v15, v19
                                        ; implicit-def: $vgpr15
	s_delay_alu instid0(VALU_DEP_3)
	v_cmpx_ne_u32_e64 v17, v18
	s_xor_b32 s11, exec_lo, s11
; %bb.566:                              ;   in Loop: Header=BB6_142 Depth=2
	s_delay_alu instid0(VALU_DEP_2) | instskip(SKIP_2) | instid1(VALU_DEP_2)
	v_cmp_lt_u32_e32 vcc_lo, 0xffffff, v16
	v_sub_nc_u32_e32 v15, v17, v18
	v_cndmask_b32_e64 v17, 0, 1, vcc_lo
	v_add_co_ci_u32_e32 v15, vcc_lo, 0, v15, vcc_lo
	s_delay_alu instid0(VALU_DEP_2)
	v_lshrrev_b32_e32 v16, v17, v16
; %bb.567:                              ;   in Loop: Header=BB6_142 Depth=2
	s_and_not1_saveexec_b32 s11, s11
; %bb.568:                              ;   in Loop: Header=BB6_142 Depth=2
	s_delay_alu instid0(VALU_DEP_1)
	v_bfe_u32 v15, v16, 23, 1
; %bb.569:                              ;   in Loop: Header=BB6_142 Depth=2
	s_or_b32 exec_lo, exec_lo, s11
	v_lshrrev_b32_e32 v16, 20, v16
	s_delay_alu instid0(VALU_DEP_2) | instskip(SKIP_2) | instid1(VALU_DEP_2)
	v_cmp_gt_i32_e32 vcc_lo, 16, v15
	v_min_i32_e32 v17, 15, v15
	v_lshrrev_b32_e32 v14, 24, v14
	v_dual_cndmask_b32 v16, 7, v16 :: v_dual_lshlrev_b32 v17, 3, v17
	s_delay_alu instid0(VALU_DEP_2) | instskip(NEXT) | instid1(VALU_DEP_2)
	v_and_b32_e32 v14, 0x80, v14
	v_or_b32_e32 v15, v15, v16
	s_delay_alu instid0(VALU_DEP_1) | instskip(SKIP_1) | instid1(VALU_DEP_1)
	v_cmp_ne_u32_e32 vcc_lo, 0, v15
	v_and_b32_e32 v18, 7, v16
	v_or3_b32 v14, v17, v14, v18
	s_delay_alu instid0(VALU_DEP_1)
	v_cndmask_b32_e32 v183, 0, v14, vcc_lo
.LBB6_570:                              ;   in Loop: Header=BB6_142 Depth=2
	s_or_b32 exec_lo, exec_lo, s27
.LBB6_571:                              ;   in Loop: Header=BB6_142 Depth=2
	s_delay_alu instid0(SALU_CYCLE_1) | instskip(SKIP_3) | instid1(VALU_DEP_1)
	s_or_b32 exec_lo, exec_lo, s26
	v_lshrrev_b32_e32 v14, 24, v10
	s_mov_b32 s11, 0
	s_mov_b32 s27, exec_lo
                                        ; implicit-def: $sgpr26
	v_cmpx_lt_i16_e32 0x7f, v14
	s_xor_b32 s27, exec_lo, s27
	s_cbranch_execnz .LBB6_2081
; %bb.572:                              ;   in Loop: Header=BB6_142 Depth=2
	s_or_saveexec_b32 s27, s27
	v_mov_b32_e32 v15, s26
	s_xor_b32 exec_lo, exec_lo, s27
	s_cbranch_execnz .LBB6_2084
.LBB6_573:                              ;   in Loop: Header=BB6_142 Depth=2
	s_or_b32 exec_lo, exec_lo, s27
	s_and_saveexec_b32 s26, s11
	s_cbranch_execz .LBB6_575
.LBB6_574:                              ;   in Loop: Header=BB6_142 Depth=2
	v_bfe_u32 v15, v10, 24, 3
	s_delay_alu instid0(VALU_DEP_1) | instskip(NEXT) | instid1(VALU_DEP_1)
	v_clz_i32_u32_e32 v16, v15
	v_min_u32_e32 v16, 32, v16
	s_delay_alu instid0(VALU_DEP_1) | instskip(SKIP_1) | instid1(VALU_DEP_2)
	v_subrev_nc_u32_e32 v17, 28, v16
	v_sub_nc_u32_e32 v16, 29, v16
	v_lshlrev_b32_e32 v14, v17, v14
	v_bfe_u32 v17, v10, 27, 4
	v_and_b32_e32 v10, 0x80000000, v10
	s_delay_alu instid0(VALU_DEP_3) | instskip(NEXT) | instid1(VALU_DEP_3)
	v_and_b32_e32 v14, 7, v14
	v_cmp_eq_u32_e32 vcc_lo, 0, v17
	v_cndmask_b32_e32 v16, v17, v16, vcc_lo
	s_delay_alu instid0(VALU_DEP_3) | instskip(NEXT) | instid1(VALU_DEP_2)
	v_cndmask_b32_e32 v14, v15, v14, vcc_lo
	v_lshl_add_u32 v15, v16, 23, 0x3b800000
	s_delay_alu instid0(VALU_DEP_2) | instskip(NEXT) | instid1(VALU_DEP_1)
	v_lshlrev_b32_e32 v14, 20, v14
	v_or3_b32 v15, v10, v15, v14
.LBB6_575:                              ;   in Loop: Header=BB6_142 Depth=2
	s_or_b32 exec_lo, exec_lo, s26
	s_delay_alu instid0(VALU_DEP_1) | instskip(SKIP_1) | instid1(VALU_DEP_1)
	v_dual_mul_f32 v10, s25, v15 :: v_dual_mov_b32 v181, 0x80
	s_mov_b32 s26, exec_lo
	v_and_b32_e32 v14, 0x7f800000, v10
	s_delay_alu instid0(VALU_DEP_1)
	v_cmpx_ne_u32_e32 0x7f800000, v14
	s_cbranch_execz .LBB6_583
; %bb.576:                              ;   in Loop: Header=BB6_142 Depth=2
	v_mov_b32_e32 v181, 0
	s_mov_b32 s27, exec_lo
	v_cmpx_ne_u32_e32 0, v10
	s_cbranch_execz .LBB6_582
; %bb.577:                              ;   in Loop: Header=BB6_142 Depth=2
	v_bfe_u32 v14, v10, 23, 8
	s_delay_alu instid0(VALU_DEP_1) | instskip(SKIP_1) | instid1(VALU_DEP_2)
	v_sub_nc_u32_e32 v16, 0x78, v14
	v_cmp_gt_u32_e32 vcc_lo, 0x79, v14
	v_dual_cndmask_b32 v16, 0, v16 :: v_dual_and_b32 v15, 0x7fffff, v10
	s_delay_alu instid0(VALU_DEP_1) | instskip(SKIP_2) | instid1(VALU_DEP_4)
	v_or_b32_e32 v17, 0x800000, v15
	v_cmp_eq_u32_e32 vcc_lo, 0, v14
	v_add_nc_u32_e32 v14, 0xffffff89, v14
	v_cndmask_b32_e64 v16, v16, 0x77, vcc_lo
	s_delay_alu instid0(VALU_DEP_4) | instskip(NEXT) | instid1(VALU_DEP_3)
	v_cndmask_b32_e32 v15, v17, v15, vcc_lo
	v_cndmask_b32_e64 v14, v14, 0xffffff8a, vcc_lo
	s_delay_alu instid0(VALU_DEP_3) | instskip(NEXT) | instid1(VALU_DEP_3)
	v_lshl_add_u32 v17, 0x100000, v16, -1
	v_lshrrev_b32_e32 v18, v16, v15
	v_lshlrev_b32_e64 v20, v16, 0x80000
	s_delay_alu instid0(VALU_DEP_4) | instskip(NEXT) | instid1(VALU_DEP_4)
	v_add_nc_u32_e32 v16, v16, v14
	v_and_b32_e32 v15, v17, v15
	s_delay_alu instid0(VALU_DEP_4) | instskip(NEXT) | instid1(VALU_DEP_2)
	v_bfe_u32 v19, v18, 20, 1
	v_cmp_eq_u32_e64 s11, v15, v20
	s_delay_alu instid0(VALU_DEP_2) | instskip(NEXT) | instid1(VALU_DEP_1)
	v_add_nc_u32_e32 v17, -1, v19
	v_cndmask_b32_e64 v15, 0, v17, s11
	v_lshrrev_b32_e32 v17, 23, v18
	s_mov_b32 s11, exec_lo
	s_delay_alu instid0(VALU_DEP_2) | instskip(NEXT) | instid1(VALU_DEP_2)
	v_add_nc_u32_e32 v15, v15, v18
	v_xor_b32_e32 v17, 1, v17
	s_delay_alu instid0(VALU_DEP_2) | instskip(NEXT) | instid1(VALU_DEP_1)
	v_and_b32_e32 v14, 0xfffff, v15
	v_add_nc_u32_e32 v15, v14, v18
                                        ; implicit-def: $vgpr14
	s_delay_alu instid0(VALU_DEP_3)
	v_cmpx_ne_u32_e64 v16, v17
	s_xor_b32 s11, exec_lo, s11
; %bb.578:                              ;   in Loop: Header=BB6_142 Depth=2
	s_delay_alu instid0(VALU_DEP_2) | instskip(SKIP_2) | instid1(VALU_DEP_2)
	v_cmp_lt_u32_e32 vcc_lo, 0xffffff, v15
	v_sub_nc_u32_e32 v14, v16, v17
	v_cndmask_b32_e64 v16, 0, 1, vcc_lo
	v_add_co_ci_u32_e32 v14, vcc_lo, 0, v14, vcc_lo
	s_delay_alu instid0(VALU_DEP_2)
	v_lshrrev_b32_e32 v15, v16, v15
; %bb.579:                              ;   in Loop: Header=BB6_142 Depth=2
	s_and_not1_saveexec_b32 s11, s11
; %bb.580:                              ;   in Loop: Header=BB6_142 Depth=2
	s_delay_alu instid0(VALU_DEP_1)
	v_bfe_u32 v14, v15, 23, 1
; %bb.581:                              ;   in Loop: Header=BB6_142 Depth=2
	s_or_b32 exec_lo, exec_lo, s11
	v_lshrrev_b32_e32 v15, 20, v15
	s_delay_alu instid0(VALU_DEP_2) | instskip(SKIP_2) | instid1(VALU_DEP_2)
	v_cmp_gt_i32_e32 vcc_lo, 16, v14
	v_lshrrev_b32_e32 v10, 24, v10
	v_min_i32_e32 v16, 15, v14
	v_dual_cndmask_b32 v15, 7, v15 :: v_dual_and_b32 v10, 0x80, v10
	s_delay_alu instid0(VALU_DEP_1) | instskip(SKIP_1) | instid1(VALU_DEP_2)
	v_or_b32_e32 v14, v14, v15
	v_and_b32_e32 v17, 7, v15
	v_cmp_ne_u32_e32 vcc_lo, 0, v14
	v_lshlrev_b32_e32 v16, 3, v16
	s_delay_alu instid0(VALU_DEP_1) | instskip(NEXT) | instid1(VALU_DEP_1)
	v_or3_b32 v10, v16, v10, v17
	v_cndmask_b32_e32 v181, 0, v10, vcc_lo
.LBB6_582:                              ;   in Loop: Header=BB6_142 Depth=2
	s_or_b32 exec_lo, exec_lo, s27
.LBB6_583:                              ;   in Loop: Header=BB6_142 Depth=2
	s_delay_alu instid0(SALU_CYCLE_1) | instskip(SKIP_3) | instid1(VALU_DEP_1)
	s_or_b32 exec_lo, exec_lo, s26
	v_and_b32_e32 v14, 0xff, v11
	s_mov_b32 s11, 0
	s_mov_b32 s27, exec_lo
                                        ; implicit-def: $sgpr26
	v_cmpx_lt_i16_e32 0x7f, v14
	s_xor_b32 s27, exec_lo, s27
	s_cbranch_execnz .LBB6_2085
; %bb.584:                              ;   in Loop: Header=BB6_142 Depth=2
	s_or_saveexec_b32 s27, s27
	v_mov_b32_e32 v10, s26
	s_xor_b32 exec_lo, exec_lo, s27
	s_cbranch_execnz .LBB6_2088
.LBB6_585:                              ;   in Loop: Header=BB6_142 Depth=2
	s_or_b32 exec_lo, exec_lo, s27
	s_and_saveexec_b32 s26, s11
	s_cbranch_execz .LBB6_587
.LBB6_586:                              ;   in Loop: Header=BB6_142 Depth=2
	v_and_b32_e32 v10, 7, v11
	v_bfe_u32 v16, v11, 3, 4
	v_lshlrev_b32_e32 v17, 24, v11
	s_delay_alu instid0(VALU_DEP_3) | instskip(NEXT) | instid1(VALU_DEP_3)
	v_clz_i32_u32_e32 v14, v10
	v_cmp_eq_u32_e32 vcc_lo, 0, v16
	s_delay_alu instid0(VALU_DEP_2) | instskip(NEXT) | instid1(VALU_DEP_1)
	v_min_u32_e32 v14, 32, v14
	v_subrev_nc_u32_e32 v15, 28, v14
	v_sub_nc_u32_e32 v14, 29, v14
	s_delay_alu instid0(VALU_DEP_1) | instskip(NEXT) | instid1(VALU_DEP_1)
	v_dual_cndmask_b32 v14, v16, v14 :: v_dual_lshlrev_b32 v15, v15, v11
	v_and_b32_e32 v15, 7, v15
	s_delay_alu instid0(VALU_DEP_2) | instskip(NEXT) | instid1(VALU_DEP_2)
	v_lshl_add_u32 v14, v14, 23, 0x3b800000
	v_dual_cndmask_b32 v10, v10, v15 :: v_dual_and_b32 v15, 0x80000000, v17
	s_delay_alu instid0(VALU_DEP_1) | instskip(NEXT) | instid1(VALU_DEP_1)
	v_lshlrev_b32_e32 v10, 20, v10
	v_or3_b32 v10, v15, v14, v10
.LBB6_587:                              ;   in Loop: Header=BB6_142 Depth=2
	s_or_b32 exec_lo, exec_lo, s26
	s_delay_alu instid0(VALU_DEP_1) | instskip(SKIP_2) | instid1(VALU_DEP_2)
	v_mul_f32_e32 v10, s25, v10
	v_mov_b32_e32 v180, 0x80
	s_mov_b32 s26, exec_lo
	v_and_b32_e32 v14, 0x7f800000, v10
	s_delay_alu instid0(VALU_DEP_1)
	v_cmpx_ne_u32_e32 0x7f800000, v14
	s_cbranch_execz .LBB6_595
; %bb.588:                              ;   in Loop: Header=BB6_142 Depth=2
	v_mov_b32_e32 v180, 0
	s_mov_b32 s27, exec_lo
	v_cmpx_ne_u32_e32 0, v10
	s_cbranch_execz .LBB6_594
; %bb.589:                              ;   in Loop: Header=BB6_142 Depth=2
	v_bfe_u32 v14, v10, 23, 8
	s_delay_alu instid0(VALU_DEP_1) | instskip(SKIP_1) | instid1(VALU_DEP_2)
	v_sub_nc_u32_e32 v16, 0x78, v14
	v_cmp_gt_u32_e32 vcc_lo, 0x79, v14
	v_dual_cndmask_b32 v16, 0, v16 :: v_dual_and_b32 v15, 0x7fffff, v10
	s_delay_alu instid0(VALU_DEP_1) | instskip(SKIP_2) | instid1(VALU_DEP_4)
	v_or_b32_e32 v17, 0x800000, v15
	v_cmp_eq_u32_e32 vcc_lo, 0, v14
	v_add_nc_u32_e32 v14, 0xffffff89, v14
	v_cndmask_b32_e64 v16, v16, 0x77, vcc_lo
	s_delay_alu instid0(VALU_DEP_4) | instskip(NEXT) | instid1(VALU_DEP_3)
	v_cndmask_b32_e32 v15, v17, v15, vcc_lo
	v_cndmask_b32_e64 v14, v14, 0xffffff8a, vcc_lo
	s_delay_alu instid0(VALU_DEP_3) | instskip(NEXT) | instid1(VALU_DEP_3)
	v_lshl_add_u32 v17, 0x100000, v16, -1
	v_lshrrev_b32_e32 v18, v16, v15
	v_lshlrev_b32_e64 v20, v16, 0x80000
	s_delay_alu instid0(VALU_DEP_4) | instskip(NEXT) | instid1(VALU_DEP_4)
	v_add_nc_u32_e32 v16, v16, v14
	v_and_b32_e32 v15, v17, v15
	s_delay_alu instid0(VALU_DEP_4) | instskip(NEXT) | instid1(VALU_DEP_2)
	v_bfe_u32 v19, v18, 20, 1
	v_cmp_eq_u32_e64 s11, v15, v20
	s_delay_alu instid0(VALU_DEP_2) | instskip(NEXT) | instid1(VALU_DEP_1)
	v_add_nc_u32_e32 v17, -1, v19
	v_cndmask_b32_e64 v15, 0, v17, s11
	v_lshrrev_b32_e32 v17, 23, v18
	s_mov_b32 s11, exec_lo
	s_delay_alu instid0(VALU_DEP_2) | instskip(NEXT) | instid1(VALU_DEP_2)
	v_add_nc_u32_e32 v15, v15, v18
	v_xor_b32_e32 v17, 1, v17
	s_delay_alu instid0(VALU_DEP_2) | instskip(NEXT) | instid1(VALU_DEP_1)
	v_and_b32_e32 v14, 0xfffff, v15
	v_add_nc_u32_e32 v15, v14, v18
                                        ; implicit-def: $vgpr14
	s_delay_alu instid0(VALU_DEP_3)
	v_cmpx_ne_u32_e64 v16, v17
	s_xor_b32 s11, exec_lo, s11
; %bb.590:                              ;   in Loop: Header=BB6_142 Depth=2
	s_delay_alu instid0(VALU_DEP_2) | instskip(SKIP_2) | instid1(VALU_DEP_2)
	v_cmp_lt_u32_e32 vcc_lo, 0xffffff, v15
	v_sub_nc_u32_e32 v14, v16, v17
	v_cndmask_b32_e64 v16, 0, 1, vcc_lo
	v_add_co_ci_u32_e32 v14, vcc_lo, 0, v14, vcc_lo
	s_delay_alu instid0(VALU_DEP_2)
	v_lshrrev_b32_e32 v15, v16, v15
; %bb.591:                              ;   in Loop: Header=BB6_142 Depth=2
	s_and_not1_saveexec_b32 s11, s11
; %bb.592:                              ;   in Loop: Header=BB6_142 Depth=2
	s_delay_alu instid0(VALU_DEP_1)
	v_bfe_u32 v14, v15, 23, 1
; %bb.593:                              ;   in Loop: Header=BB6_142 Depth=2
	s_or_b32 exec_lo, exec_lo, s11
	v_lshrrev_b32_e32 v15, 20, v15
	s_delay_alu instid0(VALU_DEP_2) | instskip(SKIP_2) | instid1(VALU_DEP_2)
	v_cmp_gt_i32_e32 vcc_lo, 16, v14
	v_min_i32_e32 v16, 15, v14
	v_lshrrev_b32_e32 v10, 24, v10
	v_dual_cndmask_b32 v15, 7, v15 :: v_dual_lshlrev_b32 v16, 3, v16
	s_delay_alu instid0(VALU_DEP_2) | instskip(NEXT) | instid1(VALU_DEP_2)
	v_and_b32_e32 v10, 0x80, v10
	v_or_b32_e32 v14, v14, v15
	s_delay_alu instid0(VALU_DEP_3) | instskip(NEXT) | instid1(VALU_DEP_2)
	v_and_b32_e32 v16, 0xf8, v16
	v_cmp_ne_u32_e32 vcc_lo, 0, v14
	v_and_b32_e32 v17, 7, v15
	s_delay_alu instid0(VALU_DEP_1) | instskip(NEXT) | instid1(VALU_DEP_1)
	v_or3_b32 v10, v16, v10, v17
	v_cndmask_b32_e32 v180, 0, v10, vcc_lo
.LBB6_594:                              ;   in Loop: Header=BB6_142 Depth=2
	s_or_b32 exec_lo, exec_lo, s27
.LBB6_595:                              ;   in Loop: Header=BB6_142 Depth=2
	s_delay_alu instid0(SALU_CYCLE_1) | instskip(SKIP_3) | instid1(VALU_DEP_1)
	s_or_b32 exec_lo, exec_lo, s26
	v_lshrrev_b16 v10, 8, v11
	s_mov_b32 s11, 0
	s_mov_b32 s27, exec_lo
                                        ; implicit-def: $sgpr26
	v_cmpx_lt_i16_e32 0x7f, v10
	s_xor_b32 s27, exec_lo, s27
	s_cbranch_execnz .LBB6_2089
; %bb.596:                              ;   in Loop: Header=BB6_142 Depth=2
	s_or_saveexec_b32 s27, s27
	v_mov_b32_e32 v14, s26
	s_xor_b32 exec_lo, exec_lo, s27
	s_cbranch_execnz .LBB6_2092
.LBB6_597:                              ;   in Loop: Header=BB6_142 Depth=2
	s_or_b32 exec_lo, exec_lo, s27
	s_and_saveexec_b32 s26, s11
	s_cbranch_execz .LBB6_599
.LBB6_598:                              ;   in Loop: Header=BB6_142 Depth=2
	v_and_b32_e32 v14, 0xffff, v10
	v_lshlrev_b32_e32 v10, 24, v10
	s_delay_alu instid0(VALU_DEP_2) | instskip(NEXT) | instid1(VALU_DEP_2)
	v_and_b32_e32 v15, 7, v14
	v_and_b32_e32 v10, 0x80000000, v10
	s_delay_alu instid0(VALU_DEP_2) | instskip(NEXT) | instid1(VALU_DEP_1)
	v_clz_i32_u32_e32 v16, v15
	v_min_u32_e32 v16, 32, v16
	s_delay_alu instid0(VALU_DEP_1) | instskip(SKIP_1) | instid1(VALU_DEP_2)
	v_subrev_nc_u32_e32 v17, 28, v16
	v_sub_nc_u32_e32 v16, 29, v16
	v_lshlrev_b32_e32 v17, v17, v14
	v_bfe_u32 v14, v14, 3, 4
	s_delay_alu instid0(VALU_DEP_2) | instskip(NEXT) | instid1(VALU_DEP_2)
	v_and_b32_e32 v17, 7, v17
	v_cmp_eq_u32_e32 vcc_lo, 0, v14
	s_delay_alu instid0(VALU_DEP_2) | instskip(NEXT) | instid1(VALU_DEP_1)
	v_dual_cndmask_b32 v14, v14, v16 :: v_dual_cndmask_b32 v15, v15, v17
	v_lshl_add_u32 v14, v14, 23, 0x3b800000
	s_delay_alu instid0(VALU_DEP_2) | instskip(NEXT) | instid1(VALU_DEP_1)
	v_lshlrev_b32_e32 v15, 20, v15
	v_or3_b32 v14, v10, v14, v15
.LBB6_599:                              ;   in Loop: Header=BB6_142 Depth=2
	s_or_b32 exec_lo, exec_lo, s26
	s_delay_alu instid0(VALU_DEP_1) | instskip(SKIP_2) | instid1(VALU_DEP_2)
	v_mul_f32_e32 v10, s25, v14
	v_mov_b32_e32 v42, 0x8000
	s_mov_b32 s26, exec_lo
	v_and_b32_e32 v14, 0x7f800000, v10
	s_delay_alu instid0(VALU_DEP_1)
	v_cmpx_ne_u32_e32 0x7f800000, v14
	s_cbranch_execz .LBB6_607
; %bb.600:                              ;   in Loop: Header=BB6_142 Depth=2
	v_mov_b32_e32 v42, 0
	s_mov_b32 s27, exec_lo
	v_cmpx_ne_u32_e32 0, v10
	s_cbranch_execz .LBB6_606
; %bb.601:                              ;   in Loop: Header=BB6_142 Depth=2
	v_bfe_u32 v14, v10, 23, 8
	s_delay_alu instid0(VALU_DEP_1) | instskip(SKIP_1) | instid1(VALU_DEP_2)
	v_sub_nc_u32_e32 v16, 0x78, v14
	v_cmp_gt_u32_e32 vcc_lo, 0x79, v14
	v_dual_cndmask_b32 v16, 0, v16 :: v_dual_and_b32 v15, 0x7fffff, v10
	s_delay_alu instid0(VALU_DEP_1) | instskip(SKIP_2) | instid1(VALU_DEP_4)
	v_or_b32_e32 v17, 0x800000, v15
	v_cmp_eq_u32_e32 vcc_lo, 0, v14
	v_add_nc_u32_e32 v14, 0xffffff89, v14
	v_cndmask_b32_e64 v16, v16, 0x77, vcc_lo
	s_delay_alu instid0(VALU_DEP_4) | instskip(NEXT) | instid1(VALU_DEP_3)
	v_cndmask_b32_e32 v15, v17, v15, vcc_lo
	v_cndmask_b32_e64 v14, v14, 0xffffff8a, vcc_lo
	s_delay_alu instid0(VALU_DEP_3) | instskip(NEXT) | instid1(VALU_DEP_3)
	v_lshl_add_u32 v17, 0x100000, v16, -1
	v_lshrrev_b32_e32 v18, v16, v15
	v_lshlrev_b32_e64 v20, v16, 0x80000
	s_delay_alu instid0(VALU_DEP_4) | instskip(NEXT) | instid1(VALU_DEP_4)
	v_add_nc_u32_e32 v16, v16, v14
	v_and_b32_e32 v15, v17, v15
	s_delay_alu instid0(VALU_DEP_4) | instskip(NEXT) | instid1(VALU_DEP_2)
	v_bfe_u32 v19, v18, 20, 1
	v_cmp_eq_u32_e64 s11, v15, v20
	s_delay_alu instid0(VALU_DEP_2) | instskip(NEXT) | instid1(VALU_DEP_1)
	v_add_nc_u32_e32 v17, -1, v19
	v_cndmask_b32_e64 v15, 0, v17, s11
	v_lshrrev_b32_e32 v17, 23, v18
	s_mov_b32 s11, exec_lo
	s_delay_alu instid0(VALU_DEP_2) | instskip(NEXT) | instid1(VALU_DEP_2)
	v_add_nc_u32_e32 v15, v15, v18
	v_xor_b32_e32 v17, 1, v17
	s_delay_alu instid0(VALU_DEP_2) | instskip(NEXT) | instid1(VALU_DEP_1)
	v_and_b32_e32 v14, 0xfffff, v15
	v_add_nc_u32_e32 v15, v14, v18
                                        ; implicit-def: $vgpr14
	s_delay_alu instid0(VALU_DEP_3)
	v_cmpx_ne_u32_e64 v16, v17
	s_xor_b32 s11, exec_lo, s11
; %bb.602:                              ;   in Loop: Header=BB6_142 Depth=2
	s_delay_alu instid0(VALU_DEP_2) | instskip(SKIP_2) | instid1(VALU_DEP_2)
	v_cmp_lt_u32_e32 vcc_lo, 0xffffff, v15
	v_sub_nc_u32_e32 v14, v16, v17
	v_cndmask_b32_e64 v16, 0, 1, vcc_lo
	v_add_co_ci_u32_e32 v14, vcc_lo, 0, v14, vcc_lo
	s_delay_alu instid0(VALU_DEP_2)
	v_lshrrev_b32_e32 v15, v16, v15
; %bb.603:                              ;   in Loop: Header=BB6_142 Depth=2
	s_and_not1_saveexec_b32 s11, s11
; %bb.604:                              ;   in Loop: Header=BB6_142 Depth=2
	s_delay_alu instid0(VALU_DEP_1)
	v_bfe_u32 v14, v15, 23, 1
; %bb.605:                              ;   in Loop: Header=BB6_142 Depth=2
	s_or_b32 exec_lo, exec_lo, s11
	v_lshrrev_b32_e32 v15, 20, v15
	s_delay_alu instid0(VALU_DEP_2) | instskip(SKIP_2) | instid1(VALU_DEP_2)
	v_cmp_gt_i32_e32 vcc_lo, 16, v14
	v_min_i32_e32 v16, 15, v14
	v_lshrrev_b32_e32 v10, 24, v10
	v_dual_cndmask_b32 v15, 7, v15 :: v_dual_lshlrev_b32 v16, 3, v16
	s_delay_alu instid0(VALU_DEP_2) | instskip(NEXT) | instid1(VALU_DEP_2)
	v_and_b32_e32 v10, 0x80, v10
	v_or_b32_e32 v14, v14, v15
	s_delay_alu instid0(VALU_DEP_3) | instskip(NEXT) | instid1(VALU_DEP_2)
	v_and_b32_e32 v16, 0xf8, v16
	v_cmp_ne_u32_e32 vcc_lo, 0, v14
	v_and_b32_e32 v17, 7, v15
	s_delay_alu instid0(VALU_DEP_1) | instskip(NEXT) | instid1(VALU_DEP_1)
	v_or3_b32 v10, v10, v16, v17
	v_lshlrev_b32_e32 v10, 8, v10
	s_delay_alu instid0(VALU_DEP_1)
	v_cndmask_b32_e32 v42, 0, v10, vcc_lo
.LBB6_606:                              ;   in Loop: Header=BB6_142 Depth=2
	s_or_b32 exec_lo, exec_lo, s27
.LBB6_607:                              ;   in Loop: Header=BB6_142 Depth=2
	s_delay_alu instid0(SALU_CYCLE_1) | instskip(SKIP_3) | instid1(VALU_DEP_1)
	s_or_b32 exec_lo, exec_lo, s26
	v_lshrrev_b32_e32 v10, 16, v11
	s_mov_b32 s11, 0
	s_mov_b32 s27, exec_lo
                                        ; implicit-def: $sgpr26
	v_and_b32_e32 v15, 0xff, v10
	s_delay_alu instid0(VALU_DEP_1)
	v_cmpx_lt_i16_e32 0x7f, v15
	s_xor_b32 s27, exec_lo, s27
	s_cbranch_execnz .LBB6_2093
; %bb.608:                              ;   in Loop: Header=BB6_142 Depth=2
	s_or_saveexec_b32 s27, s27
	v_mov_b32_e32 v14, s26
	s_xor_b32 exec_lo, exec_lo, s27
	s_cbranch_execnz .LBB6_2096
.LBB6_609:                              ;   in Loop: Header=BB6_142 Depth=2
	s_or_b32 exec_lo, exec_lo, s27
	s_and_saveexec_b32 s26, s11
	s_cbranch_execz .LBB6_611
.LBB6_610:                              ;   in Loop: Header=BB6_142 Depth=2
	v_bfe_u32 v14, v11, 16, 3
	s_delay_alu instid0(VALU_DEP_1) | instskip(NEXT) | instid1(VALU_DEP_1)
	v_clz_i32_u32_e32 v15, v14
	v_min_u32_e32 v15, 32, v15
	s_delay_alu instid0(VALU_DEP_1) | instskip(SKIP_1) | instid1(VALU_DEP_2)
	v_subrev_nc_u32_e32 v16, 28, v15
	v_sub_nc_u32_e32 v15, 29, v15
	v_lshlrev_b32_e32 v10, v16, v10
	v_bfe_u32 v16, v11, 19, 4
	s_delay_alu instid0(VALU_DEP_1) | instskip(NEXT) | instid1(VALU_DEP_3)
	v_cmp_eq_u32_e32 vcc_lo, 0, v16
	v_dual_cndmask_b32 v15, v16, v15 :: v_dual_and_b32 v10, 7, v10
	s_delay_alu instid0(VALU_DEP_1) | instskip(NEXT) | instid1(VALU_DEP_2)
	v_dual_cndmask_b32 v10, v14, v10 :: v_dual_lshlrev_b32 v17, 8, v11
	v_lshl_add_u32 v15, v15, 23, 0x3b800000
	s_delay_alu instid0(VALU_DEP_2) | instskip(NEXT) | instid1(VALU_DEP_3)
	v_and_b32_e32 v14, 0x80000000, v17
	v_lshlrev_b32_e32 v10, 20, v10
	s_delay_alu instid0(VALU_DEP_1)
	v_or3_b32 v14, v14, v15, v10
.LBB6_611:                              ;   in Loop: Header=BB6_142 Depth=2
	s_or_b32 exec_lo, exec_lo, s26
	s_delay_alu instid0(VALU_DEP_1) | instskip(SKIP_2) | instid1(VALU_DEP_2)
	v_mul_f32_e32 v10, s25, v14
	v_mov_b32_e32 v178, 0x80
	s_mov_b32 s26, exec_lo
	v_and_b32_e32 v14, 0x7f800000, v10
	s_delay_alu instid0(VALU_DEP_1)
	v_cmpx_ne_u32_e32 0x7f800000, v14
	s_cbranch_execz .LBB6_619
; %bb.612:                              ;   in Loop: Header=BB6_142 Depth=2
	v_mov_b32_e32 v178, 0
	s_mov_b32 s27, exec_lo
	v_cmpx_ne_u32_e32 0, v10
	s_cbranch_execz .LBB6_618
; %bb.613:                              ;   in Loop: Header=BB6_142 Depth=2
	v_bfe_u32 v14, v10, 23, 8
	s_delay_alu instid0(VALU_DEP_1) | instskip(SKIP_1) | instid1(VALU_DEP_2)
	v_sub_nc_u32_e32 v16, 0x78, v14
	v_cmp_gt_u32_e32 vcc_lo, 0x79, v14
	v_dual_cndmask_b32 v16, 0, v16 :: v_dual_and_b32 v15, 0x7fffff, v10
	s_delay_alu instid0(VALU_DEP_1) | instskip(SKIP_2) | instid1(VALU_DEP_4)
	v_or_b32_e32 v17, 0x800000, v15
	v_cmp_eq_u32_e32 vcc_lo, 0, v14
	v_add_nc_u32_e32 v14, 0xffffff89, v14
	v_cndmask_b32_e64 v16, v16, 0x77, vcc_lo
	s_delay_alu instid0(VALU_DEP_4) | instskip(NEXT) | instid1(VALU_DEP_3)
	v_cndmask_b32_e32 v15, v17, v15, vcc_lo
	v_cndmask_b32_e64 v14, v14, 0xffffff8a, vcc_lo
	s_delay_alu instid0(VALU_DEP_3) | instskip(NEXT) | instid1(VALU_DEP_3)
	v_lshl_add_u32 v17, 0x100000, v16, -1
	v_lshrrev_b32_e32 v18, v16, v15
	v_lshlrev_b32_e64 v20, v16, 0x80000
	s_delay_alu instid0(VALU_DEP_4) | instskip(NEXT) | instid1(VALU_DEP_4)
	v_add_nc_u32_e32 v16, v16, v14
	v_and_b32_e32 v15, v17, v15
	s_delay_alu instid0(VALU_DEP_4) | instskip(NEXT) | instid1(VALU_DEP_2)
	v_bfe_u32 v19, v18, 20, 1
	v_cmp_eq_u32_e64 s11, v15, v20
	s_delay_alu instid0(VALU_DEP_2) | instskip(NEXT) | instid1(VALU_DEP_1)
	v_add_nc_u32_e32 v17, -1, v19
	v_cndmask_b32_e64 v15, 0, v17, s11
	v_lshrrev_b32_e32 v17, 23, v18
	s_mov_b32 s11, exec_lo
	s_delay_alu instid0(VALU_DEP_2) | instskip(NEXT) | instid1(VALU_DEP_2)
	v_add_nc_u32_e32 v15, v15, v18
	v_xor_b32_e32 v17, 1, v17
	s_delay_alu instid0(VALU_DEP_2) | instskip(NEXT) | instid1(VALU_DEP_1)
	v_and_b32_e32 v14, 0xfffff, v15
	v_add_nc_u32_e32 v15, v14, v18
                                        ; implicit-def: $vgpr14
	s_delay_alu instid0(VALU_DEP_3)
	v_cmpx_ne_u32_e64 v16, v17
	s_xor_b32 s11, exec_lo, s11
; %bb.614:                              ;   in Loop: Header=BB6_142 Depth=2
	s_delay_alu instid0(VALU_DEP_2) | instskip(SKIP_2) | instid1(VALU_DEP_2)
	v_cmp_lt_u32_e32 vcc_lo, 0xffffff, v15
	v_sub_nc_u32_e32 v14, v16, v17
	v_cndmask_b32_e64 v16, 0, 1, vcc_lo
	v_add_co_ci_u32_e32 v14, vcc_lo, 0, v14, vcc_lo
	s_delay_alu instid0(VALU_DEP_2)
	v_lshrrev_b32_e32 v15, v16, v15
; %bb.615:                              ;   in Loop: Header=BB6_142 Depth=2
	s_and_not1_saveexec_b32 s11, s11
; %bb.616:                              ;   in Loop: Header=BB6_142 Depth=2
	s_delay_alu instid0(VALU_DEP_1)
	v_bfe_u32 v14, v15, 23, 1
; %bb.617:                              ;   in Loop: Header=BB6_142 Depth=2
	s_or_b32 exec_lo, exec_lo, s11
	v_lshrrev_b32_e32 v15, 20, v15
	s_delay_alu instid0(VALU_DEP_2) | instskip(SKIP_2) | instid1(VALU_DEP_2)
	v_cmp_gt_i32_e32 vcc_lo, 16, v14
	v_min_i32_e32 v16, 15, v14
	v_lshrrev_b32_e32 v10, 24, v10
	v_dual_cndmask_b32 v15, 7, v15 :: v_dual_lshlrev_b32 v16, 3, v16
	s_delay_alu instid0(VALU_DEP_2) | instskip(NEXT) | instid1(VALU_DEP_2)
	v_and_b32_e32 v10, 0x80, v10
	v_or_b32_e32 v14, v14, v15
	s_delay_alu instid0(VALU_DEP_3) | instskip(NEXT) | instid1(VALU_DEP_2)
	v_and_b32_e32 v16, 0xf8, v16
	v_cmp_ne_u32_e32 vcc_lo, 0, v14
	v_and_b32_e32 v17, 7, v15
	s_delay_alu instid0(VALU_DEP_1) | instskip(NEXT) | instid1(VALU_DEP_1)
	v_or3_b32 v10, v16, v10, v17
	v_cndmask_b32_e32 v178, 0, v10, vcc_lo
.LBB6_618:                              ;   in Loop: Header=BB6_142 Depth=2
	s_or_b32 exec_lo, exec_lo, s27
.LBB6_619:                              ;   in Loop: Header=BB6_142 Depth=2
	s_delay_alu instid0(SALU_CYCLE_1) | instskip(SKIP_3) | instid1(VALU_DEP_1)
	s_or_b32 exec_lo, exec_lo, s26
	v_lshrrev_b32_e32 v10, 24, v11
	s_mov_b32 s11, 0
	s_mov_b32 s27, exec_lo
                                        ; implicit-def: $sgpr26
	v_cmpx_lt_i16_e32 0x7f, v10
	s_xor_b32 s27, exec_lo, s27
	s_cbranch_execnz .LBB6_2097
; %bb.620:                              ;   in Loop: Header=BB6_142 Depth=2
	s_or_saveexec_b32 s27, s27
	v_mov_b32_e32 v14, s26
	s_xor_b32 exec_lo, exec_lo, s27
	s_cbranch_execnz .LBB6_2100
.LBB6_621:                              ;   in Loop: Header=BB6_142 Depth=2
	s_or_b32 exec_lo, exec_lo, s27
	s_and_saveexec_b32 s26, s11
	s_cbranch_execz .LBB6_623
.LBB6_622:                              ;   in Loop: Header=BB6_142 Depth=2
	v_bfe_u32 v14, v11, 24, 3
	s_delay_alu instid0(VALU_DEP_1) | instskip(NEXT) | instid1(VALU_DEP_1)
	v_clz_i32_u32_e32 v15, v14
	v_min_u32_e32 v15, 32, v15
	s_delay_alu instid0(VALU_DEP_1) | instskip(SKIP_1) | instid1(VALU_DEP_2)
	v_subrev_nc_u32_e32 v16, 28, v15
	v_sub_nc_u32_e32 v15, 29, v15
	v_lshlrev_b32_e32 v10, v16, v10
	v_bfe_u32 v16, v11, 27, 4
	v_and_b32_e32 v11, 0x80000000, v11
	s_delay_alu instid0(VALU_DEP_2) | instskip(NEXT) | instid1(VALU_DEP_4)
	v_cmp_eq_u32_e32 vcc_lo, 0, v16
	v_dual_cndmask_b32 v15, v16, v15 :: v_dual_and_b32 v10, 7, v10
	s_delay_alu instid0(VALU_DEP_1) | instskip(NEXT) | instid1(VALU_DEP_2)
	v_cndmask_b32_e32 v10, v14, v10, vcc_lo
	v_lshl_add_u32 v14, v15, 23, 0x3b800000
	s_delay_alu instid0(VALU_DEP_2) | instskip(NEXT) | instid1(VALU_DEP_1)
	v_lshlrev_b32_e32 v10, 20, v10
	v_or3_b32 v14, v11, v14, v10
.LBB6_623:                              ;   in Loop: Header=BB6_142 Depth=2
	s_or_b32 exec_lo, exec_lo, s26
	s_delay_alu instid0(VALU_DEP_1) | instskip(SKIP_2) | instid1(VALU_DEP_2)
	v_mul_f32_e32 v10, s25, v14
	v_mov_b32_e32 v182, 0x8000
	s_mov_b32 s26, exec_lo
	v_and_b32_e32 v11, 0x7f800000, v10
	s_delay_alu instid0(VALU_DEP_1)
	v_cmpx_ne_u32_e32 0x7f800000, v11
	s_cbranch_execz .LBB6_631
; %bb.624:                              ;   in Loop: Header=BB6_142 Depth=2
	v_mov_b32_e32 v182, 0
	s_mov_b32 s27, exec_lo
	v_cmpx_ne_u32_e32 0, v10
	s_cbranch_execz .LBB6_630
; %bb.625:                              ;   in Loop: Header=BB6_142 Depth=2
	v_bfe_u32 v11, v10, 23, 8
	s_delay_alu instid0(VALU_DEP_1) | instskip(SKIP_1) | instid1(VALU_DEP_2)
	v_sub_nc_u32_e32 v15, 0x78, v11
	v_cmp_gt_u32_e32 vcc_lo, 0x79, v11
	v_dual_cndmask_b32 v15, 0, v15 :: v_dual_and_b32 v14, 0x7fffff, v10
	s_delay_alu instid0(VALU_DEP_1) | instskip(SKIP_2) | instid1(VALU_DEP_4)
	v_or_b32_e32 v16, 0x800000, v14
	v_cmp_eq_u32_e32 vcc_lo, 0, v11
	v_add_nc_u32_e32 v11, 0xffffff89, v11
	v_cndmask_b32_e64 v15, v15, 0x77, vcc_lo
	s_delay_alu instid0(VALU_DEP_4) | instskip(NEXT) | instid1(VALU_DEP_3)
	v_cndmask_b32_e32 v14, v16, v14, vcc_lo
	v_cndmask_b32_e64 v11, v11, 0xffffff8a, vcc_lo
	s_delay_alu instid0(VALU_DEP_3) | instskip(NEXT) | instid1(VALU_DEP_3)
	v_lshl_add_u32 v16, 0x100000, v15, -1
	v_lshrrev_b32_e32 v17, v15, v14
	v_lshlrev_b32_e64 v19, v15, 0x80000
	s_delay_alu instid0(VALU_DEP_4) | instskip(NEXT) | instid1(VALU_DEP_4)
	v_add_nc_u32_e32 v15, v15, v11
	v_and_b32_e32 v14, v16, v14
	s_delay_alu instid0(VALU_DEP_4) | instskip(NEXT) | instid1(VALU_DEP_2)
	v_bfe_u32 v18, v17, 20, 1
	v_cmp_eq_u32_e64 s11, v14, v19
	s_delay_alu instid0(VALU_DEP_2) | instskip(NEXT) | instid1(VALU_DEP_1)
	v_add_nc_u32_e32 v16, -1, v18
	v_cndmask_b32_e64 v14, 0, v16, s11
	v_lshrrev_b32_e32 v16, 23, v17
	s_mov_b32 s11, exec_lo
	s_delay_alu instid0(VALU_DEP_2) | instskip(NEXT) | instid1(VALU_DEP_2)
	v_add_nc_u32_e32 v14, v14, v17
	v_xor_b32_e32 v16, 1, v16
	s_delay_alu instid0(VALU_DEP_2) | instskip(NEXT) | instid1(VALU_DEP_1)
	v_and_b32_e32 v11, 0xfffff, v14
	v_add_nc_u32_e32 v14, v11, v17
                                        ; implicit-def: $vgpr11
	s_delay_alu instid0(VALU_DEP_3)
	v_cmpx_ne_u32_e64 v15, v16
	s_xor_b32 s11, exec_lo, s11
; %bb.626:                              ;   in Loop: Header=BB6_142 Depth=2
	s_delay_alu instid0(VALU_DEP_2) | instskip(SKIP_2) | instid1(VALU_DEP_2)
	v_cmp_lt_u32_e32 vcc_lo, 0xffffff, v14
	v_sub_nc_u32_e32 v11, v15, v16
	v_cndmask_b32_e64 v15, 0, 1, vcc_lo
	v_add_co_ci_u32_e32 v11, vcc_lo, 0, v11, vcc_lo
	s_delay_alu instid0(VALU_DEP_2)
	v_lshrrev_b32_e32 v14, v15, v14
; %bb.627:                              ;   in Loop: Header=BB6_142 Depth=2
	s_and_not1_saveexec_b32 s11, s11
; %bb.628:                              ;   in Loop: Header=BB6_142 Depth=2
	s_delay_alu instid0(VALU_DEP_1)
	v_bfe_u32 v11, v14, 23, 1
; %bb.629:                              ;   in Loop: Header=BB6_142 Depth=2
	s_or_b32 exec_lo, exec_lo, s11
	v_lshrrev_b32_e32 v14, 20, v14
	s_delay_alu instid0(VALU_DEP_2) | instskip(SKIP_2) | instid1(VALU_DEP_2)
	v_cmp_gt_i32_e32 vcc_lo, 16, v11
	v_min_i32_e32 v15, 15, v11
	v_lshrrev_b32_e32 v10, 24, v10
	v_dual_cndmask_b32 v14, 7, v14 :: v_dual_lshlrev_b32 v15, 3, v15
	s_delay_alu instid0(VALU_DEP_2) | instskip(NEXT) | instid1(VALU_DEP_2)
	v_and_b32_e32 v10, 0x80, v10
	v_or_b32_e32 v11, v11, v14
	v_and_b32_e32 v16, 7, v14
	s_delay_alu instid0(VALU_DEP_2) | instskip(SKIP_1) | instid1(VALU_DEP_1)
	v_cmp_ne_u32_e32 vcc_lo, 0, v11
	v_and_b32_e32 v15, 0xf8, v15
	v_or3_b32 v10, v10, v15, v16
	s_delay_alu instid0(VALU_DEP_1) | instskip(NEXT) | instid1(VALU_DEP_1)
	v_lshlrev_b32_e32 v10, 8, v10
	v_cndmask_b32_e32 v182, 0, v10, vcc_lo
.LBB6_630:                              ;   in Loop: Header=BB6_142 Depth=2
	s_or_b32 exec_lo, exec_lo, s27
.LBB6_631:                              ;   in Loop: Header=BB6_142 Depth=2
	s_delay_alu instid0(SALU_CYCLE_1) | instskip(SKIP_3) | instid1(VALU_DEP_1)
	s_or_b32 exec_lo, exec_lo, s26
	v_and_b32_e32 v11, 0xff, v12
	s_mov_b32 s11, 0
	s_mov_b32 s27, exec_lo
                                        ; implicit-def: $sgpr26
	v_cmpx_lt_i16_e32 0x7f, v11
	s_xor_b32 s27, exec_lo, s27
	s_cbranch_execnz .LBB6_2101
; %bb.632:                              ;   in Loop: Header=BB6_142 Depth=2
	s_or_saveexec_b32 s27, s27
	v_mov_b32_e32 v10, s26
	s_xor_b32 exec_lo, exec_lo, s27
	s_cbranch_execnz .LBB6_2104
.LBB6_633:                              ;   in Loop: Header=BB6_142 Depth=2
	s_or_b32 exec_lo, exec_lo, s27
	s_and_saveexec_b32 s26, s11
	s_cbranch_execz .LBB6_635
.LBB6_634:                              ;   in Loop: Header=BB6_142 Depth=2
	v_bfe_u32 v15, v12, 3, 4
	v_lshlrev_b32_e32 v16, 24, v12
	s_delay_alu instid0(VALU_DEP_2) | instskip(SKIP_1) | instid1(VALU_DEP_1)
	v_cmp_eq_u32_e32 vcc_lo, 0, v15
	v_and_b32_e32 v10, 7, v12
	v_clz_i32_u32_e32 v11, v10
	s_delay_alu instid0(VALU_DEP_1) | instskip(NEXT) | instid1(VALU_DEP_1)
	v_min_u32_e32 v11, 32, v11
	v_subrev_nc_u32_e32 v14, 28, v11
	v_sub_nc_u32_e32 v11, 29, v11
	s_delay_alu instid0(VALU_DEP_1) | instskip(NEXT) | instid1(VALU_DEP_1)
	v_dual_cndmask_b32 v11, v15, v11 :: v_dual_lshlrev_b32 v14, v14, v12
	v_and_b32_e32 v14, 7, v14
	s_delay_alu instid0(VALU_DEP_2) | instskip(NEXT) | instid1(VALU_DEP_2)
	v_lshl_add_u32 v11, v11, 23, 0x3b800000
	v_cndmask_b32_e32 v10, v10, v14, vcc_lo
	v_and_b32_e32 v14, 0x80000000, v16
	s_delay_alu instid0(VALU_DEP_2) | instskip(NEXT) | instid1(VALU_DEP_1)
	v_lshlrev_b32_e32 v10, 20, v10
	v_or3_b32 v10, v14, v11, v10
.LBB6_635:                              ;   in Loop: Header=BB6_142 Depth=2
	s_or_b32 exec_lo, exec_lo, s26
	s_delay_alu instid0(VALU_DEP_1) | instskip(SKIP_1) | instid1(VALU_DEP_1)
	v_dual_mul_f32 v10, s25, v10 :: v_dual_mov_b32 v177, 0x80
	s_mov_b32 s26, exec_lo
	v_and_b32_e32 v11, 0x7f800000, v10
	s_delay_alu instid0(VALU_DEP_1)
	v_cmpx_ne_u32_e32 0x7f800000, v11
	s_cbranch_execz .LBB6_643
; %bb.636:                              ;   in Loop: Header=BB6_142 Depth=2
	v_mov_b32_e32 v177, 0
	s_mov_b32 s27, exec_lo
	v_cmpx_ne_u32_e32 0, v10
	s_cbranch_execz .LBB6_642
; %bb.637:                              ;   in Loop: Header=BB6_142 Depth=2
	v_bfe_u32 v11, v10, 23, 8
	s_delay_alu instid0(VALU_DEP_1) | instskip(SKIP_1) | instid1(VALU_DEP_2)
	v_sub_nc_u32_e32 v15, 0x78, v11
	v_cmp_gt_u32_e32 vcc_lo, 0x79, v11
	v_dual_cndmask_b32 v15, 0, v15 :: v_dual_and_b32 v14, 0x7fffff, v10
	s_delay_alu instid0(VALU_DEP_1) | instskip(SKIP_2) | instid1(VALU_DEP_4)
	v_or_b32_e32 v16, 0x800000, v14
	v_cmp_eq_u32_e32 vcc_lo, 0, v11
	v_add_nc_u32_e32 v11, 0xffffff89, v11
	v_cndmask_b32_e64 v15, v15, 0x77, vcc_lo
	s_delay_alu instid0(VALU_DEP_4) | instskip(NEXT) | instid1(VALU_DEP_3)
	v_cndmask_b32_e32 v14, v16, v14, vcc_lo
	v_cndmask_b32_e64 v11, v11, 0xffffff8a, vcc_lo
	s_delay_alu instid0(VALU_DEP_3) | instskip(NEXT) | instid1(VALU_DEP_3)
	v_lshl_add_u32 v16, 0x100000, v15, -1
	v_lshrrev_b32_e32 v17, v15, v14
	v_lshlrev_b32_e64 v19, v15, 0x80000
	s_delay_alu instid0(VALU_DEP_4) | instskip(NEXT) | instid1(VALU_DEP_4)
	v_add_nc_u32_e32 v15, v15, v11
	v_and_b32_e32 v14, v16, v14
	s_delay_alu instid0(VALU_DEP_4) | instskip(NEXT) | instid1(VALU_DEP_2)
	v_bfe_u32 v18, v17, 20, 1
	v_cmp_eq_u32_e64 s11, v14, v19
	s_delay_alu instid0(VALU_DEP_2) | instskip(NEXT) | instid1(VALU_DEP_1)
	v_add_nc_u32_e32 v16, -1, v18
	v_cndmask_b32_e64 v14, 0, v16, s11
	v_lshrrev_b32_e32 v16, 23, v17
	s_mov_b32 s11, exec_lo
	s_delay_alu instid0(VALU_DEP_2) | instskip(NEXT) | instid1(VALU_DEP_2)
	v_add_nc_u32_e32 v14, v14, v17
	v_xor_b32_e32 v16, 1, v16
	s_delay_alu instid0(VALU_DEP_2) | instskip(NEXT) | instid1(VALU_DEP_1)
	v_and_b32_e32 v11, 0xfffff, v14
	v_add_nc_u32_e32 v14, v11, v17
                                        ; implicit-def: $vgpr11
	s_delay_alu instid0(VALU_DEP_3)
	v_cmpx_ne_u32_e64 v15, v16
	s_xor_b32 s11, exec_lo, s11
; %bb.638:                              ;   in Loop: Header=BB6_142 Depth=2
	s_delay_alu instid0(VALU_DEP_2) | instskip(SKIP_2) | instid1(VALU_DEP_2)
	v_cmp_lt_u32_e32 vcc_lo, 0xffffff, v14
	v_sub_nc_u32_e32 v11, v15, v16
	v_cndmask_b32_e64 v15, 0, 1, vcc_lo
	v_add_co_ci_u32_e32 v11, vcc_lo, 0, v11, vcc_lo
	s_delay_alu instid0(VALU_DEP_2)
	v_lshrrev_b32_e32 v14, v15, v14
; %bb.639:                              ;   in Loop: Header=BB6_142 Depth=2
	s_and_not1_saveexec_b32 s11, s11
; %bb.640:                              ;   in Loop: Header=BB6_142 Depth=2
	s_delay_alu instid0(VALU_DEP_1)
	v_bfe_u32 v11, v14, 23, 1
; %bb.641:                              ;   in Loop: Header=BB6_142 Depth=2
	s_or_b32 exec_lo, exec_lo, s11
	v_lshrrev_b32_e32 v14, 20, v14
	s_delay_alu instid0(VALU_DEP_2) | instskip(SKIP_2) | instid1(VALU_DEP_4)
	v_cmp_gt_i32_e32 vcc_lo, 16, v11
	v_lshrrev_b32_e32 v10, 24, v10
	v_min_i32_e32 v15, 15, v11
	v_cndmask_b32_e32 v14, 7, v14, vcc_lo
	s_delay_alu instid0(VALU_DEP_3) | instskip(NEXT) | instid1(VALU_DEP_3)
	v_and_b32_e32 v10, 0x80, v10
	v_lshlrev_b32_e32 v15, 3, v15
	s_delay_alu instid0(VALU_DEP_3) | instskip(SKIP_1) | instid1(VALU_DEP_2)
	v_and_b32_e32 v16, 7, v14
	v_or_b32_e32 v11, v11, v14
	v_or3_b32 v10, v15, v10, v16
	s_delay_alu instid0(VALU_DEP_2) | instskip(NEXT) | instid1(VALU_DEP_2)
	v_cmp_ne_u32_e32 vcc_lo, 0, v11
	v_cndmask_b32_e32 v177, 0, v10, vcc_lo
.LBB6_642:                              ;   in Loop: Header=BB6_142 Depth=2
	s_or_b32 exec_lo, exec_lo, s27
.LBB6_643:                              ;   in Loop: Header=BB6_142 Depth=2
	s_delay_alu instid0(SALU_CYCLE_1) | instskip(SKIP_3) | instid1(VALU_DEP_1)
	s_or_b32 exec_lo, exec_lo, s26
	v_lshrrev_b16 v10, 8, v12
	s_mov_b32 s11, 0
	s_mov_b32 s27, exec_lo
                                        ; implicit-def: $sgpr26
	v_cmpx_lt_i16_e32 0x7f, v10
	s_xor_b32 s27, exec_lo, s27
	s_cbranch_execnz .LBB6_2105
; %bb.644:                              ;   in Loop: Header=BB6_142 Depth=2
	s_or_saveexec_b32 s27, s27
	v_mov_b32_e32 v11, s26
	s_xor_b32 exec_lo, exec_lo, s27
	s_cbranch_execnz .LBB6_2108
.LBB6_645:                              ;   in Loop: Header=BB6_142 Depth=2
	s_or_b32 exec_lo, exec_lo, s27
	s_and_saveexec_b32 s26, s11
	s_cbranch_execz .LBB6_647
.LBB6_646:                              ;   in Loop: Header=BB6_142 Depth=2
	v_and_b32_e32 v11, 0xffff, v10
	v_lshlrev_b32_e32 v10, 24, v10
	s_delay_alu instid0(VALU_DEP_2) | instskip(NEXT) | instid1(VALU_DEP_2)
	v_and_b32_e32 v14, 7, v11
	v_and_b32_e32 v10, 0x80000000, v10
	s_delay_alu instid0(VALU_DEP_2) | instskip(NEXT) | instid1(VALU_DEP_1)
	v_clz_i32_u32_e32 v15, v14
	v_min_u32_e32 v15, 32, v15
	s_delay_alu instid0(VALU_DEP_1) | instskip(SKIP_1) | instid1(VALU_DEP_2)
	v_subrev_nc_u32_e32 v16, 28, v15
	v_sub_nc_u32_e32 v15, 29, v15
	v_lshlrev_b32_e32 v16, v16, v11
	v_bfe_u32 v11, v11, 3, 4
	s_delay_alu instid0(VALU_DEP_1) | instskip(NEXT) | instid1(VALU_DEP_3)
	v_cmp_eq_u32_e32 vcc_lo, 0, v11
	v_dual_cndmask_b32 v11, v11, v15 :: v_dual_and_b32 v16, 7, v16
	s_delay_alu instid0(VALU_DEP_1) | instskip(NEXT) | instid1(VALU_DEP_2)
	v_cndmask_b32_e32 v14, v14, v16, vcc_lo
	v_lshl_add_u32 v11, v11, 23, 0x3b800000
	s_delay_alu instid0(VALU_DEP_2) | instskip(NEXT) | instid1(VALU_DEP_1)
	v_lshlrev_b32_e32 v14, 20, v14
	v_or3_b32 v11, v10, v11, v14
.LBB6_647:                              ;   in Loop: Header=BB6_142 Depth=2
	s_or_b32 exec_lo, exec_lo, s26
	s_delay_alu instid0(VALU_DEP_1) | instskip(SKIP_1) | instid1(VALU_DEP_1)
	v_dual_mul_f32 v10, s25, v11 :: v_dual_mov_b32 v167, 0x80
	s_mov_b32 s26, exec_lo
	v_and_b32_e32 v11, 0x7f800000, v10
	s_delay_alu instid0(VALU_DEP_1)
	v_cmpx_ne_u32_e32 0x7f800000, v11
	s_cbranch_execz .LBB6_655
; %bb.648:                              ;   in Loop: Header=BB6_142 Depth=2
	v_mov_b32_e32 v167, 0
	s_mov_b32 s27, exec_lo
	v_cmpx_ne_u32_e32 0, v10
	s_cbranch_execz .LBB6_654
; %bb.649:                              ;   in Loop: Header=BB6_142 Depth=2
	v_bfe_u32 v11, v10, 23, 8
	s_delay_alu instid0(VALU_DEP_1) | instskip(SKIP_1) | instid1(VALU_DEP_2)
	v_sub_nc_u32_e32 v15, 0x78, v11
	v_cmp_gt_u32_e32 vcc_lo, 0x79, v11
	v_dual_cndmask_b32 v15, 0, v15 :: v_dual_and_b32 v14, 0x7fffff, v10
	s_delay_alu instid0(VALU_DEP_1) | instskip(SKIP_2) | instid1(VALU_DEP_4)
	v_or_b32_e32 v16, 0x800000, v14
	v_cmp_eq_u32_e32 vcc_lo, 0, v11
	v_add_nc_u32_e32 v11, 0xffffff89, v11
	v_cndmask_b32_e64 v15, v15, 0x77, vcc_lo
	s_delay_alu instid0(VALU_DEP_4) | instskip(NEXT) | instid1(VALU_DEP_3)
	v_cndmask_b32_e32 v14, v16, v14, vcc_lo
	v_cndmask_b32_e64 v11, v11, 0xffffff8a, vcc_lo
	s_delay_alu instid0(VALU_DEP_3) | instskip(NEXT) | instid1(VALU_DEP_3)
	v_lshl_add_u32 v16, 0x100000, v15, -1
	v_lshrrev_b32_e32 v17, v15, v14
	v_lshlrev_b32_e64 v19, v15, 0x80000
	s_delay_alu instid0(VALU_DEP_4) | instskip(NEXT) | instid1(VALU_DEP_4)
	v_add_nc_u32_e32 v15, v15, v11
	v_and_b32_e32 v14, v16, v14
	s_delay_alu instid0(VALU_DEP_4) | instskip(NEXT) | instid1(VALU_DEP_2)
	v_bfe_u32 v18, v17, 20, 1
	v_cmp_eq_u32_e64 s11, v14, v19
	s_delay_alu instid0(VALU_DEP_2) | instskip(NEXT) | instid1(VALU_DEP_1)
	v_add_nc_u32_e32 v16, -1, v18
	v_cndmask_b32_e64 v14, 0, v16, s11
	v_lshrrev_b32_e32 v16, 23, v17
	s_mov_b32 s11, exec_lo
	s_delay_alu instid0(VALU_DEP_2) | instskip(NEXT) | instid1(VALU_DEP_2)
	v_add_nc_u32_e32 v14, v14, v17
	v_xor_b32_e32 v16, 1, v16
	s_delay_alu instid0(VALU_DEP_2) | instskip(NEXT) | instid1(VALU_DEP_1)
	v_and_b32_e32 v11, 0xfffff, v14
	v_add_nc_u32_e32 v14, v11, v17
                                        ; implicit-def: $vgpr11
	s_delay_alu instid0(VALU_DEP_3)
	v_cmpx_ne_u32_e64 v15, v16
	s_xor_b32 s11, exec_lo, s11
; %bb.650:                              ;   in Loop: Header=BB6_142 Depth=2
	s_delay_alu instid0(VALU_DEP_2) | instskip(SKIP_2) | instid1(VALU_DEP_2)
	v_cmp_lt_u32_e32 vcc_lo, 0xffffff, v14
	v_sub_nc_u32_e32 v11, v15, v16
	v_cndmask_b32_e64 v15, 0, 1, vcc_lo
	v_add_co_ci_u32_e32 v11, vcc_lo, 0, v11, vcc_lo
	s_delay_alu instid0(VALU_DEP_2)
	v_lshrrev_b32_e32 v14, v15, v14
; %bb.651:                              ;   in Loop: Header=BB6_142 Depth=2
	s_and_not1_saveexec_b32 s11, s11
; %bb.652:                              ;   in Loop: Header=BB6_142 Depth=2
	s_delay_alu instid0(VALU_DEP_1)
	v_bfe_u32 v11, v14, 23, 1
; %bb.653:                              ;   in Loop: Header=BB6_142 Depth=2
	s_or_b32 exec_lo, exec_lo, s11
	v_lshrrev_b32_e32 v14, 20, v14
	s_delay_alu instid0(VALU_DEP_2) | instskip(SKIP_2) | instid1(VALU_DEP_4)
	v_cmp_gt_i32_e32 vcc_lo, 16, v11
	v_lshrrev_b32_e32 v10, 24, v10
	v_min_i32_e32 v15, 15, v11
	v_cndmask_b32_e32 v14, 7, v14, vcc_lo
	s_delay_alu instid0(VALU_DEP_3) | instskip(NEXT) | instid1(VALU_DEP_3)
	v_and_b32_e32 v10, 0x80, v10
	v_lshlrev_b32_e32 v15, 3, v15
	s_delay_alu instid0(VALU_DEP_3) | instskip(SKIP_1) | instid1(VALU_DEP_2)
	v_and_b32_e32 v16, 7, v14
	v_or_b32_e32 v11, v11, v14
	v_or3_b32 v10, v15, v10, v16
	s_delay_alu instid0(VALU_DEP_2) | instskip(NEXT) | instid1(VALU_DEP_2)
	v_cmp_ne_u32_e32 vcc_lo, 0, v11
	v_cndmask_b32_e32 v167, 0, v10, vcc_lo
.LBB6_654:                              ;   in Loop: Header=BB6_142 Depth=2
	s_or_b32 exec_lo, exec_lo, s27
.LBB6_655:                              ;   in Loop: Header=BB6_142 Depth=2
	s_delay_alu instid0(SALU_CYCLE_1) | instskip(SKIP_3) | instid1(VALU_DEP_1)
	s_or_b32 exec_lo, exec_lo, s26
	v_lshrrev_b32_e32 v10, 16, v12
	s_mov_b32 s11, 0
	s_mov_b32 s27, exec_lo
                                        ; implicit-def: $sgpr26
	v_and_b32_e32 v14, 0xff, v10
	s_delay_alu instid0(VALU_DEP_1)
	v_cmpx_lt_i16_e32 0x7f, v14
	s_xor_b32 s27, exec_lo, s27
	s_cbranch_execnz .LBB6_2109
; %bb.656:                              ;   in Loop: Header=BB6_142 Depth=2
	s_or_saveexec_b32 s27, s27
	v_mov_b32_e32 v11, s26
	s_xor_b32 exec_lo, exec_lo, s27
	s_cbranch_execnz .LBB6_2112
.LBB6_657:                              ;   in Loop: Header=BB6_142 Depth=2
	s_or_b32 exec_lo, exec_lo, s27
	s_and_saveexec_b32 s26, s11
	s_cbranch_execz .LBB6_659
.LBB6_658:                              ;   in Loop: Header=BB6_142 Depth=2
	v_bfe_u32 v11, v12, 16, 3
	v_lshlrev_b32_e32 v16, 8, v12
	s_delay_alu instid0(VALU_DEP_2) | instskip(NEXT) | instid1(VALU_DEP_1)
	v_clz_i32_u32_e32 v14, v11
	v_min_u32_e32 v14, 32, v14
	s_delay_alu instid0(VALU_DEP_1) | instskip(SKIP_1) | instid1(VALU_DEP_2)
	v_subrev_nc_u32_e32 v15, 28, v14
	v_sub_nc_u32_e32 v14, 29, v14
	v_lshlrev_b32_e32 v10, v15, v10
	v_bfe_u32 v15, v12, 19, 4
	s_delay_alu instid0(VALU_DEP_2) | instskip(NEXT) | instid1(VALU_DEP_2)
	v_and_b32_e32 v10, 7, v10
	v_cmp_eq_u32_e32 vcc_lo, 0, v15
	v_cndmask_b32_e32 v14, v15, v14, vcc_lo
	s_delay_alu instid0(VALU_DEP_3) | instskip(NEXT) | instid1(VALU_DEP_2)
	v_dual_cndmask_b32 v10, v11, v10 :: v_dual_and_b32 v11, 0x80000000, v16
	v_lshl_add_u32 v14, v14, 23, 0x3b800000
	s_delay_alu instid0(VALU_DEP_2) | instskip(NEXT) | instid1(VALU_DEP_1)
	v_lshlrev_b32_e32 v10, 20, v10
	v_or3_b32 v11, v11, v14, v10
.LBB6_659:                              ;   in Loop: Header=BB6_142 Depth=2
	s_or_b32 exec_lo, exec_lo, s26
	s_delay_alu instid0(VALU_DEP_1) | instskip(SKIP_2) | instid1(VALU_DEP_2)
	v_mul_f32_e32 v10, s25, v11
	v_mov_b32_e32 v166, 0x80
	s_mov_b32 s26, exec_lo
	v_and_b32_e32 v11, 0x7f800000, v10
	s_delay_alu instid0(VALU_DEP_1)
	v_cmpx_ne_u32_e32 0x7f800000, v11
	s_cbranch_execz .LBB6_667
; %bb.660:                              ;   in Loop: Header=BB6_142 Depth=2
	v_mov_b32_e32 v166, 0
	s_mov_b32 s27, exec_lo
	v_cmpx_ne_u32_e32 0, v10
	s_cbranch_execz .LBB6_666
; %bb.661:                              ;   in Loop: Header=BB6_142 Depth=2
	v_bfe_u32 v11, v10, 23, 8
	s_delay_alu instid0(VALU_DEP_1) | instskip(SKIP_1) | instid1(VALU_DEP_2)
	v_sub_nc_u32_e32 v15, 0x78, v11
	v_cmp_gt_u32_e32 vcc_lo, 0x79, v11
	v_dual_cndmask_b32 v15, 0, v15 :: v_dual_and_b32 v14, 0x7fffff, v10
	s_delay_alu instid0(VALU_DEP_1) | instskip(SKIP_2) | instid1(VALU_DEP_4)
	v_or_b32_e32 v16, 0x800000, v14
	v_cmp_eq_u32_e32 vcc_lo, 0, v11
	v_add_nc_u32_e32 v11, 0xffffff89, v11
	v_cndmask_b32_e64 v15, v15, 0x77, vcc_lo
	s_delay_alu instid0(VALU_DEP_4) | instskip(NEXT) | instid1(VALU_DEP_3)
	v_cndmask_b32_e32 v14, v16, v14, vcc_lo
	v_cndmask_b32_e64 v11, v11, 0xffffff8a, vcc_lo
	s_delay_alu instid0(VALU_DEP_3) | instskip(NEXT) | instid1(VALU_DEP_3)
	v_lshl_add_u32 v16, 0x100000, v15, -1
	v_lshrrev_b32_e32 v17, v15, v14
	v_lshlrev_b32_e64 v19, v15, 0x80000
	s_delay_alu instid0(VALU_DEP_4) | instskip(NEXT) | instid1(VALU_DEP_4)
	v_add_nc_u32_e32 v15, v15, v11
	v_and_b32_e32 v14, v16, v14
	s_delay_alu instid0(VALU_DEP_4) | instskip(NEXT) | instid1(VALU_DEP_2)
	v_bfe_u32 v18, v17, 20, 1
	v_cmp_eq_u32_e64 s11, v14, v19
	s_delay_alu instid0(VALU_DEP_2) | instskip(NEXT) | instid1(VALU_DEP_1)
	v_add_nc_u32_e32 v16, -1, v18
	v_cndmask_b32_e64 v14, 0, v16, s11
	v_lshrrev_b32_e32 v16, 23, v17
	s_mov_b32 s11, exec_lo
	s_delay_alu instid0(VALU_DEP_2) | instskip(NEXT) | instid1(VALU_DEP_2)
	v_add_nc_u32_e32 v14, v14, v17
	v_xor_b32_e32 v16, 1, v16
	s_delay_alu instid0(VALU_DEP_2) | instskip(NEXT) | instid1(VALU_DEP_1)
	v_and_b32_e32 v11, 0xfffff, v14
	v_add_nc_u32_e32 v14, v11, v17
                                        ; implicit-def: $vgpr11
	s_delay_alu instid0(VALU_DEP_3)
	v_cmpx_ne_u32_e64 v15, v16
	s_xor_b32 s11, exec_lo, s11
; %bb.662:                              ;   in Loop: Header=BB6_142 Depth=2
	s_delay_alu instid0(VALU_DEP_2) | instskip(SKIP_2) | instid1(VALU_DEP_2)
	v_cmp_lt_u32_e32 vcc_lo, 0xffffff, v14
	v_sub_nc_u32_e32 v11, v15, v16
	v_cndmask_b32_e64 v15, 0, 1, vcc_lo
	v_add_co_ci_u32_e32 v11, vcc_lo, 0, v11, vcc_lo
	s_delay_alu instid0(VALU_DEP_2)
	v_lshrrev_b32_e32 v14, v15, v14
; %bb.663:                              ;   in Loop: Header=BB6_142 Depth=2
	s_and_not1_saveexec_b32 s11, s11
; %bb.664:                              ;   in Loop: Header=BB6_142 Depth=2
	s_delay_alu instid0(VALU_DEP_1)
	v_bfe_u32 v11, v14, 23, 1
; %bb.665:                              ;   in Loop: Header=BB6_142 Depth=2
	s_or_b32 exec_lo, exec_lo, s11
	v_lshrrev_b32_e32 v14, 20, v14
	s_delay_alu instid0(VALU_DEP_2) | instskip(SKIP_2) | instid1(VALU_DEP_4)
	v_cmp_gt_i32_e32 vcc_lo, 16, v11
	v_lshrrev_b32_e32 v10, 24, v10
	v_min_i32_e32 v15, 15, v11
	v_cndmask_b32_e32 v14, 7, v14, vcc_lo
	s_delay_alu instid0(VALU_DEP_3) | instskip(NEXT) | instid1(VALU_DEP_3)
	v_and_b32_e32 v10, 0x80, v10
	v_lshlrev_b32_e32 v15, 3, v15
	s_delay_alu instid0(VALU_DEP_3) | instskip(SKIP_1) | instid1(VALU_DEP_2)
	v_and_b32_e32 v16, 7, v14
	v_or_b32_e32 v11, v11, v14
	v_or3_b32 v10, v15, v10, v16
	s_delay_alu instid0(VALU_DEP_2) | instskip(NEXT) | instid1(VALU_DEP_2)
	v_cmp_ne_u32_e32 vcc_lo, 0, v11
	v_cndmask_b32_e32 v166, 0, v10, vcc_lo
.LBB6_666:                              ;   in Loop: Header=BB6_142 Depth=2
	s_or_b32 exec_lo, exec_lo, s27
.LBB6_667:                              ;   in Loop: Header=BB6_142 Depth=2
	s_delay_alu instid0(SALU_CYCLE_1) | instskip(SKIP_3) | instid1(VALU_DEP_1)
	s_or_b32 exec_lo, exec_lo, s26
	v_lshrrev_b32_e32 v10, 24, v12
	s_mov_b32 s11, 0
	s_mov_b32 s27, exec_lo
                                        ; implicit-def: $sgpr26
	v_cmpx_lt_i16_e32 0x7f, v10
	s_xor_b32 s27, exec_lo, s27
	s_cbranch_execnz .LBB6_2113
; %bb.668:                              ;   in Loop: Header=BB6_142 Depth=2
	s_or_saveexec_b32 s27, s27
	v_mov_b32_e32 v11, s26
	s_xor_b32 exec_lo, exec_lo, s27
	s_cbranch_execnz .LBB6_2116
.LBB6_669:                              ;   in Loop: Header=BB6_142 Depth=2
	s_or_b32 exec_lo, exec_lo, s27
	s_and_saveexec_b32 s26, s11
	s_cbranch_execz .LBB6_671
.LBB6_670:                              ;   in Loop: Header=BB6_142 Depth=2
	v_bfe_u32 v11, v12, 24, 3
	s_delay_alu instid0(VALU_DEP_1) | instskip(NEXT) | instid1(VALU_DEP_1)
	v_clz_i32_u32_e32 v14, v11
	v_min_u32_e32 v14, 32, v14
	s_delay_alu instid0(VALU_DEP_1) | instskip(SKIP_1) | instid1(VALU_DEP_2)
	v_subrev_nc_u32_e32 v15, 28, v14
	v_sub_nc_u32_e32 v14, 29, v14
	v_lshlrev_b32_e32 v10, v15, v10
	v_bfe_u32 v15, v12, 27, 4
	s_delay_alu instid0(VALU_DEP_2) | instskip(NEXT) | instid1(VALU_DEP_2)
	v_and_b32_e32 v10, 7, v10
	v_cmp_eq_u32_e32 vcc_lo, 0, v15
	v_cndmask_b32_e32 v14, v15, v14, vcc_lo
	s_delay_alu instid0(VALU_DEP_3) | instskip(NEXT) | instid1(VALU_DEP_2)
	v_dual_cndmask_b32 v10, v11, v10 :: v_dual_and_b32 v11, 0x80000000, v12
	v_lshl_add_u32 v12, v14, 23, 0x3b800000
	s_delay_alu instid0(VALU_DEP_2) | instskip(NEXT) | instid1(VALU_DEP_1)
	v_lshlrev_b32_e32 v10, 20, v10
	v_or3_b32 v11, v11, v12, v10
.LBB6_671:                              ;   in Loop: Header=BB6_142 Depth=2
	s_or_b32 exec_lo, exec_lo, s26
	s_delay_alu instid0(VALU_DEP_1) | instskip(SKIP_1) | instid1(VALU_DEP_1)
	v_dual_mul_f32 v10, s25, v11 :: v_dual_mov_b32 v163, 0x80
	s_mov_b32 s26, exec_lo
	v_and_b32_e32 v11, 0x7f800000, v10
	s_delay_alu instid0(VALU_DEP_1)
	v_cmpx_ne_u32_e32 0x7f800000, v11
	s_cbranch_execz .LBB6_679
; %bb.672:                              ;   in Loop: Header=BB6_142 Depth=2
	v_mov_b32_e32 v163, 0
	s_mov_b32 s27, exec_lo
	v_cmpx_ne_u32_e32 0, v10
	s_cbranch_execz .LBB6_678
; %bb.673:                              ;   in Loop: Header=BB6_142 Depth=2
	v_bfe_u32 v11, v10, 23, 8
	v_and_b32_e32 v12, 0x7fffff, v10
	s_delay_alu instid0(VALU_DEP_2) | instskip(SKIP_1) | instid1(VALU_DEP_3)
	v_sub_nc_u32_e32 v14, 0x78, v11
	v_cmp_gt_u32_e32 vcc_lo, 0x79, v11
	v_or_b32_e32 v15, 0x800000, v12
	s_delay_alu instid0(VALU_DEP_3) | instskip(SKIP_2) | instid1(VALU_DEP_3)
	v_cndmask_b32_e32 v14, 0, v14, vcc_lo
	v_cmp_eq_u32_e32 vcc_lo, 0, v11
	v_add_nc_u32_e32 v11, 0xffffff89, v11
	v_cndmask_b32_e64 v14, v14, 0x77, vcc_lo
	v_cndmask_b32_e32 v12, v15, v12, vcc_lo
	s_delay_alu instid0(VALU_DEP_3) | instskip(NEXT) | instid1(VALU_DEP_3)
	v_cndmask_b32_e64 v11, v11, 0xffffff8a, vcc_lo
	v_lshl_add_u32 v15, 0x100000, v14, -1
	s_delay_alu instid0(VALU_DEP_3) | instskip(SKIP_1) | instid1(VALU_DEP_4)
	v_lshrrev_b32_e32 v16, v14, v12
	v_lshlrev_b32_e64 v18, v14, 0x80000
	v_add_nc_u32_e32 v14, v14, v11
	s_delay_alu instid0(VALU_DEP_4) | instskip(NEXT) | instid1(VALU_DEP_4)
	v_and_b32_e32 v12, v15, v12
	v_bfe_u32 v17, v16, 20, 1
	s_delay_alu instid0(VALU_DEP_2) | instskip(NEXT) | instid1(VALU_DEP_2)
	v_cmp_eq_u32_e64 s11, v12, v18
	v_add_nc_u32_e32 v15, -1, v17
	s_delay_alu instid0(VALU_DEP_1) | instskip(SKIP_2) | instid1(VALU_DEP_2)
	v_cndmask_b32_e64 v12, 0, v15, s11
	v_lshrrev_b32_e32 v15, 23, v16
	s_mov_b32 s11, exec_lo
	v_add_nc_u32_e32 v12, v12, v16
	s_delay_alu instid0(VALU_DEP_2) | instskip(NEXT) | instid1(VALU_DEP_2)
	v_xor_b32_e32 v15, 1, v15
	v_and_b32_e32 v11, 0xfffff, v12
	s_delay_alu instid0(VALU_DEP_1) | instskip(NEXT) | instid1(VALU_DEP_3)
	v_add_nc_u32_e32 v12, v11, v16
                                        ; implicit-def: $vgpr11
	v_cmpx_ne_u32_e64 v14, v15
	s_xor_b32 s11, exec_lo, s11
; %bb.674:                              ;   in Loop: Header=BB6_142 Depth=2
	s_delay_alu instid0(VALU_DEP_2) | instskip(SKIP_2) | instid1(VALU_DEP_2)
	v_cmp_lt_u32_e32 vcc_lo, 0xffffff, v12
	v_sub_nc_u32_e32 v11, v14, v15
	v_cndmask_b32_e64 v14, 0, 1, vcc_lo
	v_add_co_ci_u32_e32 v11, vcc_lo, 0, v11, vcc_lo
	s_delay_alu instid0(VALU_DEP_2)
	v_lshrrev_b32_e32 v12, v14, v12
; %bb.675:                              ;   in Loop: Header=BB6_142 Depth=2
	s_and_not1_saveexec_b32 s11, s11
; %bb.676:                              ;   in Loop: Header=BB6_142 Depth=2
	s_delay_alu instid0(VALU_DEP_1)
	v_bfe_u32 v11, v12, 23, 1
; %bb.677:                              ;   in Loop: Header=BB6_142 Depth=2
	s_or_b32 exec_lo, exec_lo, s11
	v_lshrrev_b32_e32 v12, 20, v12
	s_delay_alu instid0(VALU_DEP_2) | instskip(SKIP_2) | instid1(VALU_DEP_4)
	v_cmp_gt_i32_e32 vcc_lo, 16, v11
	v_lshrrev_b32_e32 v10, 24, v10
	v_min_i32_e32 v14, 15, v11
	v_cndmask_b32_e32 v12, 7, v12, vcc_lo
	s_delay_alu instid0(VALU_DEP_3) | instskip(NEXT) | instid1(VALU_DEP_3)
	v_and_b32_e32 v10, 0x80, v10
	v_lshlrev_b32_e32 v14, 3, v14
	s_delay_alu instid0(VALU_DEP_3) | instskip(SKIP_1) | instid1(VALU_DEP_2)
	v_and_b32_e32 v15, 7, v12
	v_or_b32_e32 v11, v11, v12
	v_or3_b32 v10, v14, v10, v15
	s_delay_alu instid0(VALU_DEP_2) | instskip(NEXT) | instid1(VALU_DEP_2)
	v_cmp_ne_u32_e32 vcc_lo, 0, v11
	v_cndmask_b32_e32 v163, 0, v10, vcc_lo
.LBB6_678:                              ;   in Loop: Header=BB6_142 Depth=2
	s_or_b32 exec_lo, exec_lo, s27
.LBB6_679:                              ;   in Loop: Header=BB6_142 Depth=2
	s_delay_alu instid0(SALU_CYCLE_1) | instskip(SKIP_3) | instid1(VALU_DEP_1)
	s_or_b32 exec_lo, exec_lo, s26
	v_and_b32_e32 v11, 0xff, v13
	s_mov_b32 s11, 0
	s_mov_b32 s27, exec_lo
                                        ; implicit-def: $sgpr26
	v_cmpx_lt_i16_e32 0x7f, v11
	s_xor_b32 s27, exec_lo, s27
	s_cbranch_execnz .LBB6_2117
; %bb.680:                              ;   in Loop: Header=BB6_142 Depth=2
	s_or_saveexec_b32 s27, s27
	v_mov_b32_e32 v10, s26
	s_xor_b32 exec_lo, exec_lo, s27
	s_cbranch_execnz .LBB6_2120
.LBB6_681:                              ;   in Loop: Header=BB6_142 Depth=2
	s_or_b32 exec_lo, exec_lo, s27
	s_and_saveexec_b32 s26, s11
	s_cbranch_execz .LBB6_683
.LBB6_682:                              ;   in Loop: Header=BB6_142 Depth=2
	v_bfe_u32 v14, v13, 3, 4
	s_delay_alu instid0(VALU_DEP_1) | instskip(SKIP_1) | instid1(VALU_DEP_1)
	v_cmp_eq_u32_e32 vcc_lo, 0, v14
	v_and_b32_e32 v10, 7, v13
	v_clz_i32_u32_e32 v11, v10
	s_delay_alu instid0(VALU_DEP_1) | instskip(NEXT) | instid1(VALU_DEP_1)
	v_min_u32_e32 v11, 32, v11
	v_subrev_nc_u32_e32 v12, 28, v11
	v_sub_nc_u32_e32 v11, 29, v11
	s_delay_alu instid0(VALU_DEP_1) | instskip(NEXT) | instid1(VALU_DEP_1)
	v_dual_cndmask_b32 v11, v14, v11 :: v_dual_lshlrev_b32 v12, v12, v13
	v_and_b32_e32 v12, 7, v12
	v_lshlrev_b32_e32 v15, 24, v13
	s_delay_alu instid0(VALU_DEP_3) | instskip(NEXT) | instid1(VALU_DEP_3)
	v_lshl_add_u32 v11, v11, 23, 0x3b800000
	v_cndmask_b32_e32 v10, v10, v12, vcc_lo
	s_delay_alu instid0(VALU_DEP_3) | instskip(NEXT) | instid1(VALU_DEP_2)
	v_and_b32_e32 v12, 0x80000000, v15
	v_lshlrev_b32_e32 v10, 20, v10
	s_delay_alu instid0(VALU_DEP_1)
	v_or3_b32 v10, v12, v11, v10
.LBB6_683:                              ;   in Loop: Header=BB6_142 Depth=2
	s_or_b32 exec_lo, exec_lo, s26
	s_delay_alu instid0(VALU_DEP_1) | instskip(SKIP_2) | instid1(VALU_DEP_2)
	v_mul_f32_e32 v10, s25, v10
	v_mov_b32_e32 v162, 0x80
	s_mov_b32 s26, exec_lo
	v_and_b32_e32 v11, 0x7f800000, v10
	s_delay_alu instid0(VALU_DEP_1)
	v_cmpx_ne_u32_e32 0x7f800000, v11
	s_cbranch_execz .LBB6_691
; %bb.684:                              ;   in Loop: Header=BB6_142 Depth=2
	v_mov_b32_e32 v162, 0
	s_mov_b32 s27, exec_lo
	v_cmpx_ne_u32_e32 0, v10
	s_cbranch_execz .LBB6_690
; %bb.685:                              ;   in Loop: Header=BB6_142 Depth=2
	v_bfe_u32 v11, v10, 23, 8
	v_and_b32_e32 v12, 0x7fffff, v10
	s_delay_alu instid0(VALU_DEP_2) | instskip(SKIP_1) | instid1(VALU_DEP_3)
	v_sub_nc_u32_e32 v14, 0x78, v11
	v_cmp_gt_u32_e32 vcc_lo, 0x79, v11
	v_or_b32_e32 v15, 0x800000, v12
	s_delay_alu instid0(VALU_DEP_3) | instskip(SKIP_2) | instid1(VALU_DEP_3)
	v_cndmask_b32_e32 v14, 0, v14, vcc_lo
	v_cmp_eq_u32_e32 vcc_lo, 0, v11
	v_add_nc_u32_e32 v11, 0xffffff89, v11
	v_cndmask_b32_e64 v14, v14, 0x77, vcc_lo
	v_cndmask_b32_e32 v12, v15, v12, vcc_lo
	s_delay_alu instid0(VALU_DEP_3) | instskip(NEXT) | instid1(VALU_DEP_3)
	v_cndmask_b32_e64 v11, v11, 0xffffff8a, vcc_lo
	v_lshl_add_u32 v15, 0x100000, v14, -1
	s_delay_alu instid0(VALU_DEP_3) | instskip(SKIP_1) | instid1(VALU_DEP_4)
	v_lshrrev_b32_e32 v16, v14, v12
	v_lshlrev_b32_e64 v18, v14, 0x80000
	v_add_nc_u32_e32 v14, v14, v11
	s_delay_alu instid0(VALU_DEP_4) | instskip(NEXT) | instid1(VALU_DEP_4)
	v_and_b32_e32 v12, v15, v12
	v_bfe_u32 v17, v16, 20, 1
	s_delay_alu instid0(VALU_DEP_2) | instskip(NEXT) | instid1(VALU_DEP_2)
	v_cmp_eq_u32_e64 s11, v12, v18
	v_add_nc_u32_e32 v15, -1, v17
	s_delay_alu instid0(VALU_DEP_1) | instskip(SKIP_2) | instid1(VALU_DEP_2)
	v_cndmask_b32_e64 v12, 0, v15, s11
	v_lshrrev_b32_e32 v15, 23, v16
	s_mov_b32 s11, exec_lo
	v_add_nc_u32_e32 v12, v12, v16
	s_delay_alu instid0(VALU_DEP_2) | instskip(NEXT) | instid1(VALU_DEP_2)
	v_xor_b32_e32 v15, 1, v15
	v_and_b32_e32 v11, 0xfffff, v12
	s_delay_alu instid0(VALU_DEP_1) | instskip(NEXT) | instid1(VALU_DEP_3)
	v_add_nc_u32_e32 v12, v11, v16
                                        ; implicit-def: $vgpr11
	v_cmpx_ne_u32_e64 v14, v15
	s_xor_b32 s11, exec_lo, s11
; %bb.686:                              ;   in Loop: Header=BB6_142 Depth=2
	s_delay_alu instid0(VALU_DEP_2) | instskip(SKIP_2) | instid1(VALU_DEP_2)
	v_cmp_lt_u32_e32 vcc_lo, 0xffffff, v12
	v_sub_nc_u32_e32 v11, v14, v15
	v_cndmask_b32_e64 v14, 0, 1, vcc_lo
	v_add_co_ci_u32_e32 v11, vcc_lo, 0, v11, vcc_lo
	s_delay_alu instid0(VALU_DEP_2)
	v_lshrrev_b32_e32 v12, v14, v12
; %bb.687:                              ;   in Loop: Header=BB6_142 Depth=2
	s_and_not1_saveexec_b32 s11, s11
; %bb.688:                              ;   in Loop: Header=BB6_142 Depth=2
	s_delay_alu instid0(VALU_DEP_1)
	v_bfe_u32 v11, v12, 23, 1
; %bb.689:                              ;   in Loop: Header=BB6_142 Depth=2
	s_or_b32 exec_lo, exec_lo, s11
	v_lshrrev_b32_e32 v12, 20, v12
	s_delay_alu instid0(VALU_DEP_2) | instskip(SKIP_2) | instid1(VALU_DEP_4)
	v_cmp_gt_i32_e32 vcc_lo, 16, v11
	v_min_i32_e32 v14, 15, v11
	v_lshrrev_b32_e32 v10, 24, v10
	v_cndmask_b32_e32 v12, 7, v12, vcc_lo
	s_delay_alu instid0(VALU_DEP_3) | instskip(NEXT) | instid1(VALU_DEP_3)
	v_lshlrev_b32_e32 v14, 3, v14
	v_and_b32_e32 v10, 0x80, v10
	s_delay_alu instid0(VALU_DEP_3) | instskip(NEXT) | instid1(VALU_DEP_3)
	v_or_b32_e32 v11, v11, v12
	v_and_b32_e32 v14, 0xf8, v14
	s_delay_alu instid0(VALU_DEP_2) | instskip(SKIP_1) | instid1(VALU_DEP_1)
	v_cmp_ne_u32_e32 vcc_lo, 0, v11
	v_and_b32_e32 v15, 7, v12
	v_or3_b32 v10, v14, v10, v15
	s_delay_alu instid0(VALU_DEP_1)
	v_cndmask_b32_e32 v162, 0, v10, vcc_lo
.LBB6_690:                              ;   in Loop: Header=BB6_142 Depth=2
	s_or_b32 exec_lo, exec_lo, s27
.LBB6_691:                              ;   in Loop: Header=BB6_142 Depth=2
	s_delay_alu instid0(SALU_CYCLE_1) | instskip(SKIP_3) | instid1(VALU_DEP_1)
	s_or_b32 exec_lo, exec_lo, s26
	v_lshrrev_b16 v10, 8, v13
	s_mov_b32 s11, 0
	s_mov_b32 s27, exec_lo
                                        ; implicit-def: $sgpr26
	v_cmpx_lt_i16_e32 0x7f, v10
	s_xor_b32 s27, exec_lo, s27
	s_cbranch_execnz .LBB6_2121
; %bb.692:                              ;   in Loop: Header=BB6_142 Depth=2
	s_or_saveexec_b32 s27, s27
	v_mov_b32_e32 v11, s26
	s_xor_b32 exec_lo, exec_lo, s27
	s_cbranch_execnz .LBB6_2124
.LBB6_693:                              ;   in Loop: Header=BB6_142 Depth=2
	s_or_b32 exec_lo, exec_lo, s27
	s_and_saveexec_b32 s26, s11
	s_cbranch_execz .LBB6_695
.LBB6_694:                              ;   in Loop: Header=BB6_142 Depth=2
	v_and_b32_e32 v11, 0xffff, v10
	v_lshlrev_b32_e32 v10, 24, v10
	s_delay_alu instid0(VALU_DEP_2) | instskip(NEXT) | instid1(VALU_DEP_2)
	v_and_b32_e32 v12, 7, v11
	v_and_b32_e32 v10, 0x80000000, v10
	s_delay_alu instid0(VALU_DEP_2) | instskip(NEXT) | instid1(VALU_DEP_1)
	v_clz_i32_u32_e32 v14, v12
	v_min_u32_e32 v14, 32, v14
	s_delay_alu instid0(VALU_DEP_1) | instskip(SKIP_1) | instid1(VALU_DEP_2)
	v_subrev_nc_u32_e32 v15, 28, v14
	v_sub_nc_u32_e32 v14, 29, v14
	v_lshlrev_b32_e32 v15, v15, v11
	v_bfe_u32 v11, v11, 3, 4
	s_delay_alu instid0(VALU_DEP_2) | instskip(NEXT) | instid1(VALU_DEP_2)
	v_and_b32_e32 v15, 7, v15
	v_cmp_eq_u32_e32 vcc_lo, 0, v11
	s_delay_alu instid0(VALU_DEP_2) | instskip(NEXT) | instid1(VALU_DEP_1)
	v_dual_cndmask_b32 v11, v11, v14 :: v_dual_cndmask_b32 v12, v12, v15
	v_lshl_add_u32 v11, v11, 23, 0x3b800000
	s_delay_alu instid0(VALU_DEP_2) | instskip(NEXT) | instid1(VALU_DEP_1)
	v_lshlrev_b32_e32 v12, 20, v12
	v_or3_b32 v11, v10, v11, v12
.LBB6_695:                              ;   in Loop: Header=BB6_142 Depth=2
	s_or_b32 exec_lo, exec_lo, s26
	s_delay_alu instid0(VALU_DEP_1) | instskip(SKIP_2) | instid1(VALU_DEP_2)
	v_mul_f32_e32 v10, s25, v11
	v_mov_b32_e32 v176, 0x8000
	s_mov_b32 s26, exec_lo
	v_and_b32_e32 v11, 0x7f800000, v10
	s_delay_alu instid0(VALU_DEP_1)
	v_cmpx_ne_u32_e32 0x7f800000, v11
	s_cbranch_execz .LBB6_703
; %bb.696:                              ;   in Loop: Header=BB6_142 Depth=2
	v_mov_b32_e32 v176, 0
	s_mov_b32 s27, exec_lo
	v_cmpx_ne_u32_e32 0, v10
	s_cbranch_execz .LBB6_702
; %bb.697:                              ;   in Loop: Header=BB6_142 Depth=2
	v_bfe_u32 v11, v10, 23, 8
	v_and_b32_e32 v12, 0x7fffff, v10
	s_delay_alu instid0(VALU_DEP_2) | instskip(SKIP_1) | instid1(VALU_DEP_3)
	v_sub_nc_u32_e32 v14, 0x78, v11
	v_cmp_gt_u32_e32 vcc_lo, 0x79, v11
	v_or_b32_e32 v15, 0x800000, v12
	s_delay_alu instid0(VALU_DEP_3) | instskip(SKIP_2) | instid1(VALU_DEP_3)
	v_cndmask_b32_e32 v14, 0, v14, vcc_lo
	v_cmp_eq_u32_e32 vcc_lo, 0, v11
	v_add_nc_u32_e32 v11, 0xffffff89, v11
	v_cndmask_b32_e64 v14, v14, 0x77, vcc_lo
	v_cndmask_b32_e32 v12, v15, v12, vcc_lo
	s_delay_alu instid0(VALU_DEP_3) | instskip(NEXT) | instid1(VALU_DEP_3)
	v_cndmask_b32_e64 v11, v11, 0xffffff8a, vcc_lo
	v_lshl_add_u32 v15, 0x100000, v14, -1
	s_delay_alu instid0(VALU_DEP_3) | instskip(SKIP_1) | instid1(VALU_DEP_4)
	v_lshrrev_b32_e32 v16, v14, v12
	v_lshlrev_b32_e64 v18, v14, 0x80000
	v_add_nc_u32_e32 v14, v14, v11
	s_delay_alu instid0(VALU_DEP_4) | instskip(NEXT) | instid1(VALU_DEP_4)
	v_and_b32_e32 v12, v15, v12
	v_bfe_u32 v17, v16, 20, 1
	s_delay_alu instid0(VALU_DEP_2) | instskip(NEXT) | instid1(VALU_DEP_2)
	v_cmp_eq_u32_e64 s11, v12, v18
	v_add_nc_u32_e32 v15, -1, v17
	s_delay_alu instid0(VALU_DEP_1) | instskip(SKIP_2) | instid1(VALU_DEP_2)
	v_cndmask_b32_e64 v12, 0, v15, s11
	v_lshrrev_b32_e32 v15, 23, v16
	s_mov_b32 s11, exec_lo
	v_add_nc_u32_e32 v12, v12, v16
	s_delay_alu instid0(VALU_DEP_2) | instskip(NEXT) | instid1(VALU_DEP_2)
	v_xor_b32_e32 v15, 1, v15
	v_and_b32_e32 v11, 0xfffff, v12
	s_delay_alu instid0(VALU_DEP_1) | instskip(NEXT) | instid1(VALU_DEP_3)
	v_add_nc_u32_e32 v12, v11, v16
                                        ; implicit-def: $vgpr11
	v_cmpx_ne_u32_e64 v14, v15
	s_xor_b32 s11, exec_lo, s11
; %bb.698:                              ;   in Loop: Header=BB6_142 Depth=2
	s_delay_alu instid0(VALU_DEP_2) | instskip(SKIP_2) | instid1(VALU_DEP_2)
	v_cmp_lt_u32_e32 vcc_lo, 0xffffff, v12
	v_sub_nc_u32_e32 v11, v14, v15
	v_cndmask_b32_e64 v14, 0, 1, vcc_lo
	v_add_co_ci_u32_e32 v11, vcc_lo, 0, v11, vcc_lo
	s_delay_alu instid0(VALU_DEP_2)
	v_lshrrev_b32_e32 v12, v14, v12
; %bb.699:                              ;   in Loop: Header=BB6_142 Depth=2
	s_and_not1_saveexec_b32 s11, s11
; %bb.700:                              ;   in Loop: Header=BB6_142 Depth=2
	s_delay_alu instid0(VALU_DEP_1)
	v_bfe_u32 v11, v12, 23, 1
; %bb.701:                              ;   in Loop: Header=BB6_142 Depth=2
	s_or_b32 exec_lo, exec_lo, s11
	v_lshrrev_b32_e32 v12, 20, v12
	s_delay_alu instid0(VALU_DEP_2) | instskip(SKIP_2) | instid1(VALU_DEP_4)
	v_cmp_gt_i32_e32 vcc_lo, 16, v11
	v_min_i32_e32 v14, 15, v11
	v_lshrrev_b32_e32 v10, 24, v10
	v_cndmask_b32_e32 v12, 7, v12, vcc_lo
	s_delay_alu instid0(VALU_DEP_3) | instskip(NEXT) | instid1(VALU_DEP_3)
	v_lshlrev_b32_e32 v14, 3, v14
	v_and_b32_e32 v10, 0x80, v10
	s_delay_alu instid0(VALU_DEP_3) | instskip(NEXT) | instid1(VALU_DEP_3)
	v_or_b32_e32 v11, v11, v12
	v_and_b32_e32 v14, 0xf8, v14
	s_delay_alu instid0(VALU_DEP_2) | instskip(SKIP_1) | instid1(VALU_DEP_1)
	v_cmp_ne_u32_e32 vcc_lo, 0, v11
	v_and_b32_e32 v15, 7, v12
	v_or3_b32 v10, v10, v14, v15
	s_delay_alu instid0(VALU_DEP_1) | instskip(NEXT) | instid1(VALU_DEP_1)
	v_lshlrev_b32_e32 v10, 8, v10
	v_cndmask_b32_e32 v176, 0, v10, vcc_lo
.LBB6_702:                              ;   in Loop: Header=BB6_142 Depth=2
	s_or_b32 exec_lo, exec_lo, s27
.LBB6_703:                              ;   in Loop: Header=BB6_142 Depth=2
	s_delay_alu instid0(SALU_CYCLE_1) | instskip(SKIP_3) | instid1(VALU_DEP_1)
	s_or_b32 exec_lo, exec_lo, s26
	v_lshrrev_b32_e32 v10, 16, v13
	s_mov_b32 s11, 0
	s_mov_b32 s27, exec_lo
                                        ; implicit-def: $sgpr26
	v_and_b32_e32 v12, 0xff, v10
	s_delay_alu instid0(VALU_DEP_1)
	v_cmpx_lt_i16_e32 0x7f, v12
	s_xor_b32 s27, exec_lo, s27
	s_cbranch_execnz .LBB6_2125
; %bb.704:                              ;   in Loop: Header=BB6_142 Depth=2
	s_or_saveexec_b32 s27, s27
	v_mov_b32_e32 v11, s26
	s_xor_b32 exec_lo, exec_lo, s27
	s_cbranch_execnz .LBB6_2128
.LBB6_705:                              ;   in Loop: Header=BB6_142 Depth=2
	s_or_b32 exec_lo, exec_lo, s27
	s_and_saveexec_b32 s26, s11
	s_cbranch_execz .LBB6_707
.LBB6_706:                              ;   in Loop: Header=BB6_142 Depth=2
	v_bfe_u32 v11, v13, 16, 3
	s_delay_alu instid0(VALU_DEP_1) | instskip(NEXT) | instid1(VALU_DEP_1)
	v_clz_i32_u32_e32 v12, v11
	v_min_u32_e32 v12, 32, v12
	s_delay_alu instid0(VALU_DEP_1) | instskip(SKIP_1) | instid1(VALU_DEP_2)
	v_subrev_nc_u32_e32 v14, 28, v12
	v_sub_nc_u32_e32 v12, 29, v12
	v_lshlrev_b32_e32 v10, v14, v10
	v_bfe_u32 v14, v13, 19, 4
	s_delay_alu instid0(VALU_DEP_2) | instskip(NEXT) | instid1(VALU_DEP_2)
	v_and_b32_e32 v10, 7, v10
	v_cmp_eq_u32_e32 vcc_lo, 0, v14
	v_dual_cndmask_b32 v12, v14, v12 :: v_dual_lshlrev_b32 v15, 8, v13
	s_delay_alu instid0(VALU_DEP_1) | instskip(NEXT) | instid1(VALU_DEP_2)
	v_dual_cndmask_b32 v10, v11, v10 :: v_dual_and_b32 v11, 0x80000000, v15
	v_lshl_add_u32 v12, v12, 23, 0x3b800000
	s_delay_alu instid0(VALU_DEP_2) | instskip(NEXT) | instid1(VALU_DEP_1)
	v_lshlrev_b32_e32 v10, 20, v10
	v_or3_b32 v11, v11, v12, v10
.LBB6_707:                              ;   in Loop: Header=BB6_142 Depth=2
	s_or_b32 exec_lo, exec_lo, s26
	s_delay_alu instid0(VALU_DEP_1) | instskip(SKIP_1) | instid1(VALU_DEP_1)
	v_dual_mul_f32 v10, s25, v11 :: v_dual_mov_b32 v161, 0x80
	s_mov_b32 s26, exec_lo
	v_and_b32_e32 v11, 0x7f800000, v10
	s_delay_alu instid0(VALU_DEP_1)
	v_cmpx_ne_u32_e32 0x7f800000, v11
	s_cbranch_execz .LBB6_715
; %bb.708:                              ;   in Loop: Header=BB6_142 Depth=2
	v_mov_b32_e32 v161, 0
	s_mov_b32 s27, exec_lo
	v_cmpx_ne_u32_e32 0, v10
	s_cbranch_execz .LBB6_714
; %bb.709:                              ;   in Loop: Header=BB6_142 Depth=2
	v_bfe_u32 v11, v10, 23, 8
	v_and_b32_e32 v12, 0x7fffff, v10
	s_delay_alu instid0(VALU_DEP_2) | instskip(SKIP_1) | instid1(VALU_DEP_3)
	v_sub_nc_u32_e32 v14, 0x78, v11
	v_cmp_gt_u32_e32 vcc_lo, 0x79, v11
	v_or_b32_e32 v15, 0x800000, v12
	s_delay_alu instid0(VALU_DEP_3) | instskip(SKIP_2) | instid1(VALU_DEP_3)
	v_cndmask_b32_e32 v14, 0, v14, vcc_lo
	v_cmp_eq_u32_e32 vcc_lo, 0, v11
	v_add_nc_u32_e32 v11, 0xffffff89, v11
	v_cndmask_b32_e64 v14, v14, 0x77, vcc_lo
	v_cndmask_b32_e32 v12, v15, v12, vcc_lo
	s_delay_alu instid0(VALU_DEP_3) | instskip(NEXT) | instid1(VALU_DEP_3)
	v_cndmask_b32_e64 v11, v11, 0xffffff8a, vcc_lo
	v_lshl_add_u32 v15, 0x100000, v14, -1
	s_delay_alu instid0(VALU_DEP_3) | instskip(SKIP_1) | instid1(VALU_DEP_4)
	v_lshrrev_b32_e32 v16, v14, v12
	v_lshlrev_b32_e64 v18, v14, 0x80000
	v_add_nc_u32_e32 v14, v14, v11
	s_delay_alu instid0(VALU_DEP_4) | instskip(NEXT) | instid1(VALU_DEP_4)
	v_and_b32_e32 v12, v15, v12
	v_bfe_u32 v17, v16, 20, 1
	s_delay_alu instid0(VALU_DEP_2) | instskip(NEXT) | instid1(VALU_DEP_2)
	v_cmp_eq_u32_e64 s11, v12, v18
	v_add_nc_u32_e32 v15, -1, v17
	s_delay_alu instid0(VALU_DEP_1) | instskip(SKIP_2) | instid1(VALU_DEP_2)
	v_cndmask_b32_e64 v12, 0, v15, s11
	v_lshrrev_b32_e32 v15, 23, v16
	s_mov_b32 s11, exec_lo
	v_add_nc_u32_e32 v12, v12, v16
	s_delay_alu instid0(VALU_DEP_2) | instskip(NEXT) | instid1(VALU_DEP_2)
	v_xor_b32_e32 v15, 1, v15
	v_and_b32_e32 v11, 0xfffff, v12
	s_delay_alu instid0(VALU_DEP_1) | instskip(NEXT) | instid1(VALU_DEP_3)
	v_add_nc_u32_e32 v12, v11, v16
                                        ; implicit-def: $vgpr11
	v_cmpx_ne_u32_e64 v14, v15
	s_xor_b32 s11, exec_lo, s11
; %bb.710:                              ;   in Loop: Header=BB6_142 Depth=2
	s_delay_alu instid0(VALU_DEP_2) | instskip(SKIP_2) | instid1(VALU_DEP_2)
	v_cmp_lt_u32_e32 vcc_lo, 0xffffff, v12
	v_sub_nc_u32_e32 v11, v14, v15
	v_cndmask_b32_e64 v14, 0, 1, vcc_lo
	v_add_co_ci_u32_e32 v11, vcc_lo, 0, v11, vcc_lo
	s_delay_alu instid0(VALU_DEP_2)
	v_lshrrev_b32_e32 v12, v14, v12
; %bb.711:                              ;   in Loop: Header=BB6_142 Depth=2
	s_and_not1_saveexec_b32 s11, s11
; %bb.712:                              ;   in Loop: Header=BB6_142 Depth=2
	s_delay_alu instid0(VALU_DEP_1)
	v_bfe_u32 v11, v12, 23, 1
; %bb.713:                              ;   in Loop: Header=BB6_142 Depth=2
	s_or_b32 exec_lo, exec_lo, s11
	v_lshrrev_b32_e32 v12, 20, v12
	s_delay_alu instid0(VALU_DEP_2) | instskip(SKIP_2) | instid1(VALU_DEP_3)
	v_min_i32_e32 v14, 15, v11
	v_cmp_gt_i32_e32 vcc_lo, 16, v11
	v_lshrrev_b32_e32 v10, 24, v10
	v_lshlrev_b32_e32 v14, 3, v14
	v_cndmask_b32_e32 v12, 7, v12, vcc_lo
	s_delay_alu instid0(VALU_DEP_3) | instskip(NEXT) | instid1(VALU_DEP_3)
	v_and_b32_e32 v10, 0x80, v10
	v_and_b32_e32 v14, 0xf8, v14
	s_delay_alu instid0(VALU_DEP_3) | instskip(SKIP_1) | instid1(VALU_DEP_2)
	v_and_b32_e32 v15, 7, v12
	v_or_b32_e32 v11, v11, v12
	v_or3_b32 v10, v14, v10, v15
	s_delay_alu instid0(VALU_DEP_2) | instskip(NEXT) | instid1(VALU_DEP_2)
	v_cmp_ne_u32_e32 vcc_lo, 0, v11
	v_cndmask_b32_e32 v161, 0, v10, vcc_lo
.LBB6_714:                              ;   in Loop: Header=BB6_142 Depth=2
	s_or_b32 exec_lo, exec_lo, s27
.LBB6_715:                              ;   in Loop: Header=BB6_142 Depth=2
	s_delay_alu instid0(SALU_CYCLE_1) | instskip(SKIP_3) | instid1(VALU_DEP_1)
	s_or_b32 exec_lo, exec_lo, s26
	v_lshrrev_b32_e32 v10, 24, v13
	s_mov_b32 s11, 0
	s_mov_b32 s27, exec_lo
                                        ; implicit-def: $sgpr26
	v_cmpx_lt_i16_e32 0x7f, v10
	s_xor_b32 s27, exec_lo, s27
	s_cbranch_execnz .LBB6_2129
; %bb.716:                              ;   in Loop: Header=BB6_142 Depth=2
	s_or_saveexec_b32 s27, s27
	v_mov_b32_e32 v11, s26
	s_xor_b32 exec_lo, exec_lo, s27
	s_cbranch_execnz .LBB6_2132
.LBB6_717:                              ;   in Loop: Header=BB6_142 Depth=2
	s_or_b32 exec_lo, exec_lo, s27
	s_and_saveexec_b32 s26, s11
	s_cbranch_execz .LBB6_719
.LBB6_718:                              ;   in Loop: Header=BB6_142 Depth=2
	v_bfe_u32 v11, v13, 24, 3
	s_delay_alu instid0(VALU_DEP_1) | instskip(NEXT) | instid1(VALU_DEP_1)
	v_clz_i32_u32_e32 v12, v11
	v_min_u32_e32 v12, 32, v12
	s_delay_alu instid0(VALU_DEP_1) | instskip(SKIP_1) | instid1(VALU_DEP_2)
	v_subrev_nc_u32_e32 v14, 28, v12
	v_sub_nc_u32_e32 v12, 29, v12
	v_lshlrev_b32_e32 v10, v14, v10
	v_bfe_u32 v14, v13, 27, 4
	s_delay_alu instid0(VALU_DEP_2) | instskip(NEXT) | instid1(VALU_DEP_2)
	v_and_b32_e32 v10, 7, v10
	v_cmp_eq_u32_e32 vcc_lo, 0, v14
	v_cndmask_b32_e32 v12, v14, v12, vcc_lo
	s_delay_alu instid0(VALU_DEP_3) | instskip(NEXT) | instid1(VALU_DEP_2)
	v_dual_cndmask_b32 v10, v11, v10 :: v_dual_and_b32 v11, 0x80000000, v13
	v_lshl_add_u32 v12, v12, 23, 0x3b800000
	s_delay_alu instid0(VALU_DEP_2) | instskip(NEXT) | instid1(VALU_DEP_1)
	v_lshlrev_b32_e32 v10, 20, v10
	v_or3_b32 v11, v11, v12, v10
.LBB6_719:                              ;   in Loop: Header=BB6_142 Depth=2
	s_or_b32 exec_lo, exec_lo, s26
	s_delay_alu instid0(VALU_DEP_1) | instskip(SKIP_2) | instid1(VALU_DEP_2)
	v_mul_f32_e32 v10, s25, v11
	v_mov_b32_e32 v164, 0x8000
	s_mov_b32 s26, exec_lo
	v_and_b32_e32 v11, 0x7f800000, v10
	s_delay_alu instid0(VALU_DEP_1)
	v_cmpx_ne_u32_e32 0x7f800000, v11
	s_cbranch_execz .LBB6_727
; %bb.720:                              ;   in Loop: Header=BB6_142 Depth=2
	v_mov_b32_e32 v164, 0
	s_mov_b32 s27, exec_lo
	v_cmpx_ne_u32_e32 0, v10
	s_cbranch_execz .LBB6_726
; %bb.721:                              ;   in Loop: Header=BB6_142 Depth=2
	v_bfe_u32 v11, v10, 23, 8
	s_delay_alu instid0(VALU_DEP_1) | instskip(SKIP_1) | instid1(VALU_DEP_2)
	v_sub_nc_u32_e32 v13, 0x78, v11
	v_cmp_gt_u32_e32 vcc_lo, 0x79, v11
	v_dual_cndmask_b32 v13, 0, v13 :: v_dual_and_b32 v12, 0x7fffff, v10
	s_delay_alu instid0(VALU_DEP_1) | instskip(SKIP_2) | instid1(VALU_DEP_4)
	v_or_b32_e32 v14, 0x800000, v12
	v_cmp_eq_u32_e32 vcc_lo, 0, v11
	v_add_nc_u32_e32 v11, 0xffffff89, v11
	v_cndmask_b32_e64 v13, v13, 0x77, vcc_lo
	s_delay_alu instid0(VALU_DEP_4) | instskip(NEXT) | instid1(VALU_DEP_3)
	v_cndmask_b32_e32 v12, v14, v12, vcc_lo
	v_cndmask_b32_e64 v11, v11, 0xffffff8a, vcc_lo
	s_delay_alu instid0(VALU_DEP_3) | instskip(NEXT) | instid1(VALU_DEP_3)
	v_lshl_add_u32 v14, 0x100000, v13, -1
	v_lshrrev_b32_e32 v15, v13, v12
	v_lshlrev_b32_e64 v17, v13, 0x80000
	s_delay_alu instid0(VALU_DEP_4) | instskip(NEXT) | instid1(VALU_DEP_4)
	v_add_nc_u32_e32 v13, v13, v11
	v_and_b32_e32 v12, v14, v12
	s_delay_alu instid0(VALU_DEP_4) | instskip(NEXT) | instid1(VALU_DEP_2)
	v_bfe_u32 v16, v15, 20, 1
	v_cmp_eq_u32_e64 s11, v12, v17
	s_delay_alu instid0(VALU_DEP_2) | instskip(NEXT) | instid1(VALU_DEP_1)
	v_add_nc_u32_e32 v14, -1, v16
	v_cndmask_b32_e64 v12, 0, v14, s11
	v_lshrrev_b32_e32 v14, 23, v15
	s_mov_b32 s11, exec_lo
	s_delay_alu instid0(VALU_DEP_2) | instskip(NEXT) | instid1(VALU_DEP_2)
	v_add_nc_u32_e32 v12, v12, v15
	v_xor_b32_e32 v14, 1, v14
	s_delay_alu instid0(VALU_DEP_2) | instskip(NEXT) | instid1(VALU_DEP_1)
	v_and_b32_e32 v11, 0xfffff, v12
	v_add_nc_u32_e32 v12, v11, v15
                                        ; implicit-def: $vgpr11
	s_delay_alu instid0(VALU_DEP_3)
	v_cmpx_ne_u32_e64 v13, v14
	s_xor_b32 s11, exec_lo, s11
; %bb.722:                              ;   in Loop: Header=BB6_142 Depth=2
	s_delay_alu instid0(VALU_DEP_2) | instskip(SKIP_2) | instid1(VALU_DEP_2)
	v_cmp_lt_u32_e32 vcc_lo, 0xffffff, v12
	v_sub_nc_u32_e32 v11, v13, v14
	v_cndmask_b32_e64 v13, 0, 1, vcc_lo
	v_add_co_ci_u32_e32 v11, vcc_lo, 0, v11, vcc_lo
	s_delay_alu instid0(VALU_DEP_2)
	v_lshrrev_b32_e32 v12, v13, v12
; %bb.723:                              ;   in Loop: Header=BB6_142 Depth=2
	s_and_not1_saveexec_b32 s11, s11
; %bb.724:                              ;   in Loop: Header=BB6_142 Depth=2
	s_delay_alu instid0(VALU_DEP_1)
	v_bfe_u32 v11, v12, 23, 1
; %bb.725:                              ;   in Loop: Header=BB6_142 Depth=2
	s_or_b32 exec_lo, exec_lo, s11
	v_lshrrev_b32_e32 v12, 20, v12
	s_delay_alu instid0(VALU_DEP_2) | instskip(SKIP_2) | instid1(VALU_DEP_2)
	v_cmp_gt_i32_e32 vcc_lo, 16, v11
	v_min_i32_e32 v13, 15, v11
	v_lshrrev_b32_e32 v10, 24, v10
	v_dual_cndmask_b32 v12, 7, v12 :: v_dual_lshlrev_b32 v13, 3, v13
	s_delay_alu instid0(VALU_DEP_2) | instskip(NEXT) | instid1(VALU_DEP_2)
	v_and_b32_e32 v10, 0x80, v10
	v_or_b32_e32 v11, v11, v12
	v_and_b32_e32 v14, 7, v12
	s_delay_alu instid0(VALU_DEP_2) | instskip(SKIP_1) | instid1(VALU_DEP_1)
	v_cmp_ne_u32_e32 vcc_lo, 0, v11
	v_and_b32_e32 v13, 0xf8, v13
	v_or3_b32 v10, v10, v13, v14
	s_delay_alu instid0(VALU_DEP_1) | instskip(NEXT) | instid1(VALU_DEP_1)
	v_lshlrev_b32_e32 v10, 8, v10
	v_cndmask_b32_e32 v164, 0, v10, vcc_lo
.LBB6_726:                              ;   in Loop: Header=BB6_142 Depth=2
	s_or_b32 exec_lo, exec_lo, s27
.LBB6_727:                              ;   in Loop: Header=BB6_142 Depth=2
	s_delay_alu instid0(SALU_CYCLE_1)
	s_or_b32 exec_lo, exec_lo, s26
	global_load_b128 v[10:13], v[66:67], off offset:1536 slc dlc
	s_mov_b32 s11, 0
	s_mov_b32 s27, exec_lo
                                        ; implicit-def: $sgpr26
	s_waitcnt vmcnt(0)
	v_and_b32_e32 v15, 0xff, v10
	s_delay_alu instid0(VALU_DEP_1)
	v_cmpx_lt_i16_e32 0x7f, v15
	s_xor_b32 s27, exec_lo, s27
	s_cbranch_execnz .LBB6_2133
; %bb.728:                              ;   in Loop: Header=BB6_142 Depth=2
	s_or_saveexec_b32 s27, s27
	v_mov_b32_e32 v14, s26
	s_xor_b32 exec_lo, exec_lo, s27
	s_cbranch_execnz .LBB6_2136
.LBB6_729:                              ;   in Loop: Header=BB6_142 Depth=2
	s_or_b32 exec_lo, exec_lo, s27
	s_and_saveexec_b32 s26, s11
	s_cbranch_execz .LBB6_731
.LBB6_730:                              ;   in Loop: Header=BB6_142 Depth=2
	v_bfe_u32 v17, v10, 3, 4
	v_lshlrev_b32_e32 v18, 24, v10
	s_delay_alu instid0(VALU_DEP_2) | instskip(SKIP_1) | instid1(VALU_DEP_1)
	v_cmp_eq_u32_e32 vcc_lo, 0, v17
	v_and_b32_e32 v14, 7, v10
	v_clz_i32_u32_e32 v15, v14
	s_delay_alu instid0(VALU_DEP_1) | instskip(NEXT) | instid1(VALU_DEP_1)
	v_min_u32_e32 v15, 32, v15
	v_subrev_nc_u32_e32 v16, 28, v15
	v_sub_nc_u32_e32 v15, 29, v15
	s_delay_alu instid0(VALU_DEP_1) | instskip(NEXT) | instid1(VALU_DEP_1)
	v_dual_cndmask_b32 v15, v17, v15 :: v_dual_lshlrev_b32 v16, v16, v10
	v_and_b32_e32 v16, 7, v16
	s_delay_alu instid0(VALU_DEP_2) | instskip(NEXT) | instid1(VALU_DEP_2)
	v_lshl_add_u32 v15, v15, 23, 0x3b800000
	v_cndmask_b32_e32 v14, v14, v16, vcc_lo
	v_and_b32_e32 v16, 0x80000000, v18
	s_delay_alu instid0(VALU_DEP_2) | instskip(NEXT) | instid1(VALU_DEP_1)
	v_lshlrev_b32_e32 v14, 20, v14
	v_or3_b32 v14, v16, v15, v14
.LBB6_731:                              ;   in Loop: Header=BB6_142 Depth=2
	s_or_b32 exec_lo, exec_lo, s26
	s_delay_alu instid0(VALU_DEP_1) | instskip(SKIP_1) | instid1(VALU_DEP_1)
	v_dual_mul_f32 v14, s25, v14 :: v_dual_mov_b32 v151, 0x80
	s_mov_b32 s26, exec_lo
	v_and_b32_e32 v15, 0x7f800000, v14
	s_delay_alu instid0(VALU_DEP_1)
	v_cmpx_ne_u32_e32 0x7f800000, v15
	s_cbranch_execz .LBB6_739
; %bb.732:                              ;   in Loop: Header=BB6_142 Depth=2
	v_mov_b32_e32 v151, 0
	s_mov_b32 s27, exec_lo
	v_cmpx_ne_u32_e32 0, v14
	s_cbranch_execz .LBB6_738
; %bb.733:                              ;   in Loop: Header=BB6_142 Depth=2
	v_bfe_u32 v15, v14, 23, 8
	s_delay_alu instid0(VALU_DEP_1) | instskip(SKIP_1) | instid1(VALU_DEP_2)
	v_sub_nc_u32_e32 v17, 0x78, v15
	v_cmp_gt_u32_e32 vcc_lo, 0x79, v15
	v_dual_cndmask_b32 v17, 0, v17 :: v_dual_and_b32 v16, 0x7fffff, v14
	s_delay_alu instid0(VALU_DEP_1) | instskip(SKIP_2) | instid1(VALU_DEP_4)
	v_or_b32_e32 v18, 0x800000, v16
	v_cmp_eq_u32_e32 vcc_lo, 0, v15
	v_add_nc_u32_e32 v15, 0xffffff89, v15
	v_cndmask_b32_e64 v17, v17, 0x77, vcc_lo
	s_delay_alu instid0(VALU_DEP_4) | instskip(NEXT) | instid1(VALU_DEP_3)
	v_cndmask_b32_e32 v16, v18, v16, vcc_lo
	v_cndmask_b32_e64 v15, v15, 0xffffff8a, vcc_lo
	s_delay_alu instid0(VALU_DEP_3) | instskip(NEXT) | instid1(VALU_DEP_3)
	v_lshl_add_u32 v18, 0x100000, v17, -1
	v_lshrrev_b32_e32 v19, v17, v16
	v_lshlrev_b32_e64 v21, v17, 0x80000
	s_delay_alu instid0(VALU_DEP_4) | instskip(NEXT) | instid1(VALU_DEP_4)
	v_add_nc_u32_e32 v17, v17, v15
	v_and_b32_e32 v16, v18, v16
	s_delay_alu instid0(VALU_DEP_4) | instskip(NEXT) | instid1(VALU_DEP_2)
	v_bfe_u32 v20, v19, 20, 1
	v_cmp_eq_u32_e64 s11, v16, v21
	s_delay_alu instid0(VALU_DEP_2) | instskip(NEXT) | instid1(VALU_DEP_1)
	v_add_nc_u32_e32 v18, -1, v20
	v_cndmask_b32_e64 v16, 0, v18, s11
	v_lshrrev_b32_e32 v18, 23, v19
	s_mov_b32 s11, exec_lo
	s_delay_alu instid0(VALU_DEP_2) | instskip(NEXT) | instid1(VALU_DEP_2)
	v_add_nc_u32_e32 v16, v16, v19
	v_xor_b32_e32 v18, 1, v18
	s_delay_alu instid0(VALU_DEP_2) | instskip(NEXT) | instid1(VALU_DEP_1)
	v_and_b32_e32 v15, 0xfffff, v16
	v_add_nc_u32_e32 v16, v15, v19
                                        ; implicit-def: $vgpr15
	s_delay_alu instid0(VALU_DEP_3)
	v_cmpx_ne_u32_e64 v17, v18
	s_xor_b32 s11, exec_lo, s11
; %bb.734:                              ;   in Loop: Header=BB6_142 Depth=2
	s_delay_alu instid0(VALU_DEP_2) | instskip(SKIP_2) | instid1(VALU_DEP_2)
	v_cmp_lt_u32_e32 vcc_lo, 0xffffff, v16
	v_sub_nc_u32_e32 v15, v17, v18
	v_cndmask_b32_e64 v17, 0, 1, vcc_lo
	v_add_co_ci_u32_e32 v15, vcc_lo, 0, v15, vcc_lo
	s_delay_alu instid0(VALU_DEP_2)
	v_lshrrev_b32_e32 v16, v17, v16
; %bb.735:                              ;   in Loop: Header=BB6_142 Depth=2
	s_and_not1_saveexec_b32 s11, s11
; %bb.736:                              ;   in Loop: Header=BB6_142 Depth=2
	s_delay_alu instid0(VALU_DEP_1)
	v_bfe_u32 v15, v16, 23, 1
; %bb.737:                              ;   in Loop: Header=BB6_142 Depth=2
	s_or_b32 exec_lo, exec_lo, s11
	v_lshrrev_b32_e32 v16, 20, v16
	s_delay_alu instid0(VALU_DEP_2) | instskip(SKIP_2) | instid1(VALU_DEP_2)
	v_cmp_gt_i32_e32 vcc_lo, 16, v15
	v_min_i32_e32 v17, 15, v15
	v_lshrrev_b32_e32 v14, 24, v14
	v_dual_cndmask_b32 v16, 7, v16 :: v_dual_lshlrev_b32 v17, 3, v17
	s_delay_alu instid0(VALU_DEP_2) | instskip(NEXT) | instid1(VALU_DEP_2)
	v_and_b32_e32 v14, 0x80, v14
	v_or_b32_e32 v15, v15, v16
	s_delay_alu instid0(VALU_DEP_1) | instskip(SKIP_1) | instid1(VALU_DEP_1)
	v_cmp_ne_u32_e32 vcc_lo, 0, v15
	v_and_b32_e32 v18, 7, v16
	v_or3_b32 v14, v17, v14, v18
	s_delay_alu instid0(VALU_DEP_1)
	v_cndmask_b32_e32 v151, 0, v14, vcc_lo
.LBB6_738:                              ;   in Loop: Header=BB6_142 Depth=2
	s_or_b32 exec_lo, exec_lo, s27
.LBB6_739:                              ;   in Loop: Header=BB6_142 Depth=2
	s_delay_alu instid0(SALU_CYCLE_1) | instskip(SKIP_3) | instid1(VALU_DEP_1)
	s_or_b32 exec_lo, exec_lo, s26
	v_lshrrev_b16 v14, 8, v10
	s_mov_b32 s11, 0
	s_mov_b32 s27, exec_lo
                                        ; implicit-def: $sgpr26
	v_cmpx_lt_i16_e32 0x7f, v14
	s_xor_b32 s27, exec_lo, s27
	s_cbranch_execnz .LBB6_2137
; %bb.740:                              ;   in Loop: Header=BB6_142 Depth=2
	s_or_saveexec_b32 s27, s27
	v_mov_b32_e32 v15, s26
	s_xor_b32 exec_lo, exec_lo, s27
	s_cbranch_execnz .LBB6_2140
.LBB6_741:                              ;   in Loop: Header=BB6_142 Depth=2
	s_or_b32 exec_lo, exec_lo, s27
	s_and_saveexec_b32 s26, s11
	s_cbranch_execz .LBB6_743
.LBB6_742:                              ;   in Loop: Header=BB6_142 Depth=2
	v_and_b32_e32 v15, 0xffff, v14
	v_lshlrev_b32_e32 v14, 24, v14
	s_delay_alu instid0(VALU_DEP_2) | instskip(NEXT) | instid1(VALU_DEP_2)
	v_and_b32_e32 v16, 7, v15
	v_and_b32_e32 v14, 0x80000000, v14
	s_delay_alu instid0(VALU_DEP_2) | instskip(NEXT) | instid1(VALU_DEP_1)
	v_clz_i32_u32_e32 v17, v16
	v_min_u32_e32 v17, 32, v17
	s_delay_alu instid0(VALU_DEP_1) | instskip(SKIP_1) | instid1(VALU_DEP_2)
	v_subrev_nc_u32_e32 v18, 28, v17
	v_sub_nc_u32_e32 v17, 29, v17
	v_lshlrev_b32_e32 v18, v18, v15
	v_bfe_u32 v15, v15, 3, 4
	s_delay_alu instid0(VALU_DEP_2) | instskip(NEXT) | instid1(VALU_DEP_2)
	v_and_b32_e32 v18, 7, v18
	v_cmp_eq_u32_e32 vcc_lo, 0, v15
	s_delay_alu instid0(VALU_DEP_2) | instskip(NEXT) | instid1(VALU_DEP_1)
	v_dual_cndmask_b32 v15, v15, v17 :: v_dual_cndmask_b32 v16, v16, v18
	v_lshl_add_u32 v15, v15, 23, 0x3b800000
	s_delay_alu instid0(VALU_DEP_2) | instskip(NEXT) | instid1(VALU_DEP_1)
	v_lshlrev_b32_e32 v16, 20, v16
	v_or3_b32 v15, v14, v15, v16
.LBB6_743:                              ;   in Loop: Header=BB6_142 Depth=2
	s_or_b32 exec_lo, exec_lo, s26
	s_delay_alu instid0(VALU_DEP_1) | instskip(SKIP_1) | instid1(VALU_DEP_1)
	v_dual_mul_f32 v14, s25, v15 :: v_dual_mov_b32 v149, 0x80
	s_mov_b32 s26, exec_lo
	v_and_b32_e32 v15, 0x7f800000, v14
	s_delay_alu instid0(VALU_DEP_1)
	v_cmpx_ne_u32_e32 0x7f800000, v15
	s_cbranch_execz .LBB6_751
; %bb.744:                              ;   in Loop: Header=BB6_142 Depth=2
	v_mov_b32_e32 v149, 0
	s_mov_b32 s27, exec_lo
	v_cmpx_ne_u32_e32 0, v14
	s_cbranch_execz .LBB6_750
; %bb.745:                              ;   in Loop: Header=BB6_142 Depth=2
	v_bfe_u32 v15, v14, 23, 8
	s_delay_alu instid0(VALU_DEP_1) | instskip(SKIP_1) | instid1(VALU_DEP_2)
	v_sub_nc_u32_e32 v17, 0x78, v15
	v_cmp_gt_u32_e32 vcc_lo, 0x79, v15
	v_dual_cndmask_b32 v17, 0, v17 :: v_dual_and_b32 v16, 0x7fffff, v14
	s_delay_alu instid0(VALU_DEP_1) | instskip(SKIP_2) | instid1(VALU_DEP_4)
	v_or_b32_e32 v18, 0x800000, v16
	v_cmp_eq_u32_e32 vcc_lo, 0, v15
	v_add_nc_u32_e32 v15, 0xffffff89, v15
	v_cndmask_b32_e64 v17, v17, 0x77, vcc_lo
	s_delay_alu instid0(VALU_DEP_4) | instskip(NEXT) | instid1(VALU_DEP_3)
	v_cndmask_b32_e32 v16, v18, v16, vcc_lo
	v_cndmask_b32_e64 v15, v15, 0xffffff8a, vcc_lo
	s_delay_alu instid0(VALU_DEP_3) | instskip(NEXT) | instid1(VALU_DEP_3)
	v_lshl_add_u32 v18, 0x100000, v17, -1
	v_lshrrev_b32_e32 v19, v17, v16
	v_lshlrev_b32_e64 v21, v17, 0x80000
	s_delay_alu instid0(VALU_DEP_4) | instskip(NEXT) | instid1(VALU_DEP_4)
	v_add_nc_u32_e32 v17, v17, v15
	v_and_b32_e32 v16, v18, v16
	s_delay_alu instid0(VALU_DEP_4) | instskip(NEXT) | instid1(VALU_DEP_2)
	v_bfe_u32 v20, v19, 20, 1
	v_cmp_eq_u32_e64 s11, v16, v21
	s_delay_alu instid0(VALU_DEP_2) | instskip(NEXT) | instid1(VALU_DEP_1)
	v_add_nc_u32_e32 v18, -1, v20
	v_cndmask_b32_e64 v16, 0, v18, s11
	v_lshrrev_b32_e32 v18, 23, v19
	s_mov_b32 s11, exec_lo
	s_delay_alu instid0(VALU_DEP_2) | instskip(NEXT) | instid1(VALU_DEP_2)
	v_add_nc_u32_e32 v16, v16, v19
	v_xor_b32_e32 v18, 1, v18
	s_delay_alu instid0(VALU_DEP_2) | instskip(NEXT) | instid1(VALU_DEP_1)
	v_and_b32_e32 v15, 0xfffff, v16
	v_add_nc_u32_e32 v16, v15, v19
                                        ; implicit-def: $vgpr15
	s_delay_alu instid0(VALU_DEP_3)
	v_cmpx_ne_u32_e64 v17, v18
	s_xor_b32 s11, exec_lo, s11
; %bb.746:                              ;   in Loop: Header=BB6_142 Depth=2
	s_delay_alu instid0(VALU_DEP_2) | instskip(SKIP_2) | instid1(VALU_DEP_2)
	v_cmp_lt_u32_e32 vcc_lo, 0xffffff, v16
	v_sub_nc_u32_e32 v15, v17, v18
	v_cndmask_b32_e64 v17, 0, 1, vcc_lo
	v_add_co_ci_u32_e32 v15, vcc_lo, 0, v15, vcc_lo
	s_delay_alu instid0(VALU_DEP_2)
	v_lshrrev_b32_e32 v16, v17, v16
; %bb.747:                              ;   in Loop: Header=BB6_142 Depth=2
	s_and_not1_saveexec_b32 s11, s11
; %bb.748:                              ;   in Loop: Header=BB6_142 Depth=2
	s_delay_alu instid0(VALU_DEP_1)
	v_bfe_u32 v15, v16, 23, 1
; %bb.749:                              ;   in Loop: Header=BB6_142 Depth=2
	s_or_b32 exec_lo, exec_lo, s11
	v_lshrrev_b32_e32 v16, 20, v16
	s_delay_alu instid0(VALU_DEP_2) | instskip(SKIP_2) | instid1(VALU_DEP_2)
	v_cmp_gt_i32_e32 vcc_lo, 16, v15
	v_min_i32_e32 v17, 15, v15
	v_lshrrev_b32_e32 v14, 24, v14
	v_dual_cndmask_b32 v16, 7, v16 :: v_dual_lshlrev_b32 v17, 3, v17
	s_delay_alu instid0(VALU_DEP_2) | instskip(NEXT) | instid1(VALU_DEP_2)
	v_and_b32_e32 v14, 0x80, v14
	v_or_b32_e32 v15, v15, v16
	s_delay_alu instid0(VALU_DEP_1) | instskip(SKIP_1) | instid1(VALU_DEP_1)
	v_cmp_ne_u32_e32 vcc_lo, 0, v15
	v_and_b32_e32 v18, 7, v16
	v_or3_b32 v14, v17, v14, v18
	s_delay_alu instid0(VALU_DEP_1)
	v_cndmask_b32_e32 v149, 0, v14, vcc_lo
.LBB6_750:                              ;   in Loop: Header=BB6_142 Depth=2
	s_or_b32 exec_lo, exec_lo, s27
.LBB6_751:                              ;   in Loop: Header=BB6_142 Depth=2
	s_delay_alu instid0(SALU_CYCLE_1) | instskip(SKIP_3) | instid1(VALU_DEP_1)
	s_or_b32 exec_lo, exec_lo, s26
	v_lshrrev_b32_e32 v14, 16, v10
	s_mov_b32 s11, 0
	s_mov_b32 s27, exec_lo
                                        ; implicit-def: $sgpr26
	v_and_b32_e32 v16, 0xff, v14
	s_delay_alu instid0(VALU_DEP_1)
	v_cmpx_lt_i16_e32 0x7f, v16
	s_xor_b32 s27, exec_lo, s27
	s_cbranch_execnz .LBB6_2141
; %bb.752:                              ;   in Loop: Header=BB6_142 Depth=2
	s_or_saveexec_b32 s27, s27
	v_mov_b32_e32 v15, s26
	s_xor_b32 exec_lo, exec_lo, s27
	s_cbranch_execnz .LBB6_2144
.LBB6_753:                              ;   in Loop: Header=BB6_142 Depth=2
	s_or_b32 exec_lo, exec_lo, s27
	s_and_saveexec_b32 s26, s11
	s_cbranch_execz .LBB6_755
.LBB6_754:                              ;   in Loop: Header=BB6_142 Depth=2
	v_bfe_u32 v15, v10, 16, 3
	v_lshlrev_b32_e32 v18, 8, v10
	s_delay_alu instid0(VALU_DEP_2) | instskip(NEXT) | instid1(VALU_DEP_1)
	v_clz_i32_u32_e32 v16, v15
	v_min_u32_e32 v16, 32, v16
	s_delay_alu instid0(VALU_DEP_1) | instskip(SKIP_1) | instid1(VALU_DEP_2)
	v_subrev_nc_u32_e32 v17, 28, v16
	v_sub_nc_u32_e32 v16, 29, v16
	v_lshlrev_b32_e32 v14, v17, v14
	v_bfe_u32 v17, v10, 19, 4
	s_delay_alu instid0(VALU_DEP_2) | instskip(NEXT) | instid1(VALU_DEP_2)
	v_and_b32_e32 v14, 7, v14
	v_cmp_eq_u32_e32 vcc_lo, 0, v17
	v_cndmask_b32_e32 v16, v17, v16, vcc_lo
	s_delay_alu instid0(VALU_DEP_3) | instskip(SKIP_1) | instid1(VALU_DEP_3)
	v_cndmask_b32_e32 v14, v15, v14, vcc_lo
	v_and_b32_e32 v15, 0x80000000, v18
	v_lshl_add_u32 v16, v16, 23, 0x3b800000
	s_delay_alu instid0(VALU_DEP_3) | instskip(NEXT) | instid1(VALU_DEP_1)
	v_lshlrev_b32_e32 v14, 20, v14
	v_or3_b32 v15, v15, v16, v14
.LBB6_755:                              ;   in Loop: Header=BB6_142 Depth=2
	s_or_b32 exec_lo, exec_lo, s26
	s_delay_alu instid0(VALU_DEP_1) | instskip(SKIP_1) | instid1(VALU_DEP_1)
	v_dual_mul_f32 v14, s25, v15 :: v_dual_mov_b32 v147, 0x80
	s_mov_b32 s26, exec_lo
	v_and_b32_e32 v15, 0x7f800000, v14
	s_delay_alu instid0(VALU_DEP_1)
	v_cmpx_ne_u32_e32 0x7f800000, v15
	s_cbranch_execz .LBB6_763
; %bb.756:                              ;   in Loop: Header=BB6_142 Depth=2
	v_mov_b32_e32 v147, 0
	s_mov_b32 s27, exec_lo
	v_cmpx_ne_u32_e32 0, v14
	s_cbranch_execz .LBB6_762
; %bb.757:                              ;   in Loop: Header=BB6_142 Depth=2
	v_bfe_u32 v15, v14, 23, 8
	s_delay_alu instid0(VALU_DEP_1) | instskip(SKIP_1) | instid1(VALU_DEP_2)
	v_sub_nc_u32_e32 v17, 0x78, v15
	v_cmp_gt_u32_e32 vcc_lo, 0x79, v15
	v_dual_cndmask_b32 v17, 0, v17 :: v_dual_and_b32 v16, 0x7fffff, v14
	s_delay_alu instid0(VALU_DEP_1) | instskip(SKIP_2) | instid1(VALU_DEP_4)
	v_or_b32_e32 v18, 0x800000, v16
	v_cmp_eq_u32_e32 vcc_lo, 0, v15
	v_add_nc_u32_e32 v15, 0xffffff89, v15
	v_cndmask_b32_e64 v17, v17, 0x77, vcc_lo
	s_delay_alu instid0(VALU_DEP_4) | instskip(NEXT) | instid1(VALU_DEP_3)
	v_cndmask_b32_e32 v16, v18, v16, vcc_lo
	v_cndmask_b32_e64 v15, v15, 0xffffff8a, vcc_lo
	s_delay_alu instid0(VALU_DEP_3) | instskip(NEXT) | instid1(VALU_DEP_3)
	v_lshl_add_u32 v18, 0x100000, v17, -1
	v_lshrrev_b32_e32 v19, v17, v16
	v_lshlrev_b32_e64 v21, v17, 0x80000
	s_delay_alu instid0(VALU_DEP_4) | instskip(NEXT) | instid1(VALU_DEP_4)
	v_add_nc_u32_e32 v17, v17, v15
	v_and_b32_e32 v16, v18, v16
	s_delay_alu instid0(VALU_DEP_4) | instskip(NEXT) | instid1(VALU_DEP_2)
	v_bfe_u32 v20, v19, 20, 1
	v_cmp_eq_u32_e64 s11, v16, v21
	s_delay_alu instid0(VALU_DEP_2) | instskip(NEXT) | instid1(VALU_DEP_1)
	v_add_nc_u32_e32 v18, -1, v20
	v_cndmask_b32_e64 v16, 0, v18, s11
	v_lshrrev_b32_e32 v18, 23, v19
	s_mov_b32 s11, exec_lo
	s_delay_alu instid0(VALU_DEP_2) | instskip(NEXT) | instid1(VALU_DEP_2)
	v_add_nc_u32_e32 v16, v16, v19
	v_xor_b32_e32 v18, 1, v18
	s_delay_alu instid0(VALU_DEP_2) | instskip(NEXT) | instid1(VALU_DEP_1)
	v_and_b32_e32 v15, 0xfffff, v16
	v_add_nc_u32_e32 v16, v15, v19
                                        ; implicit-def: $vgpr15
	s_delay_alu instid0(VALU_DEP_3)
	v_cmpx_ne_u32_e64 v17, v18
	s_xor_b32 s11, exec_lo, s11
; %bb.758:                              ;   in Loop: Header=BB6_142 Depth=2
	s_delay_alu instid0(VALU_DEP_2) | instskip(SKIP_2) | instid1(VALU_DEP_2)
	v_cmp_lt_u32_e32 vcc_lo, 0xffffff, v16
	v_sub_nc_u32_e32 v15, v17, v18
	v_cndmask_b32_e64 v17, 0, 1, vcc_lo
	v_add_co_ci_u32_e32 v15, vcc_lo, 0, v15, vcc_lo
	s_delay_alu instid0(VALU_DEP_2)
	v_lshrrev_b32_e32 v16, v17, v16
; %bb.759:                              ;   in Loop: Header=BB6_142 Depth=2
	s_and_not1_saveexec_b32 s11, s11
; %bb.760:                              ;   in Loop: Header=BB6_142 Depth=2
	s_delay_alu instid0(VALU_DEP_1)
	v_bfe_u32 v15, v16, 23, 1
; %bb.761:                              ;   in Loop: Header=BB6_142 Depth=2
	s_or_b32 exec_lo, exec_lo, s11
	v_lshrrev_b32_e32 v16, 20, v16
	s_delay_alu instid0(VALU_DEP_2) | instskip(SKIP_2) | instid1(VALU_DEP_2)
	v_cmp_gt_i32_e32 vcc_lo, 16, v15
	v_min_i32_e32 v17, 15, v15
	v_lshrrev_b32_e32 v14, 24, v14
	v_dual_cndmask_b32 v16, 7, v16 :: v_dual_lshlrev_b32 v17, 3, v17
	s_delay_alu instid0(VALU_DEP_2) | instskip(NEXT) | instid1(VALU_DEP_2)
	v_and_b32_e32 v14, 0x80, v14
	v_or_b32_e32 v15, v15, v16
	s_delay_alu instid0(VALU_DEP_1) | instskip(SKIP_1) | instid1(VALU_DEP_1)
	v_cmp_ne_u32_e32 vcc_lo, 0, v15
	v_and_b32_e32 v18, 7, v16
	v_or3_b32 v14, v17, v14, v18
	s_delay_alu instid0(VALU_DEP_1)
	v_cndmask_b32_e32 v147, 0, v14, vcc_lo
.LBB6_762:                              ;   in Loop: Header=BB6_142 Depth=2
	s_or_b32 exec_lo, exec_lo, s27
.LBB6_763:                              ;   in Loop: Header=BB6_142 Depth=2
	s_delay_alu instid0(SALU_CYCLE_1) | instskip(SKIP_3) | instid1(VALU_DEP_1)
	s_or_b32 exec_lo, exec_lo, s26
	v_lshrrev_b32_e32 v14, 24, v10
	s_mov_b32 s11, 0
	s_mov_b32 s27, exec_lo
                                        ; implicit-def: $sgpr26
	v_cmpx_lt_i16_e32 0x7f, v14
	s_xor_b32 s27, exec_lo, s27
	s_cbranch_execnz .LBB6_2145
; %bb.764:                              ;   in Loop: Header=BB6_142 Depth=2
	s_or_saveexec_b32 s27, s27
	v_mov_b32_e32 v15, s26
	s_xor_b32 exec_lo, exec_lo, s27
	s_cbranch_execnz .LBB6_2148
.LBB6_765:                              ;   in Loop: Header=BB6_142 Depth=2
	s_or_b32 exec_lo, exec_lo, s27
	s_and_saveexec_b32 s26, s11
	s_cbranch_execz .LBB6_767
.LBB6_766:                              ;   in Loop: Header=BB6_142 Depth=2
	v_bfe_u32 v15, v10, 24, 3
	s_delay_alu instid0(VALU_DEP_1) | instskip(NEXT) | instid1(VALU_DEP_1)
	v_clz_i32_u32_e32 v16, v15
	v_min_u32_e32 v16, 32, v16
	s_delay_alu instid0(VALU_DEP_1) | instskip(SKIP_1) | instid1(VALU_DEP_2)
	v_subrev_nc_u32_e32 v17, 28, v16
	v_sub_nc_u32_e32 v16, 29, v16
	v_lshlrev_b32_e32 v14, v17, v14
	v_bfe_u32 v17, v10, 27, 4
	v_and_b32_e32 v10, 0x80000000, v10
	s_delay_alu instid0(VALU_DEP_3) | instskip(NEXT) | instid1(VALU_DEP_3)
	v_and_b32_e32 v14, 7, v14
	v_cmp_eq_u32_e32 vcc_lo, 0, v17
	v_cndmask_b32_e32 v16, v17, v16, vcc_lo
	s_delay_alu instid0(VALU_DEP_3) | instskip(NEXT) | instid1(VALU_DEP_2)
	v_cndmask_b32_e32 v14, v15, v14, vcc_lo
	v_lshl_add_u32 v15, v16, 23, 0x3b800000
	s_delay_alu instid0(VALU_DEP_2) | instskip(NEXT) | instid1(VALU_DEP_1)
	v_lshlrev_b32_e32 v14, 20, v14
	v_or3_b32 v15, v10, v15, v14
.LBB6_767:                              ;   in Loop: Header=BB6_142 Depth=2
	s_or_b32 exec_lo, exec_lo, s26
	s_delay_alu instid0(VALU_DEP_1) | instskip(SKIP_1) | instid1(VALU_DEP_1)
	v_dual_mul_f32 v10, s25, v15 :: v_dual_mov_b32 v145, 0x80
	s_mov_b32 s26, exec_lo
	v_and_b32_e32 v14, 0x7f800000, v10
	s_delay_alu instid0(VALU_DEP_1)
	v_cmpx_ne_u32_e32 0x7f800000, v14
	s_cbranch_execz .LBB6_775
; %bb.768:                              ;   in Loop: Header=BB6_142 Depth=2
	v_mov_b32_e32 v145, 0
	s_mov_b32 s27, exec_lo
	v_cmpx_ne_u32_e32 0, v10
	s_cbranch_execz .LBB6_774
; %bb.769:                              ;   in Loop: Header=BB6_142 Depth=2
	v_bfe_u32 v14, v10, 23, 8
	s_delay_alu instid0(VALU_DEP_1) | instskip(SKIP_1) | instid1(VALU_DEP_2)
	v_sub_nc_u32_e32 v16, 0x78, v14
	v_cmp_gt_u32_e32 vcc_lo, 0x79, v14
	v_dual_cndmask_b32 v16, 0, v16 :: v_dual_and_b32 v15, 0x7fffff, v10
	s_delay_alu instid0(VALU_DEP_1) | instskip(SKIP_2) | instid1(VALU_DEP_4)
	v_or_b32_e32 v17, 0x800000, v15
	v_cmp_eq_u32_e32 vcc_lo, 0, v14
	v_add_nc_u32_e32 v14, 0xffffff89, v14
	v_cndmask_b32_e64 v16, v16, 0x77, vcc_lo
	s_delay_alu instid0(VALU_DEP_4) | instskip(NEXT) | instid1(VALU_DEP_3)
	v_cndmask_b32_e32 v15, v17, v15, vcc_lo
	v_cndmask_b32_e64 v14, v14, 0xffffff8a, vcc_lo
	s_delay_alu instid0(VALU_DEP_3) | instskip(NEXT) | instid1(VALU_DEP_3)
	v_lshl_add_u32 v17, 0x100000, v16, -1
	v_lshrrev_b32_e32 v18, v16, v15
	v_lshlrev_b32_e64 v20, v16, 0x80000
	s_delay_alu instid0(VALU_DEP_4) | instskip(NEXT) | instid1(VALU_DEP_4)
	v_add_nc_u32_e32 v16, v16, v14
	v_and_b32_e32 v15, v17, v15
	s_delay_alu instid0(VALU_DEP_4) | instskip(NEXT) | instid1(VALU_DEP_2)
	v_bfe_u32 v19, v18, 20, 1
	v_cmp_eq_u32_e64 s11, v15, v20
	s_delay_alu instid0(VALU_DEP_2) | instskip(NEXT) | instid1(VALU_DEP_1)
	v_add_nc_u32_e32 v17, -1, v19
	v_cndmask_b32_e64 v15, 0, v17, s11
	v_lshrrev_b32_e32 v17, 23, v18
	s_mov_b32 s11, exec_lo
	s_delay_alu instid0(VALU_DEP_2) | instskip(NEXT) | instid1(VALU_DEP_2)
	v_add_nc_u32_e32 v15, v15, v18
	v_xor_b32_e32 v17, 1, v17
	s_delay_alu instid0(VALU_DEP_2) | instskip(NEXT) | instid1(VALU_DEP_1)
	v_and_b32_e32 v14, 0xfffff, v15
	v_add_nc_u32_e32 v15, v14, v18
                                        ; implicit-def: $vgpr14
	s_delay_alu instid0(VALU_DEP_3)
	v_cmpx_ne_u32_e64 v16, v17
	s_xor_b32 s11, exec_lo, s11
; %bb.770:                              ;   in Loop: Header=BB6_142 Depth=2
	s_delay_alu instid0(VALU_DEP_2) | instskip(SKIP_2) | instid1(VALU_DEP_2)
	v_cmp_lt_u32_e32 vcc_lo, 0xffffff, v15
	v_sub_nc_u32_e32 v14, v16, v17
	v_cndmask_b32_e64 v16, 0, 1, vcc_lo
	v_add_co_ci_u32_e32 v14, vcc_lo, 0, v14, vcc_lo
	s_delay_alu instid0(VALU_DEP_2)
	v_lshrrev_b32_e32 v15, v16, v15
; %bb.771:                              ;   in Loop: Header=BB6_142 Depth=2
	s_and_not1_saveexec_b32 s11, s11
; %bb.772:                              ;   in Loop: Header=BB6_142 Depth=2
	s_delay_alu instid0(VALU_DEP_1)
	v_bfe_u32 v14, v15, 23, 1
; %bb.773:                              ;   in Loop: Header=BB6_142 Depth=2
	s_or_b32 exec_lo, exec_lo, s11
	v_lshrrev_b32_e32 v15, 20, v15
	s_delay_alu instid0(VALU_DEP_2) | instskip(SKIP_2) | instid1(VALU_DEP_2)
	v_cmp_gt_i32_e32 vcc_lo, 16, v14
	v_lshrrev_b32_e32 v10, 24, v10
	v_min_i32_e32 v16, 15, v14
	v_dual_cndmask_b32 v15, 7, v15 :: v_dual_and_b32 v10, 0x80, v10
	s_delay_alu instid0(VALU_DEP_1) | instskip(SKIP_1) | instid1(VALU_DEP_2)
	v_or_b32_e32 v14, v14, v15
	v_and_b32_e32 v17, 7, v15
	v_cmp_ne_u32_e32 vcc_lo, 0, v14
	v_lshlrev_b32_e32 v16, 3, v16
	s_delay_alu instid0(VALU_DEP_1) | instskip(NEXT) | instid1(VALU_DEP_1)
	v_or3_b32 v10, v16, v10, v17
	v_cndmask_b32_e32 v145, 0, v10, vcc_lo
.LBB6_774:                              ;   in Loop: Header=BB6_142 Depth=2
	s_or_b32 exec_lo, exec_lo, s27
.LBB6_775:                              ;   in Loop: Header=BB6_142 Depth=2
	s_delay_alu instid0(SALU_CYCLE_1) | instskip(SKIP_3) | instid1(VALU_DEP_1)
	s_or_b32 exec_lo, exec_lo, s26
	v_and_b32_e32 v14, 0xff, v11
	s_mov_b32 s11, 0
	s_mov_b32 s27, exec_lo
                                        ; implicit-def: $sgpr26
	v_cmpx_lt_i16_e32 0x7f, v14
	s_xor_b32 s27, exec_lo, s27
	s_cbranch_execnz .LBB6_2149
; %bb.776:                              ;   in Loop: Header=BB6_142 Depth=2
	s_or_saveexec_b32 s27, s27
	v_mov_b32_e32 v10, s26
	s_xor_b32 exec_lo, exec_lo, s27
	s_cbranch_execnz .LBB6_2152
.LBB6_777:                              ;   in Loop: Header=BB6_142 Depth=2
	s_or_b32 exec_lo, exec_lo, s27
	s_and_saveexec_b32 s26, s11
	s_cbranch_execz .LBB6_779
.LBB6_778:                              ;   in Loop: Header=BB6_142 Depth=2
	v_and_b32_e32 v10, 7, v11
	v_bfe_u32 v16, v11, 3, 4
	v_lshlrev_b32_e32 v17, 24, v11
	s_delay_alu instid0(VALU_DEP_3) | instskip(NEXT) | instid1(VALU_DEP_3)
	v_clz_i32_u32_e32 v14, v10
	v_cmp_eq_u32_e32 vcc_lo, 0, v16
	s_delay_alu instid0(VALU_DEP_2) | instskip(NEXT) | instid1(VALU_DEP_1)
	v_min_u32_e32 v14, 32, v14
	v_subrev_nc_u32_e32 v15, 28, v14
	v_sub_nc_u32_e32 v14, 29, v14
	s_delay_alu instid0(VALU_DEP_1) | instskip(NEXT) | instid1(VALU_DEP_1)
	v_dual_cndmask_b32 v14, v16, v14 :: v_dual_lshlrev_b32 v15, v15, v11
	v_and_b32_e32 v15, 7, v15
	s_delay_alu instid0(VALU_DEP_2) | instskip(NEXT) | instid1(VALU_DEP_2)
	v_lshl_add_u32 v14, v14, 23, 0x3b800000
	v_dual_cndmask_b32 v10, v10, v15 :: v_dual_and_b32 v15, 0x80000000, v17
	s_delay_alu instid0(VALU_DEP_1) | instskip(NEXT) | instid1(VALU_DEP_1)
	v_lshlrev_b32_e32 v10, 20, v10
	v_or3_b32 v10, v15, v14, v10
.LBB6_779:                              ;   in Loop: Header=BB6_142 Depth=2
	s_or_b32 exec_lo, exec_lo, s26
	s_delay_alu instid0(VALU_DEP_1) | instskip(SKIP_2) | instid1(VALU_DEP_2)
	v_mul_f32_e32 v10, s25, v10
	v_mov_b32_e32 v144, 0x80
	s_mov_b32 s26, exec_lo
	v_and_b32_e32 v14, 0x7f800000, v10
	s_delay_alu instid0(VALU_DEP_1)
	v_cmpx_ne_u32_e32 0x7f800000, v14
	s_cbranch_execz .LBB6_787
; %bb.780:                              ;   in Loop: Header=BB6_142 Depth=2
	v_mov_b32_e32 v144, 0
	s_mov_b32 s27, exec_lo
	v_cmpx_ne_u32_e32 0, v10
	s_cbranch_execz .LBB6_786
; %bb.781:                              ;   in Loop: Header=BB6_142 Depth=2
	v_bfe_u32 v14, v10, 23, 8
	s_delay_alu instid0(VALU_DEP_1) | instskip(SKIP_1) | instid1(VALU_DEP_2)
	v_sub_nc_u32_e32 v16, 0x78, v14
	v_cmp_gt_u32_e32 vcc_lo, 0x79, v14
	v_dual_cndmask_b32 v16, 0, v16 :: v_dual_and_b32 v15, 0x7fffff, v10
	s_delay_alu instid0(VALU_DEP_1) | instskip(SKIP_2) | instid1(VALU_DEP_4)
	v_or_b32_e32 v17, 0x800000, v15
	v_cmp_eq_u32_e32 vcc_lo, 0, v14
	v_add_nc_u32_e32 v14, 0xffffff89, v14
	v_cndmask_b32_e64 v16, v16, 0x77, vcc_lo
	s_delay_alu instid0(VALU_DEP_4) | instskip(NEXT) | instid1(VALU_DEP_3)
	v_cndmask_b32_e32 v15, v17, v15, vcc_lo
	v_cndmask_b32_e64 v14, v14, 0xffffff8a, vcc_lo
	s_delay_alu instid0(VALU_DEP_3) | instskip(NEXT) | instid1(VALU_DEP_3)
	v_lshl_add_u32 v17, 0x100000, v16, -1
	v_lshrrev_b32_e32 v18, v16, v15
	v_lshlrev_b32_e64 v20, v16, 0x80000
	s_delay_alu instid0(VALU_DEP_4) | instskip(NEXT) | instid1(VALU_DEP_4)
	v_add_nc_u32_e32 v16, v16, v14
	v_and_b32_e32 v15, v17, v15
	s_delay_alu instid0(VALU_DEP_4) | instskip(NEXT) | instid1(VALU_DEP_2)
	v_bfe_u32 v19, v18, 20, 1
	v_cmp_eq_u32_e64 s11, v15, v20
	s_delay_alu instid0(VALU_DEP_2) | instskip(NEXT) | instid1(VALU_DEP_1)
	v_add_nc_u32_e32 v17, -1, v19
	v_cndmask_b32_e64 v15, 0, v17, s11
	v_lshrrev_b32_e32 v17, 23, v18
	s_mov_b32 s11, exec_lo
	s_delay_alu instid0(VALU_DEP_2) | instskip(NEXT) | instid1(VALU_DEP_2)
	v_add_nc_u32_e32 v15, v15, v18
	v_xor_b32_e32 v17, 1, v17
	s_delay_alu instid0(VALU_DEP_2) | instskip(NEXT) | instid1(VALU_DEP_1)
	v_and_b32_e32 v14, 0xfffff, v15
	v_add_nc_u32_e32 v15, v14, v18
                                        ; implicit-def: $vgpr14
	s_delay_alu instid0(VALU_DEP_3)
	v_cmpx_ne_u32_e64 v16, v17
	s_xor_b32 s11, exec_lo, s11
; %bb.782:                              ;   in Loop: Header=BB6_142 Depth=2
	s_delay_alu instid0(VALU_DEP_2) | instskip(SKIP_2) | instid1(VALU_DEP_2)
	v_cmp_lt_u32_e32 vcc_lo, 0xffffff, v15
	v_sub_nc_u32_e32 v14, v16, v17
	v_cndmask_b32_e64 v16, 0, 1, vcc_lo
	v_add_co_ci_u32_e32 v14, vcc_lo, 0, v14, vcc_lo
	s_delay_alu instid0(VALU_DEP_2)
	v_lshrrev_b32_e32 v15, v16, v15
; %bb.783:                              ;   in Loop: Header=BB6_142 Depth=2
	s_and_not1_saveexec_b32 s11, s11
; %bb.784:                              ;   in Loop: Header=BB6_142 Depth=2
	s_delay_alu instid0(VALU_DEP_1)
	v_bfe_u32 v14, v15, 23, 1
; %bb.785:                              ;   in Loop: Header=BB6_142 Depth=2
	s_or_b32 exec_lo, exec_lo, s11
	v_lshrrev_b32_e32 v15, 20, v15
	s_delay_alu instid0(VALU_DEP_2) | instskip(SKIP_2) | instid1(VALU_DEP_2)
	v_cmp_gt_i32_e32 vcc_lo, 16, v14
	v_min_i32_e32 v16, 15, v14
	v_lshrrev_b32_e32 v10, 24, v10
	v_dual_cndmask_b32 v15, 7, v15 :: v_dual_lshlrev_b32 v16, 3, v16
	s_delay_alu instid0(VALU_DEP_2) | instskip(NEXT) | instid1(VALU_DEP_2)
	v_and_b32_e32 v10, 0x80, v10
	v_or_b32_e32 v14, v14, v15
	s_delay_alu instid0(VALU_DEP_3) | instskip(NEXT) | instid1(VALU_DEP_2)
	v_and_b32_e32 v16, 0xf8, v16
	v_cmp_ne_u32_e32 vcc_lo, 0, v14
	v_and_b32_e32 v17, 7, v15
	s_delay_alu instid0(VALU_DEP_1) | instskip(NEXT) | instid1(VALU_DEP_1)
	v_or3_b32 v10, v16, v10, v17
	v_cndmask_b32_e32 v144, 0, v10, vcc_lo
.LBB6_786:                              ;   in Loop: Header=BB6_142 Depth=2
	s_or_b32 exec_lo, exec_lo, s27
.LBB6_787:                              ;   in Loop: Header=BB6_142 Depth=2
	s_delay_alu instid0(SALU_CYCLE_1) | instskip(SKIP_3) | instid1(VALU_DEP_1)
	s_or_b32 exec_lo, exec_lo, s26
	v_lshrrev_b16 v10, 8, v11
	s_mov_b32 s11, 0
	s_mov_b32 s27, exec_lo
                                        ; implicit-def: $sgpr26
	v_cmpx_lt_i16_e32 0x7f, v10
	s_xor_b32 s27, exec_lo, s27
	s_cbranch_execnz .LBB6_2153
; %bb.788:                              ;   in Loop: Header=BB6_142 Depth=2
	s_or_saveexec_b32 s27, s27
	v_mov_b32_e32 v14, s26
	s_xor_b32 exec_lo, exec_lo, s27
	s_cbranch_execnz .LBB6_2156
.LBB6_789:                              ;   in Loop: Header=BB6_142 Depth=2
	s_or_b32 exec_lo, exec_lo, s27
	s_and_saveexec_b32 s26, s11
	s_cbranch_execz .LBB6_791
.LBB6_790:                              ;   in Loop: Header=BB6_142 Depth=2
	v_and_b32_e32 v14, 0xffff, v10
	v_lshlrev_b32_e32 v10, 24, v10
	s_delay_alu instid0(VALU_DEP_2) | instskip(NEXT) | instid1(VALU_DEP_2)
	v_and_b32_e32 v15, 7, v14
	v_and_b32_e32 v10, 0x80000000, v10
	s_delay_alu instid0(VALU_DEP_2) | instskip(NEXT) | instid1(VALU_DEP_1)
	v_clz_i32_u32_e32 v16, v15
	v_min_u32_e32 v16, 32, v16
	s_delay_alu instid0(VALU_DEP_1) | instskip(SKIP_1) | instid1(VALU_DEP_2)
	v_subrev_nc_u32_e32 v17, 28, v16
	v_sub_nc_u32_e32 v16, 29, v16
	v_lshlrev_b32_e32 v17, v17, v14
	v_bfe_u32 v14, v14, 3, 4
	s_delay_alu instid0(VALU_DEP_2) | instskip(NEXT) | instid1(VALU_DEP_2)
	v_and_b32_e32 v17, 7, v17
	v_cmp_eq_u32_e32 vcc_lo, 0, v14
	s_delay_alu instid0(VALU_DEP_2) | instskip(NEXT) | instid1(VALU_DEP_1)
	v_dual_cndmask_b32 v14, v14, v16 :: v_dual_cndmask_b32 v15, v15, v17
	v_lshl_add_u32 v14, v14, 23, 0x3b800000
	s_delay_alu instid0(VALU_DEP_2) | instskip(NEXT) | instid1(VALU_DEP_1)
	v_lshlrev_b32_e32 v15, 20, v15
	v_or3_b32 v14, v10, v14, v15
.LBB6_791:                              ;   in Loop: Header=BB6_142 Depth=2
	s_or_b32 exec_lo, exec_lo, s26
	s_delay_alu instid0(VALU_DEP_1) | instskip(SKIP_2) | instid1(VALU_DEP_2)
	v_mul_f32_e32 v10, s25, v14
	v_mov_b32_e32 v150, 0x8000
	s_mov_b32 s26, exec_lo
	v_and_b32_e32 v14, 0x7f800000, v10
	s_delay_alu instid0(VALU_DEP_1)
	v_cmpx_ne_u32_e32 0x7f800000, v14
	s_cbranch_execz .LBB6_799
; %bb.792:                              ;   in Loop: Header=BB6_142 Depth=2
	v_mov_b32_e32 v150, 0
	s_mov_b32 s27, exec_lo
	v_cmpx_ne_u32_e32 0, v10
	s_cbranch_execz .LBB6_798
; %bb.793:                              ;   in Loop: Header=BB6_142 Depth=2
	v_bfe_u32 v14, v10, 23, 8
	s_delay_alu instid0(VALU_DEP_1) | instskip(SKIP_1) | instid1(VALU_DEP_2)
	v_sub_nc_u32_e32 v16, 0x78, v14
	v_cmp_gt_u32_e32 vcc_lo, 0x79, v14
	v_dual_cndmask_b32 v16, 0, v16 :: v_dual_and_b32 v15, 0x7fffff, v10
	s_delay_alu instid0(VALU_DEP_1) | instskip(SKIP_2) | instid1(VALU_DEP_4)
	v_or_b32_e32 v17, 0x800000, v15
	v_cmp_eq_u32_e32 vcc_lo, 0, v14
	v_add_nc_u32_e32 v14, 0xffffff89, v14
	v_cndmask_b32_e64 v16, v16, 0x77, vcc_lo
	s_delay_alu instid0(VALU_DEP_4) | instskip(NEXT) | instid1(VALU_DEP_3)
	v_cndmask_b32_e32 v15, v17, v15, vcc_lo
	v_cndmask_b32_e64 v14, v14, 0xffffff8a, vcc_lo
	s_delay_alu instid0(VALU_DEP_3) | instskip(NEXT) | instid1(VALU_DEP_3)
	v_lshl_add_u32 v17, 0x100000, v16, -1
	v_lshrrev_b32_e32 v18, v16, v15
	v_lshlrev_b32_e64 v20, v16, 0x80000
	s_delay_alu instid0(VALU_DEP_4) | instskip(NEXT) | instid1(VALU_DEP_4)
	v_add_nc_u32_e32 v16, v16, v14
	v_and_b32_e32 v15, v17, v15
	s_delay_alu instid0(VALU_DEP_4) | instskip(NEXT) | instid1(VALU_DEP_2)
	v_bfe_u32 v19, v18, 20, 1
	v_cmp_eq_u32_e64 s11, v15, v20
	s_delay_alu instid0(VALU_DEP_2) | instskip(NEXT) | instid1(VALU_DEP_1)
	v_add_nc_u32_e32 v17, -1, v19
	v_cndmask_b32_e64 v15, 0, v17, s11
	v_lshrrev_b32_e32 v17, 23, v18
	s_mov_b32 s11, exec_lo
	s_delay_alu instid0(VALU_DEP_2) | instskip(NEXT) | instid1(VALU_DEP_2)
	v_add_nc_u32_e32 v15, v15, v18
	v_xor_b32_e32 v17, 1, v17
	s_delay_alu instid0(VALU_DEP_2) | instskip(NEXT) | instid1(VALU_DEP_1)
	v_and_b32_e32 v14, 0xfffff, v15
	v_add_nc_u32_e32 v15, v14, v18
                                        ; implicit-def: $vgpr14
	s_delay_alu instid0(VALU_DEP_3)
	v_cmpx_ne_u32_e64 v16, v17
	s_xor_b32 s11, exec_lo, s11
; %bb.794:                              ;   in Loop: Header=BB6_142 Depth=2
	s_delay_alu instid0(VALU_DEP_2) | instskip(SKIP_2) | instid1(VALU_DEP_2)
	v_cmp_lt_u32_e32 vcc_lo, 0xffffff, v15
	v_sub_nc_u32_e32 v14, v16, v17
	v_cndmask_b32_e64 v16, 0, 1, vcc_lo
	v_add_co_ci_u32_e32 v14, vcc_lo, 0, v14, vcc_lo
	s_delay_alu instid0(VALU_DEP_2)
	v_lshrrev_b32_e32 v15, v16, v15
; %bb.795:                              ;   in Loop: Header=BB6_142 Depth=2
	s_and_not1_saveexec_b32 s11, s11
; %bb.796:                              ;   in Loop: Header=BB6_142 Depth=2
	s_delay_alu instid0(VALU_DEP_1)
	v_bfe_u32 v14, v15, 23, 1
; %bb.797:                              ;   in Loop: Header=BB6_142 Depth=2
	s_or_b32 exec_lo, exec_lo, s11
	v_lshrrev_b32_e32 v15, 20, v15
	s_delay_alu instid0(VALU_DEP_2) | instskip(SKIP_2) | instid1(VALU_DEP_2)
	v_cmp_gt_i32_e32 vcc_lo, 16, v14
	v_min_i32_e32 v16, 15, v14
	v_lshrrev_b32_e32 v10, 24, v10
	v_dual_cndmask_b32 v15, 7, v15 :: v_dual_lshlrev_b32 v16, 3, v16
	s_delay_alu instid0(VALU_DEP_2) | instskip(NEXT) | instid1(VALU_DEP_2)
	v_and_b32_e32 v10, 0x80, v10
	v_or_b32_e32 v14, v14, v15
	s_delay_alu instid0(VALU_DEP_3) | instskip(NEXT) | instid1(VALU_DEP_2)
	v_and_b32_e32 v16, 0xf8, v16
	v_cmp_ne_u32_e32 vcc_lo, 0, v14
	v_and_b32_e32 v17, 7, v15
	s_delay_alu instid0(VALU_DEP_1) | instskip(NEXT) | instid1(VALU_DEP_1)
	v_or3_b32 v10, v10, v16, v17
	v_lshlrev_b32_e32 v10, 8, v10
	s_delay_alu instid0(VALU_DEP_1)
	v_cndmask_b32_e32 v150, 0, v10, vcc_lo
.LBB6_798:                              ;   in Loop: Header=BB6_142 Depth=2
	s_or_b32 exec_lo, exec_lo, s27
.LBB6_799:                              ;   in Loop: Header=BB6_142 Depth=2
	s_delay_alu instid0(SALU_CYCLE_1) | instskip(SKIP_3) | instid1(VALU_DEP_1)
	s_or_b32 exec_lo, exec_lo, s26
	v_lshrrev_b32_e32 v10, 16, v11
	s_mov_b32 s11, 0
	s_mov_b32 s27, exec_lo
                                        ; implicit-def: $sgpr26
	v_and_b32_e32 v15, 0xff, v10
	s_delay_alu instid0(VALU_DEP_1)
	v_cmpx_lt_i16_e32 0x7f, v15
	s_xor_b32 s27, exec_lo, s27
	s_cbranch_execnz .LBB6_2157
; %bb.800:                              ;   in Loop: Header=BB6_142 Depth=2
	s_or_saveexec_b32 s27, s27
	v_mov_b32_e32 v14, s26
	s_xor_b32 exec_lo, exec_lo, s27
	s_cbranch_execnz .LBB6_2160
.LBB6_801:                              ;   in Loop: Header=BB6_142 Depth=2
	s_or_b32 exec_lo, exec_lo, s27
	s_and_saveexec_b32 s26, s11
	s_cbranch_execz .LBB6_803
.LBB6_802:                              ;   in Loop: Header=BB6_142 Depth=2
	v_bfe_u32 v14, v11, 16, 3
	s_delay_alu instid0(VALU_DEP_1) | instskip(NEXT) | instid1(VALU_DEP_1)
	v_clz_i32_u32_e32 v15, v14
	v_min_u32_e32 v15, 32, v15
	s_delay_alu instid0(VALU_DEP_1) | instskip(SKIP_1) | instid1(VALU_DEP_2)
	v_subrev_nc_u32_e32 v16, 28, v15
	v_sub_nc_u32_e32 v15, 29, v15
	v_lshlrev_b32_e32 v10, v16, v10
	v_bfe_u32 v16, v11, 19, 4
	s_delay_alu instid0(VALU_DEP_1) | instskip(NEXT) | instid1(VALU_DEP_3)
	v_cmp_eq_u32_e32 vcc_lo, 0, v16
	v_dual_cndmask_b32 v15, v16, v15 :: v_dual_and_b32 v10, 7, v10
	s_delay_alu instid0(VALU_DEP_1) | instskip(NEXT) | instid1(VALU_DEP_2)
	v_dual_cndmask_b32 v10, v14, v10 :: v_dual_lshlrev_b32 v17, 8, v11
	v_lshl_add_u32 v15, v15, 23, 0x3b800000
	s_delay_alu instid0(VALU_DEP_2) | instskip(NEXT) | instid1(VALU_DEP_3)
	v_and_b32_e32 v14, 0x80000000, v17
	v_lshlrev_b32_e32 v10, 20, v10
	s_delay_alu instid0(VALU_DEP_1)
	v_or3_b32 v14, v14, v15, v10
.LBB6_803:                              ;   in Loop: Header=BB6_142 Depth=2
	s_or_b32 exec_lo, exec_lo, s26
	s_delay_alu instid0(VALU_DEP_1) | instskip(SKIP_1) | instid1(VALU_DEP_1)
	v_dual_mul_f32 v10, s25, v14 :: v_dual_mov_b32 v135, 0x80
	s_mov_b32 s26, exec_lo
	v_and_b32_e32 v14, 0x7f800000, v10
	s_delay_alu instid0(VALU_DEP_1)
	v_cmpx_ne_u32_e32 0x7f800000, v14
	s_cbranch_execz .LBB6_811
; %bb.804:                              ;   in Loop: Header=BB6_142 Depth=2
	v_mov_b32_e32 v135, 0
	s_mov_b32 s27, exec_lo
	v_cmpx_ne_u32_e32 0, v10
	s_cbranch_execz .LBB6_810
; %bb.805:                              ;   in Loop: Header=BB6_142 Depth=2
	v_bfe_u32 v14, v10, 23, 8
	s_delay_alu instid0(VALU_DEP_1) | instskip(SKIP_1) | instid1(VALU_DEP_2)
	v_sub_nc_u32_e32 v16, 0x78, v14
	v_cmp_gt_u32_e32 vcc_lo, 0x79, v14
	v_dual_cndmask_b32 v16, 0, v16 :: v_dual_and_b32 v15, 0x7fffff, v10
	s_delay_alu instid0(VALU_DEP_1) | instskip(SKIP_2) | instid1(VALU_DEP_4)
	v_or_b32_e32 v17, 0x800000, v15
	v_cmp_eq_u32_e32 vcc_lo, 0, v14
	v_add_nc_u32_e32 v14, 0xffffff89, v14
	v_cndmask_b32_e64 v16, v16, 0x77, vcc_lo
	s_delay_alu instid0(VALU_DEP_4) | instskip(NEXT) | instid1(VALU_DEP_3)
	v_cndmask_b32_e32 v15, v17, v15, vcc_lo
	v_cndmask_b32_e64 v14, v14, 0xffffff8a, vcc_lo
	s_delay_alu instid0(VALU_DEP_3) | instskip(NEXT) | instid1(VALU_DEP_3)
	v_lshl_add_u32 v17, 0x100000, v16, -1
	v_lshrrev_b32_e32 v18, v16, v15
	v_lshlrev_b32_e64 v20, v16, 0x80000
	s_delay_alu instid0(VALU_DEP_4) | instskip(NEXT) | instid1(VALU_DEP_4)
	v_add_nc_u32_e32 v16, v16, v14
	v_and_b32_e32 v15, v17, v15
	s_delay_alu instid0(VALU_DEP_4) | instskip(NEXT) | instid1(VALU_DEP_2)
	v_bfe_u32 v19, v18, 20, 1
	v_cmp_eq_u32_e64 s11, v15, v20
	s_delay_alu instid0(VALU_DEP_2) | instskip(NEXT) | instid1(VALU_DEP_1)
	v_add_nc_u32_e32 v17, -1, v19
	v_cndmask_b32_e64 v15, 0, v17, s11
	v_lshrrev_b32_e32 v17, 23, v18
	s_mov_b32 s11, exec_lo
	s_delay_alu instid0(VALU_DEP_2) | instskip(NEXT) | instid1(VALU_DEP_2)
	v_add_nc_u32_e32 v15, v15, v18
	v_xor_b32_e32 v17, 1, v17
	s_delay_alu instid0(VALU_DEP_2) | instskip(NEXT) | instid1(VALU_DEP_1)
	v_and_b32_e32 v14, 0xfffff, v15
	v_add_nc_u32_e32 v15, v14, v18
                                        ; implicit-def: $vgpr14
	s_delay_alu instid0(VALU_DEP_3)
	v_cmpx_ne_u32_e64 v16, v17
	s_xor_b32 s11, exec_lo, s11
; %bb.806:                              ;   in Loop: Header=BB6_142 Depth=2
	s_delay_alu instid0(VALU_DEP_2) | instskip(SKIP_2) | instid1(VALU_DEP_2)
	v_cmp_lt_u32_e32 vcc_lo, 0xffffff, v15
	v_sub_nc_u32_e32 v14, v16, v17
	v_cndmask_b32_e64 v16, 0, 1, vcc_lo
	v_add_co_ci_u32_e32 v14, vcc_lo, 0, v14, vcc_lo
	s_delay_alu instid0(VALU_DEP_2)
	v_lshrrev_b32_e32 v15, v16, v15
; %bb.807:                              ;   in Loop: Header=BB6_142 Depth=2
	s_and_not1_saveexec_b32 s11, s11
; %bb.808:                              ;   in Loop: Header=BB6_142 Depth=2
	s_delay_alu instid0(VALU_DEP_1)
	v_bfe_u32 v14, v15, 23, 1
; %bb.809:                              ;   in Loop: Header=BB6_142 Depth=2
	s_or_b32 exec_lo, exec_lo, s11
	v_lshrrev_b32_e32 v15, 20, v15
	s_delay_alu instid0(VALU_DEP_2) | instskip(SKIP_2) | instid1(VALU_DEP_2)
	v_cmp_gt_i32_e32 vcc_lo, 16, v14
	v_min_i32_e32 v16, 15, v14
	v_lshrrev_b32_e32 v10, 24, v10
	v_dual_cndmask_b32 v15, 7, v15 :: v_dual_lshlrev_b32 v16, 3, v16
	s_delay_alu instid0(VALU_DEP_2) | instskip(NEXT) | instid1(VALU_DEP_2)
	v_and_b32_e32 v10, 0x80, v10
	v_or_b32_e32 v14, v14, v15
	v_and_b32_e32 v17, 7, v15
	s_delay_alu instid0(VALU_DEP_2) | instskip(SKIP_1) | instid1(VALU_DEP_1)
	v_cmp_ne_u32_e32 vcc_lo, 0, v14
	v_and_b32_e32 v16, 0xf8, v16
	v_or3_b32 v10, v16, v10, v17
	s_delay_alu instid0(VALU_DEP_1)
	v_cndmask_b32_e32 v135, 0, v10, vcc_lo
.LBB6_810:                              ;   in Loop: Header=BB6_142 Depth=2
	s_or_b32 exec_lo, exec_lo, s27
.LBB6_811:                              ;   in Loop: Header=BB6_142 Depth=2
	s_delay_alu instid0(SALU_CYCLE_1) | instskip(SKIP_3) | instid1(VALU_DEP_1)
	s_or_b32 exec_lo, exec_lo, s26
	v_lshrrev_b32_e32 v10, 24, v11
	s_mov_b32 s11, 0
	s_mov_b32 s27, exec_lo
                                        ; implicit-def: $sgpr26
	v_cmpx_lt_i16_e32 0x7f, v10
	s_xor_b32 s27, exec_lo, s27
	s_cbranch_execnz .LBB6_2161
; %bb.812:                              ;   in Loop: Header=BB6_142 Depth=2
	s_or_saveexec_b32 s27, s27
	v_mov_b32_e32 v14, s26
	s_xor_b32 exec_lo, exec_lo, s27
	s_cbranch_execnz .LBB6_2164
.LBB6_813:                              ;   in Loop: Header=BB6_142 Depth=2
	s_or_b32 exec_lo, exec_lo, s27
	s_and_saveexec_b32 s26, s11
	s_cbranch_execz .LBB6_815
.LBB6_814:                              ;   in Loop: Header=BB6_142 Depth=2
	v_bfe_u32 v14, v11, 24, 3
	s_delay_alu instid0(VALU_DEP_1) | instskip(NEXT) | instid1(VALU_DEP_1)
	v_clz_i32_u32_e32 v15, v14
	v_min_u32_e32 v15, 32, v15
	s_delay_alu instid0(VALU_DEP_1) | instskip(SKIP_1) | instid1(VALU_DEP_2)
	v_subrev_nc_u32_e32 v16, 28, v15
	v_sub_nc_u32_e32 v15, 29, v15
	v_lshlrev_b32_e32 v10, v16, v10
	v_bfe_u32 v16, v11, 27, 4
	v_and_b32_e32 v11, 0x80000000, v11
	s_delay_alu instid0(VALU_DEP_2) | instskip(NEXT) | instid1(VALU_DEP_4)
	v_cmp_eq_u32_e32 vcc_lo, 0, v16
	v_dual_cndmask_b32 v15, v16, v15 :: v_dual_and_b32 v10, 7, v10
	s_delay_alu instid0(VALU_DEP_1) | instskip(NEXT) | instid1(VALU_DEP_2)
	v_cndmask_b32_e32 v10, v14, v10, vcc_lo
	v_lshl_add_u32 v14, v15, 23, 0x3b800000
	s_delay_alu instid0(VALU_DEP_2) | instskip(NEXT) | instid1(VALU_DEP_1)
	v_lshlrev_b32_e32 v10, 20, v10
	v_or3_b32 v14, v11, v14, v10
.LBB6_815:                              ;   in Loop: Header=BB6_142 Depth=2
	s_or_b32 exec_lo, exec_lo, s26
	s_delay_alu instid0(VALU_DEP_1) | instskip(SKIP_2) | instid1(VALU_DEP_2)
	v_mul_f32_e32 v10, s25, v14
	v_mov_b32_e32 v146, 0x8000
	s_mov_b32 s26, exec_lo
	v_and_b32_e32 v11, 0x7f800000, v10
	s_delay_alu instid0(VALU_DEP_1)
	v_cmpx_ne_u32_e32 0x7f800000, v11
	s_cbranch_execz .LBB6_823
; %bb.816:                              ;   in Loop: Header=BB6_142 Depth=2
	v_mov_b32_e32 v146, 0
	s_mov_b32 s27, exec_lo
	v_cmpx_ne_u32_e32 0, v10
	s_cbranch_execz .LBB6_822
; %bb.817:                              ;   in Loop: Header=BB6_142 Depth=2
	v_bfe_u32 v11, v10, 23, 8
	s_delay_alu instid0(VALU_DEP_1) | instskip(SKIP_1) | instid1(VALU_DEP_2)
	v_sub_nc_u32_e32 v15, 0x78, v11
	v_cmp_gt_u32_e32 vcc_lo, 0x79, v11
	v_dual_cndmask_b32 v15, 0, v15 :: v_dual_and_b32 v14, 0x7fffff, v10
	s_delay_alu instid0(VALU_DEP_1) | instskip(SKIP_2) | instid1(VALU_DEP_4)
	v_or_b32_e32 v16, 0x800000, v14
	v_cmp_eq_u32_e32 vcc_lo, 0, v11
	v_add_nc_u32_e32 v11, 0xffffff89, v11
	v_cndmask_b32_e64 v15, v15, 0x77, vcc_lo
	s_delay_alu instid0(VALU_DEP_4) | instskip(NEXT) | instid1(VALU_DEP_3)
	v_cndmask_b32_e32 v14, v16, v14, vcc_lo
	v_cndmask_b32_e64 v11, v11, 0xffffff8a, vcc_lo
	s_delay_alu instid0(VALU_DEP_3) | instskip(NEXT) | instid1(VALU_DEP_3)
	v_lshl_add_u32 v16, 0x100000, v15, -1
	v_lshrrev_b32_e32 v17, v15, v14
	v_lshlrev_b32_e64 v19, v15, 0x80000
	s_delay_alu instid0(VALU_DEP_4) | instskip(NEXT) | instid1(VALU_DEP_4)
	v_add_nc_u32_e32 v15, v15, v11
	v_and_b32_e32 v14, v16, v14
	s_delay_alu instid0(VALU_DEP_4) | instskip(NEXT) | instid1(VALU_DEP_2)
	v_bfe_u32 v18, v17, 20, 1
	v_cmp_eq_u32_e64 s11, v14, v19
	s_delay_alu instid0(VALU_DEP_2) | instskip(NEXT) | instid1(VALU_DEP_1)
	v_add_nc_u32_e32 v16, -1, v18
	v_cndmask_b32_e64 v14, 0, v16, s11
	v_lshrrev_b32_e32 v16, 23, v17
	s_mov_b32 s11, exec_lo
	s_delay_alu instid0(VALU_DEP_2) | instskip(NEXT) | instid1(VALU_DEP_2)
	v_add_nc_u32_e32 v14, v14, v17
	v_xor_b32_e32 v16, 1, v16
	s_delay_alu instid0(VALU_DEP_2) | instskip(NEXT) | instid1(VALU_DEP_1)
	v_and_b32_e32 v11, 0xfffff, v14
	v_add_nc_u32_e32 v14, v11, v17
                                        ; implicit-def: $vgpr11
	s_delay_alu instid0(VALU_DEP_3)
	v_cmpx_ne_u32_e64 v15, v16
	s_xor_b32 s11, exec_lo, s11
; %bb.818:                              ;   in Loop: Header=BB6_142 Depth=2
	s_delay_alu instid0(VALU_DEP_2) | instskip(SKIP_2) | instid1(VALU_DEP_2)
	v_cmp_lt_u32_e32 vcc_lo, 0xffffff, v14
	v_sub_nc_u32_e32 v11, v15, v16
	v_cndmask_b32_e64 v15, 0, 1, vcc_lo
	v_add_co_ci_u32_e32 v11, vcc_lo, 0, v11, vcc_lo
	s_delay_alu instid0(VALU_DEP_2)
	v_lshrrev_b32_e32 v14, v15, v14
; %bb.819:                              ;   in Loop: Header=BB6_142 Depth=2
	s_and_not1_saveexec_b32 s11, s11
; %bb.820:                              ;   in Loop: Header=BB6_142 Depth=2
	s_delay_alu instid0(VALU_DEP_1)
	v_bfe_u32 v11, v14, 23, 1
; %bb.821:                              ;   in Loop: Header=BB6_142 Depth=2
	s_or_b32 exec_lo, exec_lo, s11
	v_lshrrev_b32_e32 v14, 20, v14
	s_delay_alu instid0(VALU_DEP_2) | instskip(SKIP_2) | instid1(VALU_DEP_2)
	v_cmp_gt_i32_e32 vcc_lo, 16, v11
	v_min_i32_e32 v15, 15, v11
	v_lshrrev_b32_e32 v10, 24, v10
	v_dual_cndmask_b32 v14, 7, v14 :: v_dual_lshlrev_b32 v15, 3, v15
	s_delay_alu instid0(VALU_DEP_2) | instskip(NEXT) | instid1(VALU_DEP_2)
	v_and_b32_e32 v10, 0x80, v10
	v_or_b32_e32 v11, v11, v14
	v_and_b32_e32 v16, 7, v14
	s_delay_alu instid0(VALU_DEP_2) | instskip(SKIP_1) | instid1(VALU_DEP_1)
	v_cmp_ne_u32_e32 vcc_lo, 0, v11
	v_and_b32_e32 v15, 0xf8, v15
	v_or3_b32 v10, v10, v15, v16
	s_delay_alu instid0(VALU_DEP_1) | instskip(NEXT) | instid1(VALU_DEP_1)
	v_lshlrev_b32_e32 v10, 8, v10
	v_cndmask_b32_e32 v146, 0, v10, vcc_lo
.LBB6_822:                              ;   in Loop: Header=BB6_142 Depth=2
	s_or_b32 exec_lo, exec_lo, s27
.LBB6_823:                              ;   in Loop: Header=BB6_142 Depth=2
	s_delay_alu instid0(SALU_CYCLE_1) | instskip(SKIP_3) | instid1(VALU_DEP_1)
	s_or_b32 exec_lo, exec_lo, s26
	v_and_b32_e32 v11, 0xff, v12
	s_mov_b32 s11, 0
	s_mov_b32 s27, exec_lo
                                        ; implicit-def: $sgpr26
	v_cmpx_lt_i16_e32 0x7f, v11
	s_xor_b32 s27, exec_lo, s27
	s_cbranch_execnz .LBB6_2165
; %bb.824:                              ;   in Loop: Header=BB6_142 Depth=2
	s_or_saveexec_b32 s27, s27
	v_mov_b32_e32 v10, s26
	s_xor_b32 exec_lo, exec_lo, s27
	s_cbranch_execnz .LBB6_2168
.LBB6_825:                              ;   in Loop: Header=BB6_142 Depth=2
	s_or_b32 exec_lo, exec_lo, s27
	s_and_saveexec_b32 s26, s11
	s_cbranch_execz .LBB6_827
.LBB6_826:                              ;   in Loop: Header=BB6_142 Depth=2
	v_bfe_u32 v15, v12, 3, 4
	v_lshlrev_b32_e32 v16, 24, v12
	s_delay_alu instid0(VALU_DEP_2) | instskip(SKIP_1) | instid1(VALU_DEP_1)
	v_cmp_eq_u32_e32 vcc_lo, 0, v15
	v_and_b32_e32 v10, 7, v12
	v_clz_i32_u32_e32 v11, v10
	s_delay_alu instid0(VALU_DEP_1) | instskip(NEXT) | instid1(VALU_DEP_1)
	v_min_u32_e32 v11, 32, v11
	v_subrev_nc_u32_e32 v14, 28, v11
	v_sub_nc_u32_e32 v11, 29, v11
	s_delay_alu instid0(VALU_DEP_1) | instskip(NEXT) | instid1(VALU_DEP_1)
	v_dual_cndmask_b32 v11, v15, v11 :: v_dual_lshlrev_b32 v14, v14, v12
	v_and_b32_e32 v14, 7, v14
	s_delay_alu instid0(VALU_DEP_2) | instskip(NEXT) | instid1(VALU_DEP_2)
	v_lshl_add_u32 v11, v11, 23, 0x3b800000
	v_cndmask_b32_e32 v10, v10, v14, vcc_lo
	v_and_b32_e32 v14, 0x80000000, v16
	s_delay_alu instid0(VALU_DEP_2) | instskip(NEXT) | instid1(VALU_DEP_1)
	v_lshlrev_b32_e32 v10, 20, v10
	v_or3_b32 v10, v14, v11, v10
.LBB6_827:                              ;   in Loop: Header=BB6_142 Depth=2
	s_or_b32 exec_lo, exec_lo, s26
	s_delay_alu instid0(VALU_DEP_1) | instskip(SKIP_2) | instid1(VALU_DEP_2)
	v_mul_f32_e32 v10, s25, v10
	v_mov_b32_e32 v134, 0x80
	s_mov_b32 s26, exec_lo
	v_and_b32_e32 v11, 0x7f800000, v10
	s_delay_alu instid0(VALU_DEP_1)
	v_cmpx_ne_u32_e32 0x7f800000, v11
	s_cbranch_execz .LBB6_835
; %bb.828:                              ;   in Loop: Header=BB6_142 Depth=2
	v_mov_b32_e32 v134, 0
	s_mov_b32 s27, exec_lo
	v_cmpx_ne_u32_e32 0, v10
	s_cbranch_execz .LBB6_834
; %bb.829:                              ;   in Loop: Header=BB6_142 Depth=2
	v_bfe_u32 v11, v10, 23, 8
	s_delay_alu instid0(VALU_DEP_1) | instskip(SKIP_1) | instid1(VALU_DEP_2)
	v_sub_nc_u32_e32 v15, 0x78, v11
	v_cmp_gt_u32_e32 vcc_lo, 0x79, v11
	v_dual_cndmask_b32 v15, 0, v15 :: v_dual_and_b32 v14, 0x7fffff, v10
	s_delay_alu instid0(VALU_DEP_1) | instskip(SKIP_2) | instid1(VALU_DEP_4)
	v_or_b32_e32 v16, 0x800000, v14
	v_cmp_eq_u32_e32 vcc_lo, 0, v11
	v_add_nc_u32_e32 v11, 0xffffff89, v11
	v_cndmask_b32_e64 v15, v15, 0x77, vcc_lo
	s_delay_alu instid0(VALU_DEP_4) | instskip(NEXT) | instid1(VALU_DEP_3)
	v_cndmask_b32_e32 v14, v16, v14, vcc_lo
	v_cndmask_b32_e64 v11, v11, 0xffffff8a, vcc_lo
	s_delay_alu instid0(VALU_DEP_3) | instskip(NEXT) | instid1(VALU_DEP_3)
	v_lshl_add_u32 v16, 0x100000, v15, -1
	v_lshrrev_b32_e32 v17, v15, v14
	v_lshlrev_b32_e64 v19, v15, 0x80000
	s_delay_alu instid0(VALU_DEP_4) | instskip(NEXT) | instid1(VALU_DEP_4)
	v_add_nc_u32_e32 v15, v15, v11
	v_and_b32_e32 v14, v16, v14
	s_delay_alu instid0(VALU_DEP_4) | instskip(NEXT) | instid1(VALU_DEP_2)
	v_bfe_u32 v18, v17, 20, 1
	v_cmp_eq_u32_e64 s11, v14, v19
	s_delay_alu instid0(VALU_DEP_2) | instskip(NEXT) | instid1(VALU_DEP_1)
	v_add_nc_u32_e32 v16, -1, v18
	v_cndmask_b32_e64 v14, 0, v16, s11
	v_lshrrev_b32_e32 v16, 23, v17
	s_mov_b32 s11, exec_lo
	s_delay_alu instid0(VALU_DEP_2) | instskip(NEXT) | instid1(VALU_DEP_2)
	v_add_nc_u32_e32 v14, v14, v17
	v_xor_b32_e32 v16, 1, v16
	s_delay_alu instid0(VALU_DEP_2) | instskip(NEXT) | instid1(VALU_DEP_1)
	v_and_b32_e32 v11, 0xfffff, v14
	v_add_nc_u32_e32 v14, v11, v17
                                        ; implicit-def: $vgpr11
	s_delay_alu instid0(VALU_DEP_3)
	v_cmpx_ne_u32_e64 v15, v16
	s_xor_b32 s11, exec_lo, s11
; %bb.830:                              ;   in Loop: Header=BB6_142 Depth=2
	s_delay_alu instid0(VALU_DEP_2) | instskip(SKIP_2) | instid1(VALU_DEP_2)
	v_cmp_lt_u32_e32 vcc_lo, 0xffffff, v14
	v_sub_nc_u32_e32 v11, v15, v16
	v_cndmask_b32_e64 v15, 0, 1, vcc_lo
	v_add_co_ci_u32_e32 v11, vcc_lo, 0, v11, vcc_lo
	s_delay_alu instid0(VALU_DEP_2)
	v_lshrrev_b32_e32 v14, v15, v14
; %bb.831:                              ;   in Loop: Header=BB6_142 Depth=2
	s_and_not1_saveexec_b32 s11, s11
; %bb.832:                              ;   in Loop: Header=BB6_142 Depth=2
	s_delay_alu instid0(VALU_DEP_1)
	v_bfe_u32 v11, v14, 23, 1
; %bb.833:                              ;   in Loop: Header=BB6_142 Depth=2
	s_or_b32 exec_lo, exec_lo, s11
	v_lshrrev_b32_e32 v14, 20, v14
	s_delay_alu instid0(VALU_DEP_2) | instskip(SKIP_2) | instid1(VALU_DEP_4)
	v_cmp_gt_i32_e32 vcc_lo, 16, v11
	v_lshrrev_b32_e32 v10, 24, v10
	v_min_i32_e32 v15, 15, v11
	v_cndmask_b32_e32 v14, 7, v14, vcc_lo
	s_delay_alu instid0(VALU_DEP_3) | instskip(NEXT) | instid1(VALU_DEP_3)
	v_and_b32_e32 v10, 0x80, v10
	v_lshlrev_b32_e32 v15, 3, v15
	s_delay_alu instid0(VALU_DEP_3) | instskip(SKIP_1) | instid1(VALU_DEP_2)
	v_and_b32_e32 v16, 7, v14
	v_or_b32_e32 v11, v11, v14
	v_or3_b32 v10, v15, v10, v16
	s_delay_alu instid0(VALU_DEP_2) | instskip(NEXT) | instid1(VALU_DEP_2)
	v_cmp_ne_u32_e32 vcc_lo, 0, v11
	v_cndmask_b32_e32 v134, 0, v10, vcc_lo
.LBB6_834:                              ;   in Loop: Header=BB6_142 Depth=2
	s_or_b32 exec_lo, exec_lo, s27
.LBB6_835:                              ;   in Loop: Header=BB6_142 Depth=2
	s_delay_alu instid0(SALU_CYCLE_1) | instskip(SKIP_3) | instid1(VALU_DEP_1)
	s_or_b32 exec_lo, exec_lo, s26
	v_lshrrev_b16 v10, 8, v12
	s_mov_b32 s11, 0
	s_mov_b32 s27, exec_lo
                                        ; implicit-def: $sgpr26
	v_cmpx_lt_i16_e32 0x7f, v10
	s_xor_b32 s27, exec_lo, s27
	s_cbranch_execnz .LBB6_2169
; %bb.836:                              ;   in Loop: Header=BB6_142 Depth=2
	s_or_saveexec_b32 s27, s27
	v_mov_b32_e32 v11, s26
	s_xor_b32 exec_lo, exec_lo, s27
	s_cbranch_execnz .LBB6_2172
.LBB6_837:                              ;   in Loop: Header=BB6_142 Depth=2
	s_or_b32 exec_lo, exec_lo, s27
	s_and_saveexec_b32 s26, s11
	s_cbranch_execz .LBB6_839
.LBB6_838:                              ;   in Loop: Header=BB6_142 Depth=2
	v_and_b32_e32 v11, 0xffff, v10
	v_lshlrev_b32_e32 v10, 24, v10
	s_delay_alu instid0(VALU_DEP_2) | instskip(NEXT) | instid1(VALU_DEP_2)
	v_and_b32_e32 v14, 7, v11
	v_and_b32_e32 v10, 0x80000000, v10
	s_delay_alu instid0(VALU_DEP_2) | instskip(NEXT) | instid1(VALU_DEP_1)
	v_clz_i32_u32_e32 v15, v14
	v_min_u32_e32 v15, 32, v15
	s_delay_alu instid0(VALU_DEP_1) | instskip(SKIP_1) | instid1(VALU_DEP_2)
	v_subrev_nc_u32_e32 v16, 28, v15
	v_sub_nc_u32_e32 v15, 29, v15
	v_lshlrev_b32_e32 v16, v16, v11
	v_bfe_u32 v11, v11, 3, 4
	s_delay_alu instid0(VALU_DEP_1) | instskip(NEXT) | instid1(VALU_DEP_3)
	v_cmp_eq_u32_e32 vcc_lo, 0, v11
	v_dual_cndmask_b32 v11, v11, v15 :: v_dual_and_b32 v16, 7, v16
	s_delay_alu instid0(VALU_DEP_1) | instskip(NEXT) | instid1(VALU_DEP_2)
	v_cndmask_b32_e32 v14, v14, v16, vcc_lo
	v_lshl_add_u32 v11, v11, 23, 0x3b800000
	s_delay_alu instid0(VALU_DEP_2) | instskip(NEXT) | instid1(VALU_DEP_1)
	v_lshlrev_b32_e32 v14, 20, v14
	v_or3_b32 v11, v10, v11, v14
.LBB6_839:                              ;   in Loop: Header=BB6_142 Depth=2
	s_or_b32 exec_lo, exec_lo, s26
	s_delay_alu instid0(VALU_DEP_1) | instskip(SKIP_1) | instid1(VALU_DEP_1)
	v_dual_mul_f32 v10, s25, v11 :: v_dual_mov_b32 v131, 0x80
	s_mov_b32 s26, exec_lo
	v_and_b32_e32 v11, 0x7f800000, v10
	s_delay_alu instid0(VALU_DEP_1)
	v_cmpx_ne_u32_e32 0x7f800000, v11
	s_cbranch_execz .LBB6_847
; %bb.840:                              ;   in Loop: Header=BB6_142 Depth=2
	v_mov_b32_e32 v131, 0
	s_mov_b32 s27, exec_lo
	v_cmpx_ne_u32_e32 0, v10
	s_cbranch_execz .LBB6_846
; %bb.841:                              ;   in Loop: Header=BB6_142 Depth=2
	v_bfe_u32 v11, v10, 23, 8
	s_delay_alu instid0(VALU_DEP_1) | instskip(SKIP_1) | instid1(VALU_DEP_2)
	v_sub_nc_u32_e32 v15, 0x78, v11
	v_cmp_gt_u32_e32 vcc_lo, 0x79, v11
	v_dual_cndmask_b32 v15, 0, v15 :: v_dual_and_b32 v14, 0x7fffff, v10
	s_delay_alu instid0(VALU_DEP_1) | instskip(SKIP_2) | instid1(VALU_DEP_4)
	v_or_b32_e32 v16, 0x800000, v14
	v_cmp_eq_u32_e32 vcc_lo, 0, v11
	v_add_nc_u32_e32 v11, 0xffffff89, v11
	v_cndmask_b32_e64 v15, v15, 0x77, vcc_lo
	s_delay_alu instid0(VALU_DEP_4) | instskip(NEXT) | instid1(VALU_DEP_3)
	v_cndmask_b32_e32 v14, v16, v14, vcc_lo
	v_cndmask_b32_e64 v11, v11, 0xffffff8a, vcc_lo
	s_delay_alu instid0(VALU_DEP_3) | instskip(NEXT) | instid1(VALU_DEP_3)
	v_lshl_add_u32 v16, 0x100000, v15, -1
	v_lshrrev_b32_e32 v17, v15, v14
	v_lshlrev_b32_e64 v19, v15, 0x80000
	s_delay_alu instid0(VALU_DEP_4) | instskip(NEXT) | instid1(VALU_DEP_4)
	v_add_nc_u32_e32 v15, v15, v11
	v_and_b32_e32 v14, v16, v14
	s_delay_alu instid0(VALU_DEP_4) | instskip(NEXT) | instid1(VALU_DEP_2)
	v_bfe_u32 v18, v17, 20, 1
	v_cmp_eq_u32_e64 s11, v14, v19
	s_delay_alu instid0(VALU_DEP_2) | instskip(NEXT) | instid1(VALU_DEP_1)
	v_add_nc_u32_e32 v16, -1, v18
	v_cndmask_b32_e64 v14, 0, v16, s11
	v_lshrrev_b32_e32 v16, 23, v17
	s_mov_b32 s11, exec_lo
	s_delay_alu instid0(VALU_DEP_2) | instskip(NEXT) | instid1(VALU_DEP_2)
	v_add_nc_u32_e32 v14, v14, v17
	v_xor_b32_e32 v16, 1, v16
	s_delay_alu instid0(VALU_DEP_2) | instskip(NEXT) | instid1(VALU_DEP_1)
	v_and_b32_e32 v11, 0xfffff, v14
	v_add_nc_u32_e32 v14, v11, v17
                                        ; implicit-def: $vgpr11
	s_delay_alu instid0(VALU_DEP_3)
	v_cmpx_ne_u32_e64 v15, v16
	s_xor_b32 s11, exec_lo, s11
; %bb.842:                              ;   in Loop: Header=BB6_142 Depth=2
	s_delay_alu instid0(VALU_DEP_2) | instskip(SKIP_2) | instid1(VALU_DEP_2)
	v_cmp_lt_u32_e32 vcc_lo, 0xffffff, v14
	v_sub_nc_u32_e32 v11, v15, v16
	v_cndmask_b32_e64 v15, 0, 1, vcc_lo
	v_add_co_ci_u32_e32 v11, vcc_lo, 0, v11, vcc_lo
	s_delay_alu instid0(VALU_DEP_2)
	v_lshrrev_b32_e32 v14, v15, v14
; %bb.843:                              ;   in Loop: Header=BB6_142 Depth=2
	s_and_not1_saveexec_b32 s11, s11
; %bb.844:                              ;   in Loop: Header=BB6_142 Depth=2
	s_delay_alu instid0(VALU_DEP_1)
	v_bfe_u32 v11, v14, 23, 1
; %bb.845:                              ;   in Loop: Header=BB6_142 Depth=2
	s_or_b32 exec_lo, exec_lo, s11
	v_lshrrev_b32_e32 v14, 20, v14
	s_delay_alu instid0(VALU_DEP_2) | instskip(SKIP_2) | instid1(VALU_DEP_4)
	v_cmp_gt_i32_e32 vcc_lo, 16, v11
	v_lshrrev_b32_e32 v10, 24, v10
	v_min_i32_e32 v15, 15, v11
	v_cndmask_b32_e32 v14, 7, v14, vcc_lo
	s_delay_alu instid0(VALU_DEP_3) | instskip(NEXT) | instid1(VALU_DEP_3)
	v_and_b32_e32 v10, 0x80, v10
	v_lshlrev_b32_e32 v15, 3, v15
	s_delay_alu instid0(VALU_DEP_3) | instskip(SKIP_1) | instid1(VALU_DEP_2)
	v_and_b32_e32 v16, 7, v14
	v_or_b32_e32 v11, v11, v14
	v_or3_b32 v10, v15, v10, v16
	s_delay_alu instid0(VALU_DEP_2) | instskip(NEXT) | instid1(VALU_DEP_2)
	v_cmp_ne_u32_e32 vcc_lo, 0, v11
	v_cndmask_b32_e32 v131, 0, v10, vcc_lo
.LBB6_846:                              ;   in Loop: Header=BB6_142 Depth=2
	s_or_b32 exec_lo, exec_lo, s27
.LBB6_847:                              ;   in Loop: Header=BB6_142 Depth=2
	s_delay_alu instid0(SALU_CYCLE_1) | instskip(SKIP_3) | instid1(VALU_DEP_1)
	s_or_b32 exec_lo, exec_lo, s26
	v_lshrrev_b32_e32 v10, 16, v12
	s_mov_b32 s11, 0
	s_mov_b32 s27, exec_lo
                                        ; implicit-def: $sgpr26
	v_and_b32_e32 v14, 0xff, v10
	s_delay_alu instid0(VALU_DEP_1)
	v_cmpx_lt_i16_e32 0x7f, v14
	s_xor_b32 s27, exec_lo, s27
	s_cbranch_execnz .LBB6_2173
; %bb.848:                              ;   in Loop: Header=BB6_142 Depth=2
	s_or_saveexec_b32 s27, s27
	v_mov_b32_e32 v11, s26
	s_xor_b32 exec_lo, exec_lo, s27
	s_cbranch_execnz .LBB6_2176
.LBB6_849:                              ;   in Loop: Header=BB6_142 Depth=2
	s_or_b32 exec_lo, exec_lo, s27
	s_and_saveexec_b32 s26, s11
	s_cbranch_execz .LBB6_851
.LBB6_850:                              ;   in Loop: Header=BB6_142 Depth=2
	v_bfe_u32 v11, v12, 16, 3
	v_lshlrev_b32_e32 v16, 8, v12
	s_delay_alu instid0(VALU_DEP_2) | instskip(NEXT) | instid1(VALU_DEP_1)
	v_clz_i32_u32_e32 v14, v11
	v_min_u32_e32 v14, 32, v14
	s_delay_alu instid0(VALU_DEP_1) | instskip(SKIP_1) | instid1(VALU_DEP_2)
	v_subrev_nc_u32_e32 v15, 28, v14
	v_sub_nc_u32_e32 v14, 29, v14
	v_lshlrev_b32_e32 v10, v15, v10
	v_bfe_u32 v15, v12, 19, 4
	s_delay_alu instid0(VALU_DEP_2) | instskip(NEXT) | instid1(VALU_DEP_2)
	v_and_b32_e32 v10, 7, v10
	v_cmp_eq_u32_e32 vcc_lo, 0, v15
	v_cndmask_b32_e32 v14, v15, v14, vcc_lo
	s_delay_alu instid0(VALU_DEP_3) | instskip(NEXT) | instid1(VALU_DEP_2)
	v_dual_cndmask_b32 v10, v11, v10 :: v_dual_and_b32 v11, 0x80000000, v16
	v_lshl_add_u32 v14, v14, 23, 0x3b800000
	s_delay_alu instid0(VALU_DEP_2) | instskip(NEXT) | instid1(VALU_DEP_1)
	v_lshlrev_b32_e32 v10, 20, v10
	v_or3_b32 v11, v11, v14, v10
.LBB6_851:                              ;   in Loop: Header=BB6_142 Depth=2
	s_or_b32 exec_lo, exec_lo, s26
	s_delay_alu instid0(VALU_DEP_1) | instskip(SKIP_2) | instid1(VALU_DEP_2)
	v_mul_f32_e32 v10, s25, v11
	v_mov_b32_e32 v130, 0x80
	s_mov_b32 s26, exec_lo
	v_and_b32_e32 v11, 0x7f800000, v10
	s_delay_alu instid0(VALU_DEP_1)
	v_cmpx_ne_u32_e32 0x7f800000, v11
	s_cbranch_execz .LBB6_859
; %bb.852:                              ;   in Loop: Header=BB6_142 Depth=2
	v_mov_b32_e32 v130, 0
	s_mov_b32 s27, exec_lo
	v_cmpx_ne_u32_e32 0, v10
	s_cbranch_execz .LBB6_858
; %bb.853:                              ;   in Loop: Header=BB6_142 Depth=2
	v_bfe_u32 v11, v10, 23, 8
	s_delay_alu instid0(VALU_DEP_1) | instskip(SKIP_1) | instid1(VALU_DEP_2)
	v_sub_nc_u32_e32 v15, 0x78, v11
	v_cmp_gt_u32_e32 vcc_lo, 0x79, v11
	v_dual_cndmask_b32 v15, 0, v15 :: v_dual_and_b32 v14, 0x7fffff, v10
	s_delay_alu instid0(VALU_DEP_1) | instskip(SKIP_2) | instid1(VALU_DEP_4)
	v_or_b32_e32 v16, 0x800000, v14
	v_cmp_eq_u32_e32 vcc_lo, 0, v11
	v_add_nc_u32_e32 v11, 0xffffff89, v11
	v_cndmask_b32_e64 v15, v15, 0x77, vcc_lo
	s_delay_alu instid0(VALU_DEP_4) | instskip(NEXT) | instid1(VALU_DEP_3)
	v_cndmask_b32_e32 v14, v16, v14, vcc_lo
	v_cndmask_b32_e64 v11, v11, 0xffffff8a, vcc_lo
	s_delay_alu instid0(VALU_DEP_3) | instskip(NEXT) | instid1(VALU_DEP_3)
	v_lshl_add_u32 v16, 0x100000, v15, -1
	v_lshrrev_b32_e32 v17, v15, v14
	v_lshlrev_b32_e64 v19, v15, 0x80000
	s_delay_alu instid0(VALU_DEP_4) | instskip(NEXT) | instid1(VALU_DEP_4)
	v_add_nc_u32_e32 v15, v15, v11
	v_and_b32_e32 v14, v16, v14
	s_delay_alu instid0(VALU_DEP_4) | instskip(NEXT) | instid1(VALU_DEP_2)
	v_bfe_u32 v18, v17, 20, 1
	v_cmp_eq_u32_e64 s11, v14, v19
	s_delay_alu instid0(VALU_DEP_2) | instskip(NEXT) | instid1(VALU_DEP_1)
	v_add_nc_u32_e32 v16, -1, v18
	v_cndmask_b32_e64 v14, 0, v16, s11
	v_lshrrev_b32_e32 v16, 23, v17
	s_mov_b32 s11, exec_lo
	s_delay_alu instid0(VALU_DEP_2) | instskip(NEXT) | instid1(VALU_DEP_2)
	v_add_nc_u32_e32 v14, v14, v17
	v_xor_b32_e32 v16, 1, v16
	s_delay_alu instid0(VALU_DEP_2) | instskip(NEXT) | instid1(VALU_DEP_1)
	v_and_b32_e32 v11, 0xfffff, v14
	v_add_nc_u32_e32 v14, v11, v17
                                        ; implicit-def: $vgpr11
	s_delay_alu instid0(VALU_DEP_3)
	v_cmpx_ne_u32_e64 v15, v16
	s_xor_b32 s11, exec_lo, s11
; %bb.854:                              ;   in Loop: Header=BB6_142 Depth=2
	s_delay_alu instid0(VALU_DEP_2) | instskip(SKIP_2) | instid1(VALU_DEP_2)
	v_cmp_lt_u32_e32 vcc_lo, 0xffffff, v14
	v_sub_nc_u32_e32 v11, v15, v16
	v_cndmask_b32_e64 v15, 0, 1, vcc_lo
	v_add_co_ci_u32_e32 v11, vcc_lo, 0, v11, vcc_lo
	s_delay_alu instid0(VALU_DEP_2)
	v_lshrrev_b32_e32 v14, v15, v14
; %bb.855:                              ;   in Loop: Header=BB6_142 Depth=2
	s_and_not1_saveexec_b32 s11, s11
; %bb.856:                              ;   in Loop: Header=BB6_142 Depth=2
	s_delay_alu instid0(VALU_DEP_1)
	v_bfe_u32 v11, v14, 23, 1
; %bb.857:                              ;   in Loop: Header=BB6_142 Depth=2
	s_or_b32 exec_lo, exec_lo, s11
	v_lshrrev_b32_e32 v14, 20, v14
	s_delay_alu instid0(VALU_DEP_2) | instskip(SKIP_2) | instid1(VALU_DEP_4)
	v_cmp_gt_i32_e32 vcc_lo, 16, v11
	v_lshrrev_b32_e32 v10, 24, v10
	v_min_i32_e32 v15, 15, v11
	v_cndmask_b32_e32 v14, 7, v14, vcc_lo
	s_delay_alu instid0(VALU_DEP_3) | instskip(NEXT) | instid1(VALU_DEP_3)
	v_and_b32_e32 v10, 0x80, v10
	v_lshlrev_b32_e32 v15, 3, v15
	s_delay_alu instid0(VALU_DEP_3) | instskip(SKIP_1) | instid1(VALU_DEP_2)
	v_and_b32_e32 v16, 7, v14
	v_or_b32_e32 v11, v11, v14
	v_or3_b32 v10, v15, v10, v16
	s_delay_alu instid0(VALU_DEP_2) | instskip(NEXT) | instid1(VALU_DEP_2)
	v_cmp_ne_u32_e32 vcc_lo, 0, v11
	v_cndmask_b32_e32 v130, 0, v10, vcc_lo
.LBB6_858:                              ;   in Loop: Header=BB6_142 Depth=2
	s_or_b32 exec_lo, exec_lo, s27
.LBB6_859:                              ;   in Loop: Header=BB6_142 Depth=2
	s_delay_alu instid0(SALU_CYCLE_1) | instskip(SKIP_3) | instid1(VALU_DEP_1)
	s_or_b32 exec_lo, exec_lo, s26
	v_lshrrev_b32_e32 v10, 24, v12
	s_mov_b32 s11, 0
	s_mov_b32 s27, exec_lo
                                        ; implicit-def: $sgpr26
	v_cmpx_lt_i16_e32 0x7f, v10
	s_xor_b32 s27, exec_lo, s27
	s_cbranch_execnz .LBB6_2177
; %bb.860:                              ;   in Loop: Header=BB6_142 Depth=2
	s_or_saveexec_b32 s27, s27
	v_mov_b32_e32 v11, s26
	s_xor_b32 exec_lo, exec_lo, s27
	s_cbranch_execnz .LBB6_2180
.LBB6_861:                              ;   in Loop: Header=BB6_142 Depth=2
	s_or_b32 exec_lo, exec_lo, s27
	s_and_saveexec_b32 s26, s11
	s_cbranch_execz .LBB6_863
.LBB6_862:                              ;   in Loop: Header=BB6_142 Depth=2
	v_bfe_u32 v11, v12, 24, 3
	s_delay_alu instid0(VALU_DEP_1) | instskip(NEXT) | instid1(VALU_DEP_1)
	v_clz_i32_u32_e32 v14, v11
	v_min_u32_e32 v14, 32, v14
	s_delay_alu instid0(VALU_DEP_1) | instskip(SKIP_1) | instid1(VALU_DEP_2)
	v_subrev_nc_u32_e32 v15, 28, v14
	v_sub_nc_u32_e32 v14, 29, v14
	v_lshlrev_b32_e32 v10, v15, v10
	v_bfe_u32 v15, v12, 27, 4
	s_delay_alu instid0(VALU_DEP_2) | instskip(NEXT) | instid1(VALU_DEP_2)
	v_and_b32_e32 v10, 7, v10
	v_cmp_eq_u32_e32 vcc_lo, 0, v15
	v_cndmask_b32_e32 v14, v15, v14, vcc_lo
	s_delay_alu instid0(VALU_DEP_3) | instskip(NEXT) | instid1(VALU_DEP_2)
	v_dual_cndmask_b32 v10, v11, v10 :: v_dual_and_b32 v11, 0x80000000, v12
	v_lshl_add_u32 v12, v14, 23, 0x3b800000
	s_delay_alu instid0(VALU_DEP_2) | instskip(NEXT) | instid1(VALU_DEP_1)
	v_lshlrev_b32_e32 v10, 20, v10
	v_or3_b32 v11, v11, v12, v10
.LBB6_863:                              ;   in Loop: Header=BB6_142 Depth=2
	s_or_b32 exec_lo, exec_lo, s26
	s_delay_alu instid0(VALU_DEP_1) | instskip(SKIP_2) | instid1(VALU_DEP_2)
	v_mul_f32_e32 v10, s25, v11
	v_mov_b32_e32 v128, 0x80
	s_mov_b32 s26, exec_lo
	v_and_b32_e32 v11, 0x7f800000, v10
	s_delay_alu instid0(VALU_DEP_1)
	v_cmpx_ne_u32_e32 0x7f800000, v11
	s_cbranch_execz .LBB6_871
; %bb.864:                              ;   in Loop: Header=BB6_142 Depth=2
	v_mov_b32_e32 v128, 0
	s_mov_b32 s27, exec_lo
	v_cmpx_ne_u32_e32 0, v10
	s_cbranch_execz .LBB6_870
; %bb.865:                              ;   in Loop: Header=BB6_142 Depth=2
	v_bfe_u32 v11, v10, 23, 8
	v_and_b32_e32 v12, 0x7fffff, v10
	s_delay_alu instid0(VALU_DEP_2) | instskip(SKIP_1) | instid1(VALU_DEP_3)
	v_sub_nc_u32_e32 v14, 0x78, v11
	v_cmp_gt_u32_e32 vcc_lo, 0x79, v11
	v_or_b32_e32 v15, 0x800000, v12
	s_delay_alu instid0(VALU_DEP_3) | instskip(SKIP_2) | instid1(VALU_DEP_3)
	v_cndmask_b32_e32 v14, 0, v14, vcc_lo
	v_cmp_eq_u32_e32 vcc_lo, 0, v11
	v_add_nc_u32_e32 v11, 0xffffff89, v11
	v_cndmask_b32_e64 v14, v14, 0x77, vcc_lo
	v_cndmask_b32_e32 v12, v15, v12, vcc_lo
	s_delay_alu instid0(VALU_DEP_3) | instskip(NEXT) | instid1(VALU_DEP_3)
	v_cndmask_b32_e64 v11, v11, 0xffffff8a, vcc_lo
	v_lshl_add_u32 v15, 0x100000, v14, -1
	s_delay_alu instid0(VALU_DEP_3) | instskip(SKIP_1) | instid1(VALU_DEP_4)
	v_lshrrev_b32_e32 v16, v14, v12
	v_lshlrev_b32_e64 v18, v14, 0x80000
	v_add_nc_u32_e32 v14, v14, v11
	s_delay_alu instid0(VALU_DEP_4) | instskip(NEXT) | instid1(VALU_DEP_4)
	v_and_b32_e32 v12, v15, v12
	v_bfe_u32 v17, v16, 20, 1
	s_delay_alu instid0(VALU_DEP_2) | instskip(NEXT) | instid1(VALU_DEP_2)
	v_cmp_eq_u32_e64 s11, v12, v18
	v_add_nc_u32_e32 v15, -1, v17
	s_delay_alu instid0(VALU_DEP_1) | instskip(SKIP_2) | instid1(VALU_DEP_2)
	v_cndmask_b32_e64 v12, 0, v15, s11
	v_lshrrev_b32_e32 v15, 23, v16
	s_mov_b32 s11, exec_lo
	v_add_nc_u32_e32 v12, v12, v16
	s_delay_alu instid0(VALU_DEP_2) | instskip(NEXT) | instid1(VALU_DEP_2)
	v_xor_b32_e32 v15, 1, v15
	v_and_b32_e32 v11, 0xfffff, v12
	s_delay_alu instid0(VALU_DEP_1) | instskip(NEXT) | instid1(VALU_DEP_3)
	v_add_nc_u32_e32 v12, v11, v16
                                        ; implicit-def: $vgpr11
	v_cmpx_ne_u32_e64 v14, v15
	s_xor_b32 s11, exec_lo, s11
; %bb.866:                              ;   in Loop: Header=BB6_142 Depth=2
	s_delay_alu instid0(VALU_DEP_2) | instskip(SKIP_2) | instid1(VALU_DEP_2)
	v_cmp_lt_u32_e32 vcc_lo, 0xffffff, v12
	v_sub_nc_u32_e32 v11, v14, v15
	v_cndmask_b32_e64 v14, 0, 1, vcc_lo
	v_add_co_ci_u32_e32 v11, vcc_lo, 0, v11, vcc_lo
	s_delay_alu instid0(VALU_DEP_2)
	v_lshrrev_b32_e32 v12, v14, v12
; %bb.867:                              ;   in Loop: Header=BB6_142 Depth=2
	s_and_not1_saveexec_b32 s11, s11
; %bb.868:                              ;   in Loop: Header=BB6_142 Depth=2
	s_delay_alu instid0(VALU_DEP_1)
	v_bfe_u32 v11, v12, 23, 1
; %bb.869:                              ;   in Loop: Header=BB6_142 Depth=2
	s_or_b32 exec_lo, exec_lo, s11
	v_lshrrev_b32_e32 v12, 20, v12
	s_delay_alu instid0(VALU_DEP_2) | instskip(SKIP_2) | instid1(VALU_DEP_4)
	v_cmp_gt_i32_e32 vcc_lo, 16, v11
	v_lshrrev_b32_e32 v10, 24, v10
	v_min_i32_e32 v14, 15, v11
	v_cndmask_b32_e32 v12, 7, v12, vcc_lo
	s_delay_alu instid0(VALU_DEP_3) | instskip(NEXT) | instid1(VALU_DEP_3)
	v_and_b32_e32 v10, 0x80, v10
	v_lshlrev_b32_e32 v14, 3, v14
	s_delay_alu instid0(VALU_DEP_3) | instskip(NEXT) | instid1(VALU_DEP_1)
	v_or_b32_e32 v11, v11, v12
	v_cmp_ne_u32_e32 vcc_lo, 0, v11
	v_and_b32_e32 v15, 7, v12
	s_delay_alu instid0(VALU_DEP_1) | instskip(NEXT) | instid1(VALU_DEP_1)
	v_or3_b32 v10, v14, v10, v15
	v_cndmask_b32_e32 v128, 0, v10, vcc_lo
.LBB6_870:                              ;   in Loop: Header=BB6_142 Depth=2
	s_or_b32 exec_lo, exec_lo, s27
.LBB6_871:                              ;   in Loop: Header=BB6_142 Depth=2
	s_delay_alu instid0(SALU_CYCLE_1) | instskip(SKIP_3) | instid1(VALU_DEP_1)
	s_or_b32 exec_lo, exec_lo, s26
	v_and_b32_e32 v11, 0xff, v13
	s_mov_b32 s11, 0
	s_mov_b32 s27, exec_lo
                                        ; implicit-def: $sgpr26
	v_cmpx_lt_i16_e32 0x7f, v11
	s_xor_b32 s27, exec_lo, s27
	s_cbranch_execnz .LBB6_2181
; %bb.872:                              ;   in Loop: Header=BB6_142 Depth=2
	s_or_saveexec_b32 s27, s27
	v_mov_b32_e32 v10, s26
	s_xor_b32 exec_lo, exec_lo, s27
	s_cbranch_execnz .LBB6_2184
.LBB6_873:                              ;   in Loop: Header=BB6_142 Depth=2
	s_or_b32 exec_lo, exec_lo, s27
	s_and_saveexec_b32 s26, s11
	s_cbranch_execz .LBB6_875
.LBB6_874:                              ;   in Loop: Header=BB6_142 Depth=2
	v_bfe_u32 v14, v13, 3, 4
	s_delay_alu instid0(VALU_DEP_1) | instskip(SKIP_1) | instid1(VALU_DEP_1)
	v_cmp_eq_u32_e32 vcc_lo, 0, v14
	v_and_b32_e32 v10, 7, v13
	v_clz_i32_u32_e32 v11, v10
	s_delay_alu instid0(VALU_DEP_1) | instskip(NEXT) | instid1(VALU_DEP_1)
	v_min_u32_e32 v11, 32, v11
	v_subrev_nc_u32_e32 v12, 28, v11
	v_sub_nc_u32_e32 v11, 29, v11
	s_delay_alu instid0(VALU_DEP_1) | instskip(NEXT) | instid1(VALU_DEP_1)
	v_dual_cndmask_b32 v11, v14, v11 :: v_dual_lshlrev_b32 v12, v12, v13
	v_and_b32_e32 v12, 7, v12
	v_lshlrev_b32_e32 v15, 24, v13
	s_delay_alu instid0(VALU_DEP_3) | instskip(NEXT) | instid1(VALU_DEP_3)
	v_lshl_add_u32 v11, v11, 23, 0x3b800000
	v_cndmask_b32_e32 v10, v10, v12, vcc_lo
	s_delay_alu instid0(VALU_DEP_3) | instskip(NEXT) | instid1(VALU_DEP_2)
	v_and_b32_e32 v12, 0x80000000, v15
	v_lshlrev_b32_e32 v10, 20, v10
	s_delay_alu instid0(VALU_DEP_1)
	v_or3_b32 v10, v12, v11, v10
.LBB6_875:                              ;   in Loop: Header=BB6_142 Depth=2
	s_or_b32 exec_lo, exec_lo, s26
	s_delay_alu instid0(VALU_DEP_1) | instskip(SKIP_1) | instid1(VALU_DEP_1)
	v_dual_mul_f32 v10, s25, v10 :: v_dual_mov_b32 v119, 0x80
	s_mov_b32 s26, exec_lo
	v_and_b32_e32 v11, 0x7f800000, v10
	s_delay_alu instid0(VALU_DEP_1)
	v_cmpx_ne_u32_e32 0x7f800000, v11
	s_cbranch_execz .LBB6_883
; %bb.876:                              ;   in Loop: Header=BB6_142 Depth=2
	v_mov_b32_e32 v119, 0
	s_mov_b32 s27, exec_lo
	v_cmpx_ne_u32_e32 0, v10
	s_cbranch_execz .LBB6_882
; %bb.877:                              ;   in Loop: Header=BB6_142 Depth=2
	v_bfe_u32 v11, v10, 23, 8
	v_and_b32_e32 v12, 0x7fffff, v10
	s_delay_alu instid0(VALU_DEP_2) | instskip(SKIP_1) | instid1(VALU_DEP_3)
	v_sub_nc_u32_e32 v14, 0x78, v11
	v_cmp_gt_u32_e32 vcc_lo, 0x79, v11
	v_or_b32_e32 v15, 0x800000, v12
	s_delay_alu instid0(VALU_DEP_3) | instskip(SKIP_2) | instid1(VALU_DEP_3)
	v_cndmask_b32_e32 v14, 0, v14, vcc_lo
	v_cmp_eq_u32_e32 vcc_lo, 0, v11
	v_add_nc_u32_e32 v11, 0xffffff89, v11
	v_cndmask_b32_e64 v14, v14, 0x77, vcc_lo
	v_cndmask_b32_e32 v12, v15, v12, vcc_lo
	s_delay_alu instid0(VALU_DEP_3) | instskip(NEXT) | instid1(VALU_DEP_3)
	v_cndmask_b32_e64 v11, v11, 0xffffff8a, vcc_lo
	v_lshl_add_u32 v15, 0x100000, v14, -1
	s_delay_alu instid0(VALU_DEP_3) | instskip(SKIP_1) | instid1(VALU_DEP_4)
	v_lshrrev_b32_e32 v16, v14, v12
	v_lshlrev_b32_e64 v18, v14, 0x80000
	v_add_nc_u32_e32 v14, v14, v11
	s_delay_alu instid0(VALU_DEP_4) | instskip(NEXT) | instid1(VALU_DEP_4)
	v_and_b32_e32 v12, v15, v12
	v_bfe_u32 v17, v16, 20, 1
	s_delay_alu instid0(VALU_DEP_2) | instskip(NEXT) | instid1(VALU_DEP_2)
	v_cmp_eq_u32_e64 s11, v12, v18
	v_add_nc_u32_e32 v15, -1, v17
	s_delay_alu instid0(VALU_DEP_1) | instskip(SKIP_2) | instid1(VALU_DEP_2)
	v_cndmask_b32_e64 v12, 0, v15, s11
	v_lshrrev_b32_e32 v15, 23, v16
	s_mov_b32 s11, exec_lo
	v_add_nc_u32_e32 v12, v12, v16
	s_delay_alu instid0(VALU_DEP_2) | instskip(NEXT) | instid1(VALU_DEP_2)
	v_xor_b32_e32 v15, 1, v15
	v_and_b32_e32 v11, 0xfffff, v12
	s_delay_alu instid0(VALU_DEP_1) | instskip(NEXT) | instid1(VALU_DEP_3)
	v_add_nc_u32_e32 v12, v11, v16
                                        ; implicit-def: $vgpr11
	v_cmpx_ne_u32_e64 v14, v15
	s_xor_b32 s11, exec_lo, s11
; %bb.878:                              ;   in Loop: Header=BB6_142 Depth=2
	s_delay_alu instid0(VALU_DEP_2) | instskip(SKIP_2) | instid1(VALU_DEP_2)
	v_cmp_lt_u32_e32 vcc_lo, 0xffffff, v12
	v_sub_nc_u32_e32 v11, v14, v15
	v_cndmask_b32_e64 v14, 0, 1, vcc_lo
	v_add_co_ci_u32_e32 v11, vcc_lo, 0, v11, vcc_lo
	s_delay_alu instid0(VALU_DEP_2)
	v_lshrrev_b32_e32 v12, v14, v12
; %bb.879:                              ;   in Loop: Header=BB6_142 Depth=2
	s_and_not1_saveexec_b32 s11, s11
; %bb.880:                              ;   in Loop: Header=BB6_142 Depth=2
	s_delay_alu instid0(VALU_DEP_1)
	v_bfe_u32 v11, v12, 23, 1
; %bb.881:                              ;   in Loop: Header=BB6_142 Depth=2
	s_or_b32 exec_lo, exec_lo, s11
	v_lshrrev_b32_e32 v12, 20, v12
	s_delay_alu instid0(VALU_DEP_2) | instskip(SKIP_2) | instid1(VALU_DEP_3)
	v_min_i32_e32 v14, 15, v11
	v_cmp_gt_i32_e32 vcc_lo, 16, v11
	v_lshrrev_b32_e32 v10, 24, v10
	v_lshlrev_b32_e32 v14, 3, v14
	v_cndmask_b32_e32 v12, 7, v12, vcc_lo
	s_delay_alu instid0(VALU_DEP_3) | instskip(NEXT) | instid1(VALU_DEP_3)
	v_and_b32_e32 v10, 0x80, v10
	v_and_b32_e32 v14, 0xf8, v14
	s_delay_alu instid0(VALU_DEP_3) | instskip(SKIP_1) | instid1(VALU_DEP_2)
	v_and_b32_e32 v15, 7, v12
	v_or_b32_e32 v11, v11, v12
	v_or3_b32 v10, v14, v10, v15
	s_delay_alu instid0(VALU_DEP_2) | instskip(NEXT) | instid1(VALU_DEP_2)
	v_cmp_ne_u32_e32 vcc_lo, 0, v11
	v_cndmask_b32_e32 v119, 0, v10, vcc_lo
.LBB6_882:                              ;   in Loop: Header=BB6_142 Depth=2
	s_or_b32 exec_lo, exec_lo, s27
.LBB6_883:                              ;   in Loop: Header=BB6_142 Depth=2
	s_delay_alu instid0(SALU_CYCLE_1) | instskip(SKIP_3) | instid1(VALU_DEP_1)
	s_or_b32 exec_lo, exec_lo, s26
	v_lshrrev_b16 v10, 8, v13
	s_mov_b32 s11, 0
	s_mov_b32 s27, exec_lo
                                        ; implicit-def: $sgpr26
	v_cmpx_lt_i16_e32 0x7f, v10
	s_xor_b32 s27, exec_lo, s27
	s_cbranch_execnz .LBB6_2185
; %bb.884:                              ;   in Loop: Header=BB6_142 Depth=2
	s_or_saveexec_b32 s27, s27
	v_mov_b32_e32 v11, s26
	s_xor_b32 exec_lo, exec_lo, s27
	s_cbranch_execnz .LBB6_2188
.LBB6_885:                              ;   in Loop: Header=BB6_142 Depth=2
	s_or_b32 exec_lo, exec_lo, s27
	s_and_saveexec_b32 s26, s11
	s_cbranch_execz .LBB6_887
.LBB6_886:                              ;   in Loop: Header=BB6_142 Depth=2
	v_and_b32_e32 v11, 0xffff, v10
	v_lshlrev_b32_e32 v10, 24, v10
	s_delay_alu instid0(VALU_DEP_2) | instskip(NEXT) | instid1(VALU_DEP_2)
	v_and_b32_e32 v12, 7, v11
	v_and_b32_e32 v10, 0x80000000, v10
	s_delay_alu instid0(VALU_DEP_2) | instskip(NEXT) | instid1(VALU_DEP_1)
	v_clz_i32_u32_e32 v14, v12
	v_min_u32_e32 v14, 32, v14
	s_delay_alu instid0(VALU_DEP_1) | instskip(SKIP_1) | instid1(VALU_DEP_2)
	v_subrev_nc_u32_e32 v15, 28, v14
	v_sub_nc_u32_e32 v14, 29, v14
	v_lshlrev_b32_e32 v15, v15, v11
	v_bfe_u32 v11, v11, 3, 4
	s_delay_alu instid0(VALU_DEP_2) | instskip(NEXT) | instid1(VALU_DEP_2)
	v_and_b32_e32 v15, 7, v15
	v_cmp_eq_u32_e32 vcc_lo, 0, v11
	s_delay_alu instid0(VALU_DEP_2) | instskip(NEXT) | instid1(VALU_DEP_1)
	v_dual_cndmask_b32 v11, v11, v14 :: v_dual_cndmask_b32 v12, v12, v15
	v_lshl_add_u32 v11, v11, 23, 0x3b800000
	s_delay_alu instid0(VALU_DEP_2) | instskip(NEXT) | instid1(VALU_DEP_1)
	v_lshlrev_b32_e32 v12, 20, v12
	v_or3_b32 v11, v10, v11, v12
.LBB6_887:                              ;   in Loop: Header=BB6_142 Depth=2
	s_or_b32 exec_lo, exec_lo, s26
	s_delay_alu instid0(VALU_DEP_1) | instskip(SKIP_2) | instid1(VALU_DEP_2)
	v_mul_f32_e32 v10, s25, v11
	v_mov_b32_e32 v132, 0x8000
	s_mov_b32 s26, exec_lo
	v_and_b32_e32 v11, 0x7f800000, v10
	s_delay_alu instid0(VALU_DEP_1)
	v_cmpx_ne_u32_e32 0x7f800000, v11
	s_cbranch_execz .LBB6_895
; %bb.888:                              ;   in Loop: Header=BB6_142 Depth=2
	v_mov_b32_e32 v132, 0
	s_mov_b32 s27, exec_lo
	v_cmpx_ne_u32_e32 0, v10
	s_cbranch_execz .LBB6_894
; %bb.889:                              ;   in Loop: Header=BB6_142 Depth=2
	v_bfe_u32 v11, v10, 23, 8
	v_and_b32_e32 v12, 0x7fffff, v10
	s_delay_alu instid0(VALU_DEP_2) | instskip(SKIP_1) | instid1(VALU_DEP_3)
	v_sub_nc_u32_e32 v14, 0x78, v11
	v_cmp_gt_u32_e32 vcc_lo, 0x79, v11
	v_or_b32_e32 v15, 0x800000, v12
	s_delay_alu instid0(VALU_DEP_3) | instskip(SKIP_2) | instid1(VALU_DEP_3)
	v_cndmask_b32_e32 v14, 0, v14, vcc_lo
	v_cmp_eq_u32_e32 vcc_lo, 0, v11
	v_add_nc_u32_e32 v11, 0xffffff89, v11
	v_cndmask_b32_e64 v14, v14, 0x77, vcc_lo
	v_cndmask_b32_e32 v12, v15, v12, vcc_lo
	s_delay_alu instid0(VALU_DEP_3) | instskip(NEXT) | instid1(VALU_DEP_3)
	v_cndmask_b32_e64 v11, v11, 0xffffff8a, vcc_lo
	v_lshl_add_u32 v15, 0x100000, v14, -1
	s_delay_alu instid0(VALU_DEP_3) | instskip(SKIP_1) | instid1(VALU_DEP_4)
	v_lshrrev_b32_e32 v16, v14, v12
	v_lshlrev_b32_e64 v18, v14, 0x80000
	v_add_nc_u32_e32 v14, v14, v11
	s_delay_alu instid0(VALU_DEP_4) | instskip(NEXT) | instid1(VALU_DEP_4)
	v_and_b32_e32 v12, v15, v12
	v_bfe_u32 v17, v16, 20, 1
	s_delay_alu instid0(VALU_DEP_2) | instskip(NEXT) | instid1(VALU_DEP_2)
	v_cmp_eq_u32_e64 s11, v12, v18
	v_add_nc_u32_e32 v15, -1, v17
	s_delay_alu instid0(VALU_DEP_1) | instskip(SKIP_2) | instid1(VALU_DEP_2)
	v_cndmask_b32_e64 v12, 0, v15, s11
	v_lshrrev_b32_e32 v15, 23, v16
	s_mov_b32 s11, exec_lo
	v_add_nc_u32_e32 v12, v12, v16
	s_delay_alu instid0(VALU_DEP_2) | instskip(NEXT) | instid1(VALU_DEP_2)
	v_xor_b32_e32 v15, 1, v15
	v_and_b32_e32 v11, 0xfffff, v12
	s_delay_alu instid0(VALU_DEP_1) | instskip(NEXT) | instid1(VALU_DEP_3)
	v_add_nc_u32_e32 v12, v11, v16
                                        ; implicit-def: $vgpr11
	v_cmpx_ne_u32_e64 v14, v15
	s_xor_b32 s11, exec_lo, s11
; %bb.890:                              ;   in Loop: Header=BB6_142 Depth=2
	s_delay_alu instid0(VALU_DEP_2) | instskip(SKIP_2) | instid1(VALU_DEP_2)
	v_cmp_lt_u32_e32 vcc_lo, 0xffffff, v12
	v_sub_nc_u32_e32 v11, v14, v15
	v_cndmask_b32_e64 v14, 0, 1, vcc_lo
	v_add_co_ci_u32_e32 v11, vcc_lo, 0, v11, vcc_lo
	s_delay_alu instid0(VALU_DEP_2)
	v_lshrrev_b32_e32 v12, v14, v12
; %bb.891:                              ;   in Loop: Header=BB6_142 Depth=2
	s_and_not1_saveexec_b32 s11, s11
; %bb.892:                              ;   in Loop: Header=BB6_142 Depth=2
	s_delay_alu instid0(VALU_DEP_1)
	v_bfe_u32 v11, v12, 23, 1
; %bb.893:                              ;   in Loop: Header=BB6_142 Depth=2
	s_or_b32 exec_lo, exec_lo, s11
	v_lshrrev_b32_e32 v12, 20, v12
	s_delay_alu instid0(VALU_DEP_2) | instskip(SKIP_2) | instid1(VALU_DEP_4)
	v_cmp_gt_i32_e32 vcc_lo, 16, v11
	v_min_i32_e32 v14, 15, v11
	v_lshrrev_b32_e32 v10, 24, v10
	v_cndmask_b32_e32 v12, 7, v12, vcc_lo
	s_delay_alu instid0(VALU_DEP_3) | instskip(NEXT) | instid1(VALU_DEP_3)
	v_lshlrev_b32_e32 v14, 3, v14
	v_and_b32_e32 v10, 0x80, v10
	s_delay_alu instid0(VALU_DEP_3) | instskip(NEXT) | instid1(VALU_DEP_3)
	v_or_b32_e32 v11, v11, v12
	v_and_b32_e32 v14, 0xf8, v14
	s_delay_alu instid0(VALU_DEP_2) | instskip(SKIP_1) | instid1(VALU_DEP_1)
	v_cmp_ne_u32_e32 vcc_lo, 0, v11
	v_and_b32_e32 v15, 7, v12
	v_or3_b32 v10, v10, v14, v15
	s_delay_alu instid0(VALU_DEP_1) | instskip(NEXT) | instid1(VALU_DEP_1)
	v_lshlrev_b32_e32 v10, 8, v10
	v_cndmask_b32_e32 v132, 0, v10, vcc_lo
.LBB6_894:                              ;   in Loop: Header=BB6_142 Depth=2
	s_or_b32 exec_lo, exec_lo, s27
.LBB6_895:                              ;   in Loop: Header=BB6_142 Depth=2
	s_delay_alu instid0(SALU_CYCLE_1) | instskip(SKIP_3) | instid1(VALU_DEP_1)
	s_or_b32 exec_lo, exec_lo, s26
	v_lshrrev_b32_e32 v10, 16, v13
	s_mov_b32 s11, 0
	s_mov_b32 s27, exec_lo
                                        ; implicit-def: $sgpr26
	v_and_b32_e32 v12, 0xff, v10
	s_delay_alu instid0(VALU_DEP_1)
	v_cmpx_lt_i16_e32 0x7f, v12
	s_xor_b32 s27, exec_lo, s27
	s_cbranch_execnz .LBB6_2189
; %bb.896:                              ;   in Loop: Header=BB6_142 Depth=2
	s_or_saveexec_b32 s27, s27
	v_mov_b32_e32 v11, s26
	s_xor_b32 exec_lo, exec_lo, s27
	s_cbranch_execnz .LBB6_2192
.LBB6_897:                              ;   in Loop: Header=BB6_142 Depth=2
	s_or_b32 exec_lo, exec_lo, s27
	s_and_saveexec_b32 s26, s11
	s_cbranch_execz .LBB6_899
.LBB6_898:                              ;   in Loop: Header=BB6_142 Depth=2
	v_bfe_u32 v11, v13, 16, 3
	s_delay_alu instid0(VALU_DEP_1) | instskip(NEXT) | instid1(VALU_DEP_1)
	v_clz_i32_u32_e32 v12, v11
	v_min_u32_e32 v12, 32, v12
	s_delay_alu instid0(VALU_DEP_1) | instskip(SKIP_1) | instid1(VALU_DEP_2)
	v_subrev_nc_u32_e32 v14, 28, v12
	v_sub_nc_u32_e32 v12, 29, v12
	v_lshlrev_b32_e32 v10, v14, v10
	v_bfe_u32 v14, v13, 19, 4
	s_delay_alu instid0(VALU_DEP_2) | instskip(NEXT) | instid1(VALU_DEP_2)
	v_and_b32_e32 v10, 7, v10
	v_cmp_eq_u32_e32 vcc_lo, 0, v14
	v_dual_cndmask_b32 v12, v14, v12 :: v_dual_lshlrev_b32 v15, 8, v13
	s_delay_alu instid0(VALU_DEP_1) | instskip(NEXT) | instid1(VALU_DEP_2)
	v_dual_cndmask_b32 v10, v11, v10 :: v_dual_and_b32 v11, 0x80000000, v15
	v_lshl_add_u32 v12, v12, 23, 0x3b800000
	s_delay_alu instid0(VALU_DEP_2) | instskip(NEXT) | instid1(VALU_DEP_1)
	v_lshlrev_b32_e32 v10, 20, v10
	v_or3_b32 v11, v11, v12, v10
.LBB6_899:                              ;   in Loop: Header=BB6_142 Depth=2
	s_or_b32 exec_lo, exec_lo, s26
	s_delay_alu instid0(VALU_DEP_1) | instskip(SKIP_1) | instid1(VALU_DEP_1)
	v_dual_mul_f32 v10, s25, v11 :: v_dual_mov_b32 v117, 0x80
	s_mov_b32 s26, exec_lo
	v_and_b32_e32 v11, 0x7f800000, v10
	s_delay_alu instid0(VALU_DEP_1)
	v_cmpx_ne_u32_e32 0x7f800000, v11
	s_cbranch_execz .LBB6_907
; %bb.900:                              ;   in Loop: Header=BB6_142 Depth=2
	v_mov_b32_e32 v117, 0
	s_mov_b32 s27, exec_lo
	v_cmpx_ne_u32_e32 0, v10
	s_cbranch_execz .LBB6_906
; %bb.901:                              ;   in Loop: Header=BB6_142 Depth=2
	v_bfe_u32 v11, v10, 23, 8
	v_and_b32_e32 v12, 0x7fffff, v10
	s_delay_alu instid0(VALU_DEP_2) | instskip(SKIP_1) | instid1(VALU_DEP_3)
	v_sub_nc_u32_e32 v14, 0x78, v11
	v_cmp_gt_u32_e32 vcc_lo, 0x79, v11
	v_or_b32_e32 v15, 0x800000, v12
	s_delay_alu instid0(VALU_DEP_3) | instskip(SKIP_2) | instid1(VALU_DEP_3)
	v_cndmask_b32_e32 v14, 0, v14, vcc_lo
	v_cmp_eq_u32_e32 vcc_lo, 0, v11
	v_add_nc_u32_e32 v11, 0xffffff89, v11
	v_cndmask_b32_e64 v14, v14, 0x77, vcc_lo
	v_cndmask_b32_e32 v12, v15, v12, vcc_lo
	s_delay_alu instid0(VALU_DEP_3) | instskip(NEXT) | instid1(VALU_DEP_3)
	v_cndmask_b32_e64 v11, v11, 0xffffff8a, vcc_lo
	v_lshl_add_u32 v15, 0x100000, v14, -1
	s_delay_alu instid0(VALU_DEP_3) | instskip(SKIP_1) | instid1(VALU_DEP_4)
	v_lshrrev_b32_e32 v16, v14, v12
	v_lshlrev_b32_e64 v18, v14, 0x80000
	v_add_nc_u32_e32 v14, v14, v11
	s_delay_alu instid0(VALU_DEP_4) | instskip(NEXT) | instid1(VALU_DEP_4)
	v_and_b32_e32 v12, v15, v12
	v_bfe_u32 v17, v16, 20, 1
	s_delay_alu instid0(VALU_DEP_2) | instskip(NEXT) | instid1(VALU_DEP_2)
	v_cmp_eq_u32_e64 s11, v12, v18
	v_add_nc_u32_e32 v15, -1, v17
	s_delay_alu instid0(VALU_DEP_1) | instskip(SKIP_2) | instid1(VALU_DEP_2)
	v_cndmask_b32_e64 v12, 0, v15, s11
	v_lshrrev_b32_e32 v15, 23, v16
	s_mov_b32 s11, exec_lo
	v_add_nc_u32_e32 v12, v12, v16
	s_delay_alu instid0(VALU_DEP_2) | instskip(NEXT) | instid1(VALU_DEP_2)
	v_xor_b32_e32 v15, 1, v15
	v_and_b32_e32 v11, 0xfffff, v12
	s_delay_alu instid0(VALU_DEP_1) | instskip(NEXT) | instid1(VALU_DEP_3)
	v_add_nc_u32_e32 v12, v11, v16
                                        ; implicit-def: $vgpr11
	v_cmpx_ne_u32_e64 v14, v15
	s_xor_b32 s11, exec_lo, s11
; %bb.902:                              ;   in Loop: Header=BB6_142 Depth=2
	s_delay_alu instid0(VALU_DEP_2) | instskip(SKIP_2) | instid1(VALU_DEP_2)
	v_cmp_lt_u32_e32 vcc_lo, 0xffffff, v12
	v_sub_nc_u32_e32 v11, v14, v15
	v_cndmask_b32_e64 v14, 0, 1, vcc_lo
	v_add_co_ci_u32_e32 v11, vcc_lo, 0, v11, vcc_lo
	s_delay_alu instid0(VALU_DEP_2)
	v_lshrrev_b32_e32 v12, v14, v12
; %bb.903:                              ;   in Loop: Header=BB6_142 Depth=2
	s_and_not1_saveexec_b32 s11, s11
; %bb.904:                              ;   in Loop: Header=BB6_142 Depth=2
	s_delay_alu instid0(VALU_DEP_1)
	v_bfe_u32 v11, v12, 23, 1
; %bb.905:                              ;   in Loop: Header=BB6_142 Depth=2
	s_or_b32 exec_lo, exec_lo, s11
	v_lshrrev_b32_e32 v12, 20, v12
	s_delay_alu instid0(VALU_DEP_2) | instskip(SKIP_2) | instid1(VALU_DEP_3)
	v_min_i32_e32 v14, 15, v11
	v_cmp_gt_i32_e32 vcc_lo, 16, v11
	v_lshrrev_b32_e32 v10, 24, v10
	v_lshlrev_b32_e32 v14, 3, v14
	v_cndmask_b32_e32 v12, 7, v12, vcc_lo
	s_delay_alu instid0(VALU_DEP_3) | instskip(NEXT) | instid1(VALU_DEP_3)
	v_and_b32_e32 v10, 0x80, v10
	v_and_b32_e32 v14, 0xf8, v14
	s_delay_alu instid0(VALU_DEP_3) | instskip(SKIP_1) | instid1(VALU_DEP_2)
	v_and_b32_e32 v15, 7, v12
	v_or_b32_e32 v11, v11, v12
	v_or3_b32 v10, v14, v10, v15
	s_delay_alu instid0(VALU_DEP_2) | instskip(NEXT) | instid1(VALU_DEP_2)
	v_cmp_ne_u32_e32 vcc_lo, 0, v11
	v_cndmask_b32_e32 v117, 0, v10, vcc_lo
.LBB6_906:                              ;   in Loop: Header=BB6_142 Depth=2
	s_or_b32 exec_lo, exec_lo, s27
.LBB6_907:                              ;   in Loop: Header=BB6_142 Depth=2
	s_delay_alu instid0(SALU_CYCLE_1) | instskip(SKIP_3) | instid1(VALU_DEP_1)
	s_or_b32 exec_lo, exec_lo, s26
	v_lshrrev_b32_e32 v10, 24, v13
	s_mov_b32 s11, 0
	s_mov_b32 s27, exec_lo
                                        ; implicit-def: $sgpr26
	v_cmpx_lt_i16_e32 0x7f, v10
	s_xor_b32 s27, exec_lo, s27
	s_cbranch_execnz .LBB6_2193
; %bb.908:                              ;   in Loop: Header=BB6_142 Depth=2
	s_or_saveexec_b32 s27, s27
	v_mov_b32_e32 v11, s26
	s_xor_b32 exec_lo, exec_lo, s27
	s_cbranch_execnz .LBB6_2196
.LBB6_909:                              ;   in Loop: Header=BB6_142 Depth=2
	s_or_b32 exec_lo, exec_lo, s27
	s_and_saveexec_b32 s26, s11
	s_cbranch_execz .LBB6_911
.LBB6_910:                              ;   in Loop: Header=BB6_142 Depth=2
	v_bfe_u32 v11, v13, 24, 3
	s_delay_alu instid0(VALU_DEP_1) | instskip(NEXT) | instid1(VALU_DEP_1)
	v_clz_i32_u32_e32 v12, v11
	v_min_u32_e32 v12, 32, v12
	s_delay_alu instid0(VALU_DEP_1) | instskip(SKIP_1) | instid1(VALU_DEP_2)
	v_subrev_nc_u32_e32 v14, 28, v12
	v_sub_nc_u32_e32 v12, 29, v12
	v_lshlrev_b32_e32 v10, v14, v10
	v_bfe_u32 v14, v13, 27, 4
	s_delay_alu instid0(VALU_DEP_2) | instskip(NEXT) | instid1(VALU_DEP_2)
	v_and_b32_e32 v10, 7, v10
	v_cmp_eq_u32_e32 vcc_lo, 0, v14
	v_cndmask_b32_e32 v12, v14, v12, vcc_lo
	s_delay_alu instid0(VALU_DEP_3) | instskip(NEXT) | instid1(VALU_DEP_2)
	v_dual_cndmask_b32 v10, v11, v10 :: v_dual_and_b32 v11, 0x80000000, v13
	v_lshl_add_u32 v12, v12, 23, 0x3b800000
	s_delay_alu instid0(VALU_DEP_2) | instskip(NEXT) | instid1(VALU_DEP_1)
	v_lshlrev_b32_e32 v10, 20, v10
	v_or3_b32 v11, v11, v12, v10
.LBB6_911:                              ;   in Loop: Header=BB6_142 Depth=2
	s_or_b32 exec_lo, exec_lo, s26
	s_delay_alu instid0(VALU_DEP_1) | instskip(SKIP_1) | instid1(VALU_DEP_1)
	v_dual_mul_f32 v10, s25, v11 :: v_dual_mov_b32 v129, 0x8000
	s_mov_b32 s25, exec_lo
	v_and_b32_e32 v11, 0x7f800000, v10
	s_delay_alu instid0(VALU_DEP_1)
	v_cmpx_ne_u32_e32 0x7f800000, v11
	s_cbranch_execz .LBB6_919
; %bb.912:                              ;   in Loop: Header=BB6_142 Depth=2
	v_mov_b32_e32 v129, 0
	s_mov_b32 s26, exec_lo
	v_cmpx_ne_u32_e32 0, v10
	s_cbranch_execz .LBB6_918
; %bb.913:                              ;   in Loop: Header=BB6_142 Depth=2
	v_bfe_u32 v11, v10, 23, 8
	s_delay_alu instid0(VALU_DEP_1) | instskip(SKIP_1) | instid1(VALU_DEP_2)
	v_sub_nc_u32_e32 v13, 0x78, v11
	v_cmp_gt_u32_e32 vcc_lo, 0x79, v11
	v_dual_cndmask_b32 v13, 0, v13 :: v_dual_and_b32 v12, 0x7fffff, v10
	s_delay_alu instid0(VALU_DEP_1) | instskip(SKIP_2) | instid1(VALU_DEP_4)
	v_or_b32_e32 v14, 0x800000, v12
	v_cmp_eq_u32_e32 vcc_lo, 0, v11
	v_add_nc_u32_e32 v11, 0xffffff89, v11
	v_cndmask_b32_e64 v13, v13, 0x77, vcc_lo
	s_delay_alu instid0(VALU_DEP_4) | instskip(NEXT) | instid1(VALU_DEP_3)
	v_cndmask_b32_e32 v12, v14, v12, vcc_lo
	v_cndmask_b32_e64 v11, v11, 0xffffff8a, vcc_lo
	s_delay_alu instid0(VALU_DEP_3) | instskip(NEXT) | instid1(VALU_DEP_3)
	v_lshl_add_u32 v14, 0x100000, v13, -1
	v_lshrrev_b32_e32 v15, v13, v12
	v_lshlrev_b32_e64 v17, v13, 0x80000
	s_delay_alu instid0(VALU_DEP_4) | instskip(NEXT) | instid1(VALU_DEP_4)
	v_add_nc_u32_e32 v13, v13, v11
	v_and_b32_e32 v12, v14, v12
	s_delay_alu instid0(VALU_DEP_4) | instskip(NEXT) | instid1(VALU_DEP_2)
	v_bfe_u32 v16, v15, 20, 1
	v_cmp_eq_u32_e64 s11, v12, v17
	s_delay_alu instid0(VALU_DEP_2) | instskip(NEXT) | instid1(VALU_DEP_1)
	v_add_nc_u32_e32 v14, -1, v16
	v_cndmask_b32_e64 v12, 0, v14, s11
	v_lshrrev_b32_e32 v14, 23, v15
	s_mov_b32 s11, exec_lo
	s_delay_alu instid0(VALU_DEP_2) | instskip(NEXT) | instid1(VALU_DEP_2)
	v_add_nc_u32_e32 v12, v12, v15
	v_xor_b32_e32 v14, 1, v14
	s_delay_alu instid0(VALU_DEP_2) | instskip(NEXT) | instid1(VALU_DEP_1)
	v_and_b32_e32 v11, 0xfffff, v12
	v_add_nc_u32_e32 v12, v11, v15
                                        ; implicit-def: $vgpr11
	s_delay_alu instid0(VALU_DEP_3)
	v_cmpx_ne_u32_e64 v13, v14
	s_xor_b32 s11, exec_lo, s11
; %bb.914:                              ;   in Loop: Header=BB6_142 Depth=2
	s_delay_alu instid0(VALU_DEP_2) | instskip(SKIP_2) | instid1(VALU_DEP_2)
	v_cmp_lt_u32_e32 vcc_lo, 0xffffff, v12
	v_sub_nc_u32_e32 v11, v13, v14
	v_cndmask_b32_e64 v13, 0, 1, vcc_lo
	v_add_co_ci_u32_e32 v11, vcc_lo, 0, v11, vcc_lo
	s_delay_alu instid0(VALU_DEP_2)
	v_lshrrev_b32_e32 v12, v13, v12
; %bb.915:                              ;   in Loop: Header=BB6_142 Depth=2
	s_and_not1_saveexec_b32 s11, s11
; %bb.916:                              ;   in Loop: Header=BB6_142 Depth=2
	s_delay_alu instid0(VALU_DEP_1)
	v_bfe_u32 v11, v12, 23, 1
; %bb.917:                              ;   in Loop: Header=BB6_142 Depth=2
	s_or_b32 exec_lo, exec_lo, s11
	v_lshrrev_b32_e32 v12, 20, v12
	s_delay_alu instid0(VALU_DEP_2) | instskip(SKIP_2) | instid1(VALU_DEP_2)
	v_cmp_gt_i32_e32 vcc_lo, 16, v11
	v_min_i32_e32 v13, 15, v11
	v_lshrrev_b32_e32 v10, 24, v10
	v_dual_cndmask_b32 v12, 7, v12 :: v_dual_lshlrev_b32 v13, 3, v13
	s_delay_alu instid0(VALU_DEP_2) | instskip(NEXT) | instid1(VALU_DEP_2)
	v_and_b32_e32 v10, 0x80, v10
	v_or_b32_e32 v11, v11, v12
	s_delay_alu instid0(VALU_DEP_3) | instskip(NEXT) | instid1(VALU_DEP_2)
	v_and_b32_e32 v13, 0xf8, v13
	v_cmp_ne_u32_e32 vcc_lo, 0, v11
	v_and_b32_e32 v14, 7, v12
	s_delay_alu instid0(VALU_DEP_1) | instskip(NEXT) | instid1(VALU_DEP_1)
	v_or3_b32 v10, v10, v13, v14
	v_lshlrev_b32_e32 v10, 8, v10
	s_delay_alu instid0(VALU_DEP_1)
	v_cndmask_b32_e32 v129, 0, v10, vcc_lo
.LBB6_918:                              ;   in Loop: Header=BB6_142 Depth=2
	s_or_b32 exec_lo, exec_lo, s26
.LBB6_919:                              ;   in Loop: Header=BB6_142 Depth=2
	s_delay_alu instid0(SALU_CYCLE_1)
	s_or_b32 exec_lo, exec_lo, s25
	s_clause 0x3
	global_load_b128 v[22:25], v[68:69], off slc dlc
	global_load_b128 v[18:21], v[68:69], off offset:512 slc dlc
	global_load_b128 v[14:17], v[68:69], off offset:1024 slc dlc
	global_load_b128 v[10:13], v[68:69], off offset:1536 slc dlc
	v_and_b32_e32 v93, 0xff, v116
	s_mov_b32 s11, 0
	s_mov_b32 s26, exec_lo
                                        ; implicit-def: $sgpr25
	s_delay_alu instid0(VALU_DEP_1)
	v_cmpx_lt_i16_e32 0x7f, v93
	s_xor_b32 s26, exec_lo, s26
	s_cbranch_execnz .LBB6_2197
; %bb.920:                              ;   in Loop: Header=BB6_142 Depth=2
	s_or_saveexec_b32 s26, s26
	v_mov_b32_e32 v92, s25
	s_xor_b32 exec_lo, exec_lo, s26
	s_cbranch_execnz .LBB6_2200
.LBB6_921:                              ;   in Loop: Header=BB6_142 Depth=2
	s_or_b32 exec_lo, exec_lo, s26
	s_and_saveexec_b32 s25, s11
	s_cbranch_execz .LBB6_923
.LBB6_922:                              ;   in Loop: Header=BB6_142 Depth=2
	v_bfe_u32 v95, v116, 3, 4
	s_delay_alu instid0(VALU_DEP_1) | instskip(SKIP_1) | instid1(VALU_DEP_1)
	v_cmp_eq_u32_e32 vcc_lo, 0, v95
	v_and_b32_e32 v92, 7, v116
	v_clz_i32_u32_e32 v93, v92
	s_delay_alu instid0(VALU_DEP_1) | instskip(NEXT) | instid1(VALU_DEP_1)
	v_min_u32_e32 v93, 32, v93
	v_subrev_nc_u32_e32 v94, 28, v93
	v_sub_nc_u32_e32 v93, 29, v93
	s_delay_alu instid0(VALU_DEP_1) | instskip(SKIP_1) | instid1(VALU_DEP_2)
	v_dual_cndmask_b32 v93, v95, v93 :: v_dual_lshlrev_b32 v94, v94, v116
	v_lshlrev_b32_e32 v116, 24, v116
	v_and_b32_e32 v94, 7, v94
	s_delay_alu instid0(VALU_DEP_3) | instskip(NEXT) | instid1(VALU_DEP_3)
	v_lshl_add_u32 v93, v93, 23, 0x3b800000
	v_and_b32_e32 v116, 0x80000000, v116
	s_delay_alu instid0(VALU_DEP_3) | instskip(NEXT) | instid1(VALU_DEP_1)
	v_cndmask_b32_e32 v92, v92, v94, vcc_lo
	v_lshlrev_b32_e32 v92, 20, v92
	s_delay_alu instid0(VALU_DEP_1)
	v_or3_b32 v92, v116, v93, v92
.LBB6_923:                              ;   in Loop: Header=BB6_142 Depth=2
	s_or_b32 exec_lo, exec_lo, s25
	s_waitcnt vmcnt(3)
	v_and_b32_e32 v93, 0xff, v22
	s_mov_b32 s11, 0
	s_mov_b32 s26, exec_lo
                                        ; implicit-def: $sgpr25
	s_delay_alu instid0(VALU_DEP_1)
	v_cmpx_lt_i16_e32 0x7f, v93
	s_xor_b32 s26, exec_lo, s26
	s_cbranch_execnz .LBB6_2201
; %bb.924:                              ;   in Loop: Header=BB6_142 Depth=2
	s_or_saveexec_b32 s26, s26
	v_mov_b32_e32 v116, s25
	s_xor_b32 exec_lo, exec_lo, s26
	s_cbranch_execnz .LBB6_2204
.LBB6_925:                              ;   in Loop: Header=BB6_142 Depth=2
	s_or_b32 exec_lo, exec_lo, s26
	s_and_saveexec_b32 s25, s11
	s_cbranch_execz .LBB6_927
.LBB6_926:                              ;   in Loop: Header=BB6_142 Depth=2
	v_bfe_u32 v95, v22, 3, 4
	v_lshlrev_b32_e32 v104, 24, v22
	s_delay_alu instid0(VALU_DEP_2) | instskip(SKIP_1) | instid1(VALU_DEP_1)
	v_cmp_eq_u32_e32 vcc_lo, 0, v95
	v_and_b32_e32 v116, 7, v22
	v_clz_i32_u32_e32 v93, v116
	s_delay_alu instid0(VALU_DEP_1) | instskip(NEXT) | instid1(VALU_DEP_1)
	v_min_u32_e32 v93, 32, v93
	v_subrev_nc_u32_e32 v94, 28, v93
	v_sub_nc_u32_e32 v93, 29, v93
	s_delay_alu instid0(VALU_DEP_1) | instskip(NEXT) | instid1(VALU_DEP_1)
	v_dual_cndmask_b32 v93, v95, v93 :: v_dual_lshlrev_b32 v94, v94, v22
	v_and_b32_e32 v94, 7, v94
	s_delay_alu instid0(VALU_DEP_2) | instskip(NEXT) | instid1(VALU_DEP_2)
	v_lshl_add_u32 v93, v93, 23, 0x3b800000
	v_cndmask_b32_e32 v116, v116, v94, vcc_lo
	v_and_b32_e32 v94, 0x80000000, v104
	s_delay_alu instid0(VALU_DEP_2) | instskip(NEXT) | instid1(VALU_DEP_1)
	v_lshlrev_b32_e32 v116, 20, v116
	v_or3_b32 v116, v94, v93, v116
.LBB6_927:                              ;   in Loop: Header=BB6_142 Depth=2
	s_or_b32 exec_lo, exec_lo, s25
	s_delay_alu instid0(VALU_DEP_1) | instskip(NEXT) | instid1(VALU_DEP_1)
	v_add_f32_e32 v92, v92, v116
	v_and_b32_e32 v116, 0x7f800000, v92
	s_delay_alu instid0(VALU_DEP_1)
	v_cmp_ne_u32_e32 vcc_lo, 0x7f800000, v116
	v_mov_b32_e32 v116, 0x80
	s_and_saveexec_b32 s25, vcc_lo
	s_cbranch_execz .LBB6_935
; %bb.928:                              ;   in Loop: Header=BB6_142 Depth=2
	v_mov_b32_e32 v116, 0
	s_mov_b32 s26, exec_lo
	v_cmpx_ne_u32_e32 0, v92
	s_cbranch_execz .LBB6_934
; %bb.929:                              ;   in Loop: Header=BB6_142 Depth=2
	v_bfe_u32 v116, v92, 23, 8
	s_delay_alu instid0(VALU_DEP_1) | instskip(SKIP_1) | instid1(VALU_DEP_2)
	v_sub_nc_u32_e32 v94, 0x78, v116
	v_cmp_gt_u32_e32 vcc_lo, 0x79, v116
	v_dual_cndmask_b32 v94, 0, v94 :: v_dual_and_b32 v93, 0x7fffff, v92
	s_delay_alu instid0(VALU_DEP_1) | instskip(SKIP_2) | instid1(VALU_DEP_4)
	v_or_b32_e32 v95, 0x800000, v93
	v_cmp_eq_u32_e32 vcc_lo, 0, v116
	v_add_nc_u32_e32 v116, 0xffffff89, v116
	v_cndmask_b32_e64 v94, v94, 0x77, vcc_lo
	s_delay_alu instid0(VALU_DEP_4) | instskip(NEXT) | instid1(VALU_DEP_3)
	v_cndmask_b32_e32 v93, v95, v93, vcc_lo
	v_cndmask_b32_e64 v116, v116, 0xffffff8a, vcc_lo
	s_delay_alu instid0(VALU_DEP_3) | instskip(NEXT) | instid1(VALU_DEP_3)
	v_lshl_add_u32 v95, 0x100000, v94, -1
	v_lshrrev_b32_e32 v104, v94, v93
	v_lshlrev_b32_e64 v106, v94, 0x80000
	s_delay_alu instid0(VALU_DEP_4) | instskip(NEXT) | instid1(VALU_DEP_4)
	v_add_nc_u32_e32 v94, v94, v116
	v_and_b32_e32 v93, v95, v93
	s_delay_alu instid0(VALU_DEP_4) | instskip(NEXT) | instid1(VALU_DEP_2)
	v_bfe_u32 v105, v104, 20, 1
	v_cmp_eq_u32_e64 s11, v93, v106
	s_delay_alu instid0(VALU_DEP_2) | instskip(NEXT) | instid1(VALU_DEP_1)
	v_add_nc_u32_e32 v95, -1, v105
	v_cndmask_b32_e64 v93, 0, v95, s11
	v_lshrrev_b32_e32 v95, 23, v104
	s_mov_b32 s11, exec_lo
	s_delay_alu instid0(VALU_DEP_2) | instskip(NEXT) | instid1(VALU_DEP_2)
	v_add_nc_u32_e32 v93, v93, v104
	v_xor_b32_e32 v95, 1, v95
	s_delay_alu instid0(VALU_DEP_2) | instskip(NEXT) | instid1(VALU_DEP_1)
	v_and_b32_e32 v116, 0xfffff, v93
	v_add_nc_u32_e32 v93, v116, v104
                                        ; implicit-def: $vgpr116
	s_delay_alu instid0(VALU_DEP_3)
	v_cmpx_ne_u32_e64 v94, v95
	s_xor_b32 s11, exec_lo, s11
; %bb.930:                              ;   in Loop: Header=BB6_142 Depth=2
	s_delay_alu instid0(VALU_DEP_2) | instskip(SKIP_2) | instid1(VALU_DEP_2)
	v_cmp_lt_u32_e32 vcc_lo, 0xffffff, v93
	v_sub_nc_u32_e32 v116, v94, v95
	v_cndmask_b32_e64 v94, 0, 1, vcc_lo
	v_add_co_ci_u32_e32 v116, vcc_lo, 0, v116, vcc_lo
	s_delay_alu instid0(VALU_DEP_2)
	v_lshrrev_b32_e32 v93, v94, v93
; %bb.931:                              ;   in Loop: Header=BB6_142 Depth=2
	s_and_not1_saveexec_b32 s11, s11
; %bb.932:                              ;   in Loop: Header=BB6_142 Depth=2
	s_delay_alu instid0(VALU_DEP_1)
	v_bfe_u32 v116, v93, 23, 1
; %bb.933:                              ;   in Loop: Header=BB6_142 Depth=2
	s_or_b32 exec_lo, exec_lo, s11
	v_lshrrev_b32_e32 v93, 20, v93
	s_delay_alu instid0(VALU_DEP_2) | instskip(SKIP_2) | instid1(VALU_DEP_2)
	v_cmp_gt_i32_e32 vcc_lo, 16, v116
	v_lshrrev_b32_e32 v92, 24, v92
	v_min_i32_e32 v94, 15, v116
	v_dual_cndmask_b32 v93, 7, v93 :: v_dual_and_b32 v92, 0x80, v92
	s_delay_alu instid0(VALU_DEP_2) | instskip(NEXT) | instid1(VALU_DEP_2)
	v_lshlrev_b32_e32 v94, 3, v94
	v_or_b32_e32 v116, v116, v93
	s_delay_alu instid0(VALU_DEP_1) | instskip(SKIP_1) | instid1(VALU_DEP_1)
	v_cmp_ne_u32_e32 vcc_lo, 0, v116
	v_and_b32_e32 v95, 7, v93
	v_or3_b32 v92, v94, v92, v95
	s_delay_alu instid0(VALU_DEP_1)
	v_cndmask_b32_e32 v116, 0, v92, vcc_lo
.LBB6_934:                              ;   in Loop: Header=BB6_142 Depth=2
	s_or_b32 exec_lo, exec_lo, s26
.LBB6_935:                              ;   in Loop: Header=BB6_142 Depth=2
	s_delay_alu instid0(SALU_CYCLE_1) | instskip(SKIP_3) | instid1(VALU_DEP_1)
	s_or_b32 exec_lo, exec_lo, s25
	v_and_b32_e32 v93, 0xff, v118
	s_mov_b32 s11, 0
	s_mov_b32 s26, exec_lo
                                        ; implicit-def: $sgpr25
	v_cmpx_lt_i16_e32 0x7f, v93
	s_xor_b32 s26, exec_lo, s26
	s_cbranch_execnz .LBB6_2205
; %bb.936:                              ;   in Loop: Header=BB6_142 Depth=2
	s_or_saveexec_b32 s26, s26
	v_mov_b32_e32 v92, s25
	s_xor_b32 exec_lo, exec_lo, s26
	s_cbranch_execnz .LBB6_2208
.LBB6_937:                              ;   in Loop: Header=BB6_142 Depth=2
	s_or_b32 exec_lo, exec_lo, s26
	s_and_saveexec_b32 s25, s11
	s_cbranch_execz .LBB6_939
.LBB6_938:                              ;   in Loop: Header=BB6_142 Depth=2
	v_bfe_u32 v95, v118, 3, 4
	s_delay_alu instid0(VALU_DEP_1) | instskip(SKIP_1) | instid1(VALU_DEP_1)
	v_cmp_eq_u32_e32 vcc_lo, 0, v95
	v_and_b32_e32 v92, 7, v118
	v_clz_i32_u32_e32 v93, v92
	s_delay_alu instid0(VALU_DEP_1) | instskip(NEXT) | instid1(VALU_DEP_1)
	v_min_u32_e32 v93, 32, v93
	v_subrev_nc_u32_e32 v94, 28, v93
	v_sub_nc_u32_e32 v93, 29, v93
	s_delay_alu instid0(VALU_DEP_1) | instskip(SKIP_1) | instid1(VALU_DEP_2)
	v_dual_cndmask_b32 v93, v95, v93 :: v_dual_lshlrev_b32 v94, v94, v118
	v_lshlrev_b32_e32 v118, 24, v118
	v_and_b32_e32 v94, 7, v94
	s_delay_alu instid0(VALU_DEP_3) | instskip(NEXT) | instid1(VALU_DEP_3)
	v_lshl_add_u32 v93, v93, 23, 0x3b800000
	v_and_b32_e32 v118, 0x80000000, v118
	s_delay_alu instid0(VALU_DEP_3) | instskip(NEXT) | instid1(VALU_DEP_1)
	v_cndmask_b32_e32 v92, v92, v94, vcc_lo
	v_lshlrev_b32_e32 v92, 20, v92
	s_delay_alu instid0(VALU_DEP_1)
	v_or3_b32 v92, v118, v93, v92
.LBB6_939:                              ;   in Loop: Header=BB6_142 Depth=2
	s_or_b32 exec_lo, exec_lo, s25
	v_lshrrev_b16 v118, 8, v22
	s_mov_b32 s11, 0
	s_mov_b32 s26, exec_lo
                                        ; implicit-def: $sgpr25
	s_delay_alu instid0(VALU_DEP_1)
	v_cmpx_lt_i16_e32 0x7f, v118
	s_xor_b32 s26, exec_lo, s26
	s_cbranch_execnz .LBB6_2209
; %bb.940:                              ;   in Loop: Header=BB6_142 Depth=2
	s_or_saveexec_b32 s26, s26
	v_mov_b32_e32 v93, s25
	s_xor_b32 exec_lo, exec_lo, s26
	s_cbranch_execnz .LBB6_2212
.LBB6_941:                              ;   in Loop: Header=BB6_142 Depth=2
	s_or_b32 exec_lo, exec_lo, s26
	s_and_saveexec_b32 s25, s11
	s_cbranch_execz .LBB6_943
.LBB6_942:                              ;   in Loop: Header=BB6_142 Depth=2
	v_and_b32_e32 v93, 0xffff, v118
	v_lshlrev_b32_e32 v118, 24, v118
	s_delay_alu instid0(VALU_DEP_2) | instskip(NEXT) | instid1(VALU_DEP_2)
	v_and_b32_e32 v94, 7, v93
	v_and_b32_e32 v118, 0x80000000, v118
	s_delay_alu instid0(VALU_DEP_2) | instskip(NEXT) | instid1(VALU_DEP_1)
	v_clz_i32_u32_e32 v95, v94
	v_min_u32_e32 v95, 32, v95
	s_delay_alu instid0(VALU_DEP_1) | instskip(SKIP_1) | instid1(VALU_DEP_2)
	v_subrev_nc_u32_e32 v104, 28, v95
	v_sub_nc_u32_e32 v95, 29, v95
	v_lshlrev_b32_e32 v104, v104, v93
	v_bfe_u32 v93, v93, 3, 4
	s_delay_alu instid0(VALU_DEP_2) | instskip(NEXT) | instid1(VALU_DEP_2)
	v_and_b32_e32 v104, 7, v104
	v_cmp_eq_u32_e32 vcc_lo, 0, v93
	s_delay_alu instid0(VALU_DEP_2) | instskip(NEXT) | instid1(VALU_DEP_1)
	v_dual_cndmask_b32 v93, v93, v95 :: v_dual_cndmask_b32 v94, v94, v104
	v_lshl_add_u32 v93, v93, 23, 0x3b800000
	s_delay_alu instid0(VALU_DEP_2) | instskip(NEXT) | instid1(VALU_DEP_1)
	v_lshlrev_b32_e32 v94, 20, v94
	v_or3_b32 v93, v118, v93, v94
.LBB6_943:                              ;   in Loop: Header=BB6_142 Depth=2
	s_or_b32 exec_lo, exec_lo, s25
	s_delay_alu instid0(VALU_DEP_1) | instskip(NEXT) | instid1(VALU_DEP_1)
	v_add_f32_e32 v92, v92, v93
	v_and_b32_e32 v118, 0x7f800000, v92
	s_delay_alu instid0(VALU_DEP_1)
	v_cmp_ne_u32_e32 vcc_lo, 0x7f800000, v118
	v_mov_b32_e32 v118, 0x80
	s_and_saveexec_b32 s25, vcc_lo
	s_cbranch_execz .LBB6_951
; %bb.944:                              ;   in Loop: Header=BB6_142 Depth=2
	v_mov_b32_e32 v118, 0
	s_mov_b32 s26, exec_lo
	v_cmpx_ne_u32_e32 0, v92
	s_cbranch_execz .LBB6_950
; %bb.945:                              ;   in Loop: Header=BB6_142 Depth=2
	v_bfe_u32 v118, v92, 23, 8
	s_delay_alu instid0(VALU_DEP_1) | instskip(SKIP_1) | instid1(VALU_DEP_2)
	v_sub_nc_u32_e32 v94, 0x78, v118
	v_cmp_gt_u32_e32 vcc_lo, 0x79, v118
	v_dual_cndmask_b32 v94, 0, v94 :: v_dual_and_b32 v93, 0x7fffff, v92
	s_delay_alu instid0(VALU_DEP_1) | instskip(SKIP_2) | instid1(VALU_DEP_4)
	v_or_b32_e32 v95, 0x800000, v93
	v_cmp_eq_u32_e32 vcc_lo, 0, v118
	v_add_nc_u32_e32 v118, 0xffffff89, v118
	v_cndmask_b32_e64 v94, v94, 0x77, vcc_lo
	s_delay_alu instid0(VALU_DEP_4) | instskip(NEXT) | instid1(VALU_DEP_3)
	v_cndmask_b32_e32 v93, v95, v93, vcc_lo
	v_cndmask_b32_e64 v118, v118, 0xffffff8a, vcc_lo
	s_delay_alu instid0(VALU_DEP_3) | instskip(NEXT) | instid1(VALU_DEP_3)
	v_lshl_add_u32 v95, 0x100000, v94, -1
	v_lshrrev_b32_e32 v104, v94, v93
	v_lshlrev_b32_e64 v106, v94, 0x80000
	s_delay_alu instid0(VALU_DEP_4) | instskip(NEXT) | instid1(VALU_DEP_4)
	v_add_nc_u32_e32 v94, v94, v118
	v_and_b32_e32 v93, v95, v93
	s_delay_alu instid0(VALU_DEP_4) | instskip(NEXT) | instid1(VALU_DEP_2)
	v_bfe_u32 v105, v104, 20, 1
	v_cmp_eq_u32_e64 s11, v93, v106
	s_delay_alu instid0(VALU_DEP_2) | instskip(NEXT) | instid1(VALU_DEP_1)
	v_add_nc_u32_e32 v95, -1, v105
	v_cndmask_b32_e64 v93, 0, v95, s11
	v_lshrrev_b32_e32 v95, 23, v104
	s_mov_b32 s11, exec_lo
	s_delay_alu instid0(VALU_DEP_2) | instskip(NEXT) | instid1(VALU_DEP_2)
	v_add_nc_u32_e32 v93, v93, v104
	v_xor_b32_e32 v95, 1, v95
	s_delay_alu instid0(VALU_DEP_2) | instskip(NEXT) | instid1(VALU_DEP_1)
	v_and_b32_e32 v118, 0xfffff, v93
	v_add_nc_u32_e32 v93, v118, v104
                                        ; implicit-def: $vgpr118
	s_delay_alu instid0(VALU_DEP_3)
	v_cmpx_ne_u32_e64 v94, v95
	s_xor_b32 s11, exec_lo, s11
; %bb.946:                              ;   in Loop: Header=BB6_142 Depth=2
	s_delay_alu instid0(VALU_DEP_2) | instskip(SKIP_2) | instid1(VALU_DEP_2)
	v_cmp_lt_u32_e32 vcc_lo, 0xffffff, v93
	v_sub_nc_u32_e32 v118, v94, v95
	v_cndmask_b32_e64 v94, 0, 1, vcc_lo
	v_add_co_ci_u32_e32 v118, vcc_lo, 0, v118, vcc_lo
	s_delay_alu instid0(VALU_DEP_2)
	v_lshrrev_b32_e32 v93, v94, v93
; %bb.947:                              ;   in Loop: Header=BB6_142 Depth=2
	s_and_not1_saveexec_b32 s11, s11
; %bb.948:                              ;   in Loop: Header=BB6_142 Depth=2
	s_delay_alu instid0(VALU_DEP_1)
	v_bfe_u32 v118, v93, 23, 1
; %bb.949:                              ;   in Loop: Header=BB6_142 Depth=2
	s_or_b32 exec_lo, exec_lo, s11
	v_lshrrev_b32_e32 v93, 20, v93
	s_delay_alu instid0(VALU_DEP_2) | instskip(SKIP_2) | instid1(VALU_DEP_2)
	v_cmp_gt_i32_e32 vcc_lo, 16, v118
	v_lshrrev_b32_e32 v92, 24, v92
	v_min_i32_e32 v94, 15, v118
	v_dual_cndmask_b32 v93, 7, v93 :: v_dual_and_b32 v92, 0x80, v92
	s_delay_alu instid0(VALU_DEP_2) | instskip(NEXT) | instid1(VALU_DEP_2)
	v_lshlrev_b32_e32 v94, 3, v94
	v_or_b32_e32 v118, v118, v93
	s_delay_alu instid0(VALU_DEP_1) | instskip(SKIP_1) | instid1(VALU_DEP_1)
	v_cmp_ne_u32_e32 vcc_lo, 0, v118
	v_and_b32_e32 v95, 7, v93
	v_or3_b32 v92, v94, v92, v95
	s_delay_alu instid0(VALU_DEP_1)
	v_cndmask_b32_e32 v118, 0, v92, vcc_lo
.LBB6_950:                              ;   in Loop: Header=BB6_142 Depth=2
	s_or_b32 exec_lo, exec_lo, s26
.LBB6_951:                              ;   in Loop: Header=BB6_142 Depth=2
	s_delay_alu instid0(SALU_CYCLE_1) | instskip(SKIP_3) | instid1(VALU_DEP_1)
	s_or_b32 exec_lo, exec_lo, s25
	v_and_b32_e32 v93, 0xff, v133
	s_mov_b32 s11, 0
	s_mov_b32 s26, exec_lo
                                        ; implicit-def: $sgpr25
	v_cmpx_lt_i16_e32 0x7f, v93
	s_xor_b32 s26, exec_lo, s26
	s_cbranch_execnz .LBB6_2213
; %bb.952:                              ;   in Loop: Header=BB6_142 Depth=2
	s_or_saveexec_b32 s26, s26
	v_mov_b32_e32 v92, s25
	s_xor_b32 exec_lo, exec_lo, s26
	s_cbranch_execnz .LBB6_2216
.LBB6_953:                              ;   in Loop: Header=BB6_142 Depth=2
	s_or_b32 exec_lo, exec_lo, s26
	s_and_saveexec_b32 s25, s11
	s_cbranch_execz .LBB6_955
.LBB6_954:                              ;   in Loop: Header=BB6_142 Depth=2
	v_and_b32_e32 v92, 7, v133
	v_bfe_u32 v95, v133, 3, 4
	s_delay_alu instid0(VALU_DEP_2) | instskip(NEXT) | instid1(VALU_DEP_2)
	v_clz_i32_u32_e32 v93, v92
	v_cmp_eq_u32_e32 vcc_lo, 0, v95
	s_delay_alu instid0(VALU_DEP_2) | instskip(NEXT) | instid1(VALU_DEP_1)
	v_min_u32_e32 v93, 32, v93
	v_subrev_nc_u32_e32 v94, 28, v93
	v_sub_nc_u32_e32 v93, 29, v93
	s_delay_alu instid0(VALU_DEP_2) | instskip(NEXT) | instid1(VALU_DEP_1)
	v_lshlrev_b32_e32 v94, v94, v133
	v_dual_cndmask_b32 v93, v95, v93 :: v_dual_and_b32 v94, 7, v94
	v_lshlrev_b32_e32 v133, 24, v133
	s_delay_alu instid0(VALU_DEP_2) | instskip(NEXT) | instid1(VALU_DEP_2)
	v_lshl_add_u32 v93, v93, 23, 0x3b800000
	v_dual_cndmask_b32 v92, v92, v94 :: v_dual_and_b32 v133, 0x80000000, v133
	s_delay_alu instid0(VALU_DEP_1) | instskip(NEXT) | instid1(VALU_DEP_1)
	v_lshlrev_b32_e32 v92, 20, v92
	v_or3_b32 v92, v133, v93, v92
.LBB6_955:                              ;   in Loop: Header=BB6_142 Depth=2
	s_or_b32 exec_lo, exec_lo, s25
	v_lshrrev_b32_e32 v133, 16, v22
	s_mov_b32 s11, 0
	s_mov_b32 s26, exec_lo
                                        ; implicit-def: $sgpr25
	s_delay_alu instid0(VALU_DEP_1) | instskip(NEXT) | instid1(VALU_DEP_1)
	v_and_b32_e32 v94, 0xff, v133
	v_cmpx_lt_i16_e32 0x7f, v94
	s_xor_b32 s26, exec_lo, s26
	s_cbranch_execnz .LBB6_2217
; %bb.956:                              ;   in Loop: Header=BB6_142 Depth=2
	s_or_saveexec_b32 s26, s26
	v_mov_b32_e32 v93, s25
	s_xor_b32 exec_lo, exec_lo, s26
	s_cbranch_execnz .LBB6_2220
.LBB6_957:                              ;   in Loop: Header=BB6_142 Depth=2
	s_or_b32 exec_lo, exec_lo, s26
	s_and_saveexec_b32 s25, s11
	s_cbranch_execz .LBB6_959
.LBB6_958:                              ;   in Loop: Header=BB6_142 Depth=2
	v_bfe_u32 v93, v22, 16, 3
	s_delay_alu instid0(VALU_DEP_1) | instskip(NEXT) | instid1(VALU_DEP_1)
	v_clz_i32_u32_e32 v94, v93
	v_min_u32_e32 v94, 32, v94
	s_delay_alu instid0(VALU_DEP_1) | instskip(SKIP_1) | instid1(VALU_DEP_2)
	v_subrev_nc_u32_e32 v95, 28, v94
	v_sub_nc_u32_e32 v94, 29, v94
	v_lshlrev_b32_e32 v133, v95, v133
	v_bfe_u32 v95, v22, 19, 4
	s_delay_alu instid0(VALU_DEP_1) | instskip(NEXT) | instid1(VALU_DEP_3)
	v_cmp_eq_u32_e32 vcc_lo, 0, v95
	v_dual_cndmask_b32 v94, v95, v94 :: v_dual_and_b32 v133, 7, v133
	s_delay_alu instid0(VALU_DEP_1) | instskip(NEXT) | instid1(VALU_DEP_2)
	v_dual_cndmask_b32 v133, v93, v133 :: v_dual_lshlrev_b32 v104, 8, v22
	v_lshl_add_u32 v94, v94, 23, 0x3b800000
	s_delay_alu instid0(VALU_DEP_2) | instskip(NEXT) | instid1(VALU_DEP_3)
	v_and_b32_e32 v93, 0x80000000, v104
	v_lshlrev_b32_e32 v133, 20, v133
	s_delay_alu instid0(VALU_DEP_1)
	v_or3_b32 v93, v93, v94, v133
.LBB6_959:                              ;   in Loop: Header=BB6_142 Depth=2
	s_or_b32 exec_lo, exec_lo, s25
	s_delay_alu instid0(VALU_DEP_1) | instskip(NEXT) | instid1(VALU_DEP_1)
	v_add_f32_e32 v92, v92, v93
	v_and_b32_e32 v133, 0x7f800000, v92
	s_delay_alu instid0(VALU_DEP_1)
	v_cmp_ne_u32_e32 vcc_lo, 0x7f800000, v133
	v_mov_b32_e32 v133, 0x80
	s_and_saveexec_b32 s25, vcc_lo
	s_cbranch_execz .LBB6_967
; %bb.960:                              ;   in Loop: Header=BB6_142 Depth=2
	v_mov_b32_e32 v133, 0
	s_mov_b32 s26, exec_lo
	v_cmpx_ne_u32_e32 0, v92
	s_cbranch_execz .LBB6_966
; %bb.961:                              ;   in Loop: Header=BB6_142 Depth=2
	v_bfe_u32 v133, v92, 23, 8
	s_delay_alu instid0(VALU_DEP_1) | instskip(SKIP_1) | instid1(VALU_DEP_2)
	v_sub_nc_u32_e32 v94, 0x78, v133
	v_cmp_gt_u32_e32 vcc_lo, 0x79, v133
	v_dual_cndmask_b32 v94, 0, v94 :: v_dual_and_b32 v93, 0x7fffff, v92
	s_delay_alu instid0(VALU_DEP_1) | instskip(SKIP_2) | instid1(VALU_DEP_4)
	v_or_b32_e32 v95, 0x800000, v93
	v_cmp_eq_u32_e32 vcc_lo, 0, v133
	v_add_nc_u32_e32 v133, 0xffffff89, v133
	v_cndmask_b32_e64 v94, v94, 0x77, vcc_lo
	s_delay_alu instid0(VALU_DEP_4) | instskip(NEXT) | instid1(VALU_DEP_3)
	v_cndmask_b32_e32 v93, v95, v93, vcc_lo
	v_cndmask_b32_e64 v133, v133, 0xffffff8a, vcc_lo
	s_delay_alu instid0(VALU_DEP_3) | instskip(NEXT) | instid1(VALU_DEP_3)
	v_lshl_add_u32 v95, 0x100000, v94, -1
	v_lshrrev_b32_e32 v104, v94, v93
	v_lshlrev_b32_e64 v106, v94, 0x80000
	s_delay_alu instid0(VALU_DEP_4) | instskip(NEXT) | instid1(VALU_DEP_4)
	v_add_nc_u32_e32 v94, v94, v133
	v_and_b32_e32 v93, v95, v93
	s_delay_alu instid0(VALU_DEP_4) | instskip(NEXT) | instid1(VALU_DEP_2)
	v_bfe_u32 v105, v104, 20, 1
	v_cmp_eq_u32_e64 s11, v93, v106
	s_delay_alu instid0(VALU_DEP_2) | instskip(NEXT) | instid1(VALU_DEP_1)
	v_add_nc_u32_e32 v95, -1, v105
	v_cndmask_b32_e64 v93, 0, v95, s11
	v_lshrrev_b32_e32 v95, 23, v104
	s_mov_b32 s11, exec_lo
	s_delay_alu instid0(VALU_DEP_2) | instskip(NEXT) | instid1(VALU_DEP_2)
	v_add_nc_u32_e32 v93, v93, v104
	v_xor_b32_e32 v95, 1, v95
	s_delay_alu instid0(VALU_DEP_2) | instskip(NEXT) | instid1(VALU_DEP_1)
	v_and_b32_e32 v133, 0xfffff, v93
	v_add_nc_u32_e32 v93, v133, v104
                                        ; implicit-def: $vgpr133
	s_delay_alu instid0(VALU_DEP_3)
	v_cmpx_ne_u32_e64 v94, v95
	s_xor_b32 s11, exec_lo, s11
; %bb.962:                              ;   in Loop: Header=BB6_142 Depth=2
	s_delay_alu instid0(VALU_DEP_2) | instskip(SKIP_2) | instid1(VALU_DEP_2)
	v_cmp_lt_u32_e32 vcc_lo, 0xffffff, v93
	v_sub_nc_u32_e32 v133, v94, v95
	v_cndmask_b32_e64 v94, 0, 1, vcc_lo
	v_add_co_ci_u32_e32 v133, vcc_lo, 0, v133, vcc_lo
	s_delay_alu instid0(VALU_DEP_2)
	v_lshrrev_b32_e32 v93, v94, v93
; %bb.963:                              ;   in Loop: Header=BB6_142 Depth=2
	s_and_not1_saveexec_b32 s11, s11
; %bb.964:                              ;   in Loop: Header=BB6_142 Depth=2
	s_delay_alu instid0(VALU_DEP_1)
	v_bfe_u32 v133, v93, 23, 1
; %bb.965:                              ;   in Loop: Header=BB6_142 Depth=2
	s_or_b32 exec_lo, exec_lo, s11
	v_lshrrev_b32_e32 v93, 20, v93
	s_delay_alu instid0(VALU_DEP_2) | instskip(SKIP_2) | instid1(VALU_DEP_2)
	v_cmp_gt_i32_e32 vcc_lo, 16, v133
	v_lshrrev_b32_e32 v92, 24, v92
	v_min_i32_e32 v94, 15, v133
	v_dual_cndmask_b32 v93, 7, v93 :: v_dual_and_b32 v92, 0x80, v92
	s_delay_alu instid0(VALU_DEP_1) | instskip(SKIP_1) | instid1(VALU_DEP_2)
	v_or_b32_e32 v133, v133, v93
	v_and_b32_e32 v95, 7, v93
	v_cmp_ne_u32_e32 vcc_lo, 0, v133
	v_lshlrev_b32_e32 v94, 3, v94
	s_delay_alu instid0(VALU_DEP_1) | instskip(NEXT) | instid1(VALU_DEP_1)
	v_or3_b32 v92, v94, v92, v95
	v_cndmask_b32_e32 v133, 0, v92, vcc_lo
.LBB6_966:                              ;   in Loop: Header=BB6_142 Depth=2
	s_or_b32 exec_lo, exec_lo, s26
.LBB6_967:                              ;   in Loop: Header=BB6_142 Depth=2
	s_delay_alu instid0(SALU_CYCLE_1) | instskip(SKIP_3) | instid1(VALU_DEP_1)
	s_or_b32 exec_lo, exec_lo, s25
	v_and_b32_e32 v93, 0xff, v160
	s_mov_b32 s11, 0
	s_mov_b32 s26, exec_lo
                                        ; implicit-def: $sgpr25
	v_cmpx_lt_i16_e32 0x7f, v93
	s_xor_b32 s26, exec_lo, s26
	s_cbranch_execnz .LBB6_2221
; %bb.968:                              ;   in Loop: Header=BB6_142 Depth=2
	s_or_saveexec_b32 s26, s26
	v_mov_b32_e32 v92, s25
	s_xor_b32 exec_lo, exec_lo, s26
	s_cbranch_execnz .LBB6_2224
.LBB6_969:                              ;   in Loop: Header=BB6_142 Depth=2
	s_or_b32 exec_lo, exec_lo, s26
	s_and_saveexec_b32 s25, s11
	s_cbranch_execz .LBB6_971
.LBB6_970:                              ;   in Loop: Header=BB6_142 Depth=2
	v_lshlrev_b32_e32 v160, 8, v160
	s_delay_alu instid0(VALU_DEP_1) | instskip(SKIP_1) | instid1(VALU_DEP_2)
	v_and_b32_e32 v92, 0xff00, v160
	v_bfe_u32 v160, v160, 11, 4
	v_bfe_u32 v94, v92, 8, 3
	s_delay_alu instid0(VALU_DEP_2) | instskip(SKIP_1) | instid1(VALU_DEP_3)
	v_cmp_eq_u32_e32 vcc_lo, 0, v160
	v_lshlrev_b32_e32 v92, 16, v92
	v_clz_i32_u32_e32 v95, v94
	s_delay_alu instid0(VALU_DEP_2) | instskip(NEXT) | instid1(VALU_DEP_2)
	v_and_b32_e32 v92, 0x80000000, v92
	v_min_u32_e32 v95, 32, v95
	s_delay_alu instid0(VALU_DEP_1) | instskip(SKIP_1) | instid1(VALU_DEP_2)
	v_subrev_nc_u32_e32 v104, 28, v95
	v_sub_nc_u32_e32 v95, 29, v95
	v_lshlrev_b32_e32 v93, v104, v93
	s_delay_alu instid0(VALU_DEP_1) | instskip(NEXT) | instid1(VALU_DEP_1)
	v_dual_cndmask_b32 v160, v160, v95 :: v_dual_and_b32 v93, 7, v93
	v_lshl_add_u32 v160, v160, 23, 0x3b800000
	s_delay_alu instid0(VALU_DEP_2) | instskip(NEXT) | instid1(VALU_DEP_1)
	v_cndmask_b32_e32 v93, v94, v93, vcc_lo
	v_lshlrev_b32_e32 v93, 20, v93
	s_delay_alu instid0(VALU_DEP_1)
	v_or3_b32 v92, v92, v160, v93
.LBB6_971:                              ;   in Loop: Header=BB6_142 Depth=2
	s_or_b32 exec_lo, exec_lo, s25
	v_lshrrev_b32_e32 v160, 24, v22
	s_mov_b32 s11, 0
	s_mov_b32 s26, exec_lo
                                        ; implicit-def: $sgpr25
	s_delay_alu instid0(VALU_DEP_1)
	v_cmpx_lt_i16_e64 0x7f, v160
	s_xor_b32 s26, exec_lo, s26
	s_cbranch_execnz .LBB6_2225
; %bb.972:                              ;   in Loop: Header=BB6_142 Depth=2
	s_or_saveexec_b32 s26, s26
	v_mov_b32_e32 v93, s25
	s_xor_b32 exec_lo, exec_lo, s26
	s_cbranch_execnz .LBB6_2228
.LBB6_973:                              ;   in Loop: Header=BB6_142 Depth=2
	s_or_b32 exec_lo, exec_lo, s26
	s_and_saveexec_b32 s25, s11
	s_cbranch_execz .LBB6_975
.LBB6_974:                              ;   in Loop: Header=BB6_142 Depth=2
	v_bfe_u32 v93, v22, 24, 3
	s_delay_alu instid0(VALU_DEP_1) | instskip(NEXT) | instid1(VALU_DEP_1)
	v_clz_i32_u32_e32 v94, v93
	v_min_u32_e32 v94, 32, v94
	s_delay_alu instid0(VALU_DEP_1) | instskip(SKIP_1) | instid1(VALU_DEP_2)
	v_subrev_nc_u32_e32 v95, 28, v94
	v_sub_nc_u32_e32 v94, 29, v94
	v_lshlrev_b32_e32 v160, v95, v160
	v_bfe_u32 v95, v22, 27, 4
	v_and_b32_e32 v22, 0x80000000, v22
	s_delay_alu instid0(VALU_DEP_3) | instskip(NEXT) | instid1(VALU_DEP_3)
	v_and_b32_e32 v160, 7, v160
	v_cmp_eq_u32_e32 vcc_lo, 0, v95
	v_cndmask_b32_e32 v94, v95, v94, vcc_lo
	s_delay_alu instid0(VALU_DEP_3) | instskip(NEXT) | instid1(VALU_DEP_2)
	v_cndmask_b32_e32 v160, v93, v160, vcc_lo
	v_lshl_add_u32 v93, v94, 23, 0x3b800000
	s_delay_alu instid0(VALU_DEP_2) | instskip(NEXT) | instid1(VALU_DEP_1)
	v_lshlrev_b32_e32 v160, 20, v160
	v_or3_b32 v93, v22, v93, v160
.LBB6_975:                              ;   in Loop: Header=BB6_142 Depth=2
	s_or_b32 exec_lo, exec_lo, s25
	s_delay_alu instid0(VALU_DEP_1) | instskip(NEXT) | instid1(VALU_DEP_1)
	v_add_f32_e32 v160, v92, v93
	v_and_b32_e32 v22, 0x7f800000, v160
	s_delay_alu instid0(VALU_DEP_1)
	v_cmp_ne_u32_e32 vcc_lo, 0x7f800000, v22
	v_mov_b32_e32 v22, 0x80
	s_and_saveexec_b32 s25, vcc_lo
	s_cbranch_execz .LBB6_983
; %bb.976:                              ;   in Loop: Header=BB6_142 Depth=2
	v_mov_b32_e32 v22, 0
	s_mov_b32 s26, exec_lo
	v_cmpx_ne_u32_e32 0, v160
	s_cbranch_execz .LBB6_982
; %bb.977:                              ;   in Loop: Header=BB6_142 Depth=2
	v_bfe_u32 v22, v160, 23, 8
	s_delay_alu instid0(VALU_DEP_1) | instskip(SKIP_1) | instid1(VALU_DEP_2)
	v_sub_nc_u32_e32 v93, 0x78, v22
	v_cmp_gt_u32_e32 vcc_lo, 0x79, v22
	v_dual_cndmask_b32 v93, 0, v93 :: v_dual_and_b32 v92, 0x7fffff, v160
	s_delay_alu instid0(VALU_DEP_1) | instskip(SKIP_2) | instid1(VALU_DEP_4)
	v_or_b32_e32 v94, 0x800000, v92
	v_cmp_eq_u32_e32 vcc_lo, 0, v22
	v_add_nc_u32_e32 v22, 0xffffff89, v22
	v_cndmask_b32_e64 v93, v93, 0x77, vcc_lo
	s_delay_alu instid0(VALU_DEP_2) | instskip(SKIP_1) | instid1(VALU_DEP_3)
	v_cndmask_b32_e64 v22, v22, 0xffffff8a, vcc_lo
	v_cndmask_b32_e32 v92, v94, v92, vcc_lo
	v_lshl_add_u32 v94, 0x100000, v93, -1
	v_lshlrev_b32_e64 v105, v93, 0x80000
	s_delay_alu instid0(VALU_DEP_3) | instskip(SKIP_1) | instid1(VALU_DEP_4)
	v_lshrrev_b32_e32 v95, v93, v92
	v_add_nc_u32_e32 v93, v93, v22
	v_and_b32_e32 v92, v94, v92
	s_delay_alu instid0(VALU_DEP_3) | instskip(NEXT) | instid1(VALU_DEP_2)
	v_bfe_u32 v104, v95, 20, 1
	v_cmp_eq_u32_e64 s11, v92, v105
	s_delay_alu instid0(VALU_DEP_2) | instskip(NEXT) | instid1(VALU_DEP_1)
	v_add_nc_u32_e32 v94, -1, v104
	v_cndmask_b32_e64 v92, 0, v94, s11
	v_lshrrev_b32_e32 v94, 23, v95
	s_mov_b32 s11, exec_lo
	s_delay_alu instid0(VALU_DEP_2) | instskip(NEXT) | instid1(VALU_DEP_2)
	v_add_nc_u32_e32 v92, v92, v95
	v_xor_b32_e32 v94, 1, v94
	s_delay_alu instid0(VALU_DEP_2) | instskip(NEXT) | instid1(VALU_DEP_1)
	v_and_b32_e32 v22, 0xfffff, v92
	v_add_nc_u32_e32 v92, v22, v95
                                        ; implicit-def: $vgpr22
	s_delay_alu instid0(VALU_DEP_3)
	v_cmpx_ne_u32_e64 v93, v94
	s_xor_b32 s11, exec_lo, s11
; %bb.978:                              ;   in Loop: Header=BB6_142 Depth=2
	s_delay_alu instid0(VALU_DEP_2) | instskip(SKIP_2) | instid1(VALU_DEP_2)
	v_cmp_lt_u32_e32 vcc_lo, 0xffffff, v92
	v_sub_nc_u32_e32 v22, v93, v94
	v_cndmask_b32_e64 v93, 0, 1, vcc_lo
	v_add_co_ci_u32_e32 v22, vcc_lo, 0, v22, vcc_lo
	s_delay_alu instid0(VALU_DEP_2)
	v_lshrrev_b32_e32 v92, v93, v92
; %bb.979:                              ;   in Loop: Header=BB6_142 Depth=2
	s_and_not1_saveexec_b32 s11, s11
; %bb.980:                              ;   in Loop: Header=BB6_142 Depth=2
	s_delay_alu instid0(VALU_DEP_1)
	v_bfe_u32 v22, v92, 23, 1
; %bb.981:                              ;   in Loop: Header=BB6_142 Depth=2
	s_or_b32 exec_lo, exec_lo, s11
	v_lshrrev_b32_e32 v92, 20, v92
	s_delay_alu instid0(VALU_DEP_2) | instskip(SKIP_2) | instid1(VALU_DEP_4)
	v_cmp_gt_i32_e32 vcc_lo, 16, v22
	v_lshrrev_b32_e32 v160, 24, v160
	v_min_i32_e32 v93, 15, v22
	v_cndmask_b32_e32 v92, 7, v92, vcc_lo
	s_delay_alu instid0(VALU_DEP_3) | instskip(NEXT) | instid1(VALU_DEP_3)
	v_and_b32_e32 v160, 0x80, v160
	v_lshlrev_b32_e32 v93, 3, v93
	s_delay_alu instid0(VALU_DEP_3) | instskip(SKIP_1) | instid1(VALU_DEP_2)
	v_and_b32_e32 v94, 7, v92
	v_or_b32_e32 v22, v22, v92
	v_or3_b32 v160, v93, v160, v94
	s_delay_alu instid0(VALU_DEP_2) | instskip(NEXT) | instid1(VALU_DEP_2)
	v_cmp_ne_u32_e32 vcc_lo, 0, v22
	v_cndmask_b32_e32 v22, 0, v160, vcc_lo
.LBB6_982:                              ;   in Loop: Header=BB6_142 Depth=2
	s_or_b32 exec_lo, exec_lo, s26
.LBB6_983:                              ;   in Loop: Header=BB6_142 Depth=2
	s_delay_alu instid0(SALU_CYCLE_1) | instskip(SKIP_3) | instid1(VALU_DEP_1)
	s_or_b32 exec_lo, exec_lo, s25
	v_or_b32_e32 v91, v91, v148
	s_mov_b32 s11, 0
	s_mov_b32 s26, exec_lo
                                        ; implicit-def: $sgpr25
	v_and_b32_e32 v160, 0xff, v91
	s_delay_alu instid0(VALU_DEP_1)
	v_cmpx_lt_i16_e64 0x7f, v160
	s_xor_b32 s26, exec_lo, s26
	s_cbranch_execnz .LBB6_2229
; %bb.984:                              ;   in Loop: Header=BB6_142 Depth=2
	s_or_saveexec_b32 s26, s26
	v_mov_b32_e32 v148, s25
	s_xor_b32 exec_lo, exec_lo, s26
	s_cbranch_execnz .LBB6_2232
.LBB6_985:                              ;   in Loop: Header=BB6_142 Depth=2
	s_or_b32 exec_lo, exec_lo, s26
	s_and_saveexec_b32 s25, s11
	s_cbranch_execz .LBB6_987
.LBB6_986:                              ;   in Loop: Header=BB6_142 Depth=2
	v_and_b32_e32 v148, 7, v91
	v_bfe_u32 v93, v91, 3, 4
	v_lshlrev_b32_e32 v94, 24, v91
	s_delay_alu instid0(VALU_DEP_3) | instskip(NEXT) | instid1(VALU_DEP_3)
	v_clz_i32_u32_e32 v160, v148
	v_cmp_eq_u32_e32 vcc_lo, 0, v93
	s_delay_alu instid0(VALU_DEP_2) | instskip(NEXT) | instid1(VALU_DEP_1)
	v_min_u32_e32 v160, 32, v160
	v_subrev_nc_u32_e32 v92, 28, v160
	v_sub_nc_u32_e32 v160, 29, v160
	s_delay_alu instid0(VALU_DEP_2) | instskip(NEXT) | instid1(VALU_DEP_2)
	v_lshlrev_b32_e32 v92, v92, v91
	v_cndmask_b32_e32 v160, v93, v160, vcc_lo
	s_delay_alu instid0(VALU_DEP_2) | instskip(NEXT) | instid1(VALU_DEP_2)
	v_and_b32_e32 v92, 7, v92
	v_lshl_add_u32 v160, v160, 23, 0x3b800000
	s_delay_alu instid0(VALU_DEP_2) | instskip(SKIP_1) | instid1(VALU_DEP_2)
	v_cndmask_b32_e32 v148, v148, v92, vcc_lo
	v_and_b32_e32 v92, 0x80000000, v94
	v_lshlrev_b32_e32 v148, 20, v148
	s_delay_alu instid0(VALU_DEP_1)
	v_or3_b32 v148, v92, v160, v148
.LBB6_987:                              ;   in Loop: Header=BB6_142 Depth=2
	s_or_b32 exec_lo, exec_lo, s25
	v_and_b32_e32 v92, 0xff, v23
	s_mov_b32 s11, 0
	s_mov_b32 s26, exec_lo
                                        ; implicit-def: $sgpr25
	s_delay_alu instid0(VALU_DEP_1)
	v_cmpx_lt_i16_e32 0x7f, v92
	s_xor_b32 s26, exec_lo, s26
	s_cbranch_execnz .LBB6_2233
; %bb.988:                              ;   in Loop: Header=BB6_142 Depth=2
	s_or_saveexec_b32 s26, s26
	v_mov_b32_e32 v160, s25
	s_xor_b32 exec_lo, exec_lo, s26
	s_cbranch_execnz .LBB6_2236
.LBB6_989:                              ;   in Loop: Header=BB6_142 Depth=2
	s_or_b32 exec_lo, exec_lo, s26
	s_and_saveexec_b32 s25, s11
	s_cbranch_execz .LBB6_991
.LBB6_990:                              ;   in Loop: Header=BB6_142 Depth=2
	v_and_b32_e32 v160, 7, v23
	v_bfe_u32 v94, v23, 3, 4
	s_delay_alu instid0(VALU_DEP_2) | instskip(NEXT) | instid1(VALU_DEP_2)
	v_clz_i32_u32_e32 v92, v160
	v_cmp_eq_u32_e32 vcc_lo, 0, v94
	s_delay_alu instid0(VALU_DEP_2) | instskip(NEXT) | instid1(VALU_DEP_1)
	v_min_u32_e32 v92, 32, v92
	v_subrev_nc_u32_e32 v93, 28, v92
	v_sub_nc_u32_e32 v92, 29, v92
	s_delay_alu instid0(VALU_DEP_1) | instskip(NEXT) | instid1(VALU_DEP_1)
	v_dual_cndmask_b32 v92, v94, v92 :: v_dual_lshlrev_b32 v93, v93, v23
	v_and_b32_e32 v93, 7, v93
	v_lshlrev_b32_e32 v95, 24, v23
	s_delay_alu instid0(VALU_DEP_3) | instskip(NEXT) | instid1(VALU_DEP_2)
	v_lshl_add_u32 v92, v92, 23, 0x3b800000
	v_dual_cndmask_b32 v160, v160, v93 :: v_dual_and_b32 v93, 0x80000000, v95
	s_delay_alu instid0(VALU_DEP_1) | instskip(NEXT) | instid1(VALU_DEP_1)
	v_lshlrev_b32_e32 v160, 20, v160
	v_or3_b32 v160, v93, v92, v160
.LBB6_991:                              ;   in Loop: Header=BB6_142 Depth=2
	s_or_b32 exec_lo, exec_lo, s25
	s_delay_alu instid0(VALU_DEP_1) | instskip(NEXT) | instid1(VALU_DEP_1)
	v_add_f32_e32 v160, v148, v160
	v_and_b32_e32 v148, 0x7f800000, v160
	s_delay_alu instid0(VALU_DEP_1)
	v_cmp_ne_u32_e32 vcc_lo, 0x7f800000, v148
	v_mov_b32_e32 v148, 0x80
	s_and_saveexec_b32 s25, vcc_lo
	s_cbranch_execz .LBB6_999
; %bb.992:                              ;   in Loop: Header=BB6_142 Depth=2
	v_mov_b32_e32 v148, 0
	s_mov_b32 s26, exec_lo
	v_cmpx_ne_u32_e32 0, v160
	s_cbranch_execz .LBB6_998
; %bb.993:                              ;   in Loop: Header=BB6_142 Depth=2
	v_bfe_u32 v148, v160, 23, 8
	s_delay_alu instid0(VALU_DEP_1) | instskip(SKIP_1) | instid1(VALU_DEP_2)
	v_sub_nc_u32_e32 v93, 0x78, v148
	v_cmp_gt_u32_e32 vcc_lo, 0x79, v148
	v_dual_cndmask_b32 v93, 0, v93 :: v_dual_and_b32 v92, 0x7fffff, v160
	s_delay_alu instid0(VALU_DEP_1) | instskip(SKIP_2) | instid1(VALU_DEP_4)
	v_or_b32_e32 v94, 0x800000, v92
	v_cmp_eq_u32_e32 vcc_lo, 0, v148
	v_add_nc_u32_e32 v148, 0xffffff89, v148
	v_cndmask_b32_e64 v93, v93, 0x77, vcc_lo
	s_delay_alu instid0(VALU_DEP_4) | instskip(NEXT) | instid1(VALU_DEP_3)
	v_cndmask_b32_e32 v92, v94, v92, vcc_lo
	v_cndmask_b32_e64 v148, v148, 0xffffff8a, vcc_lo
	s_delay_alu instid0(VALU_DEP_3) | instskip(NEXT) | instid1(VALU_DEP_3)
	v_lshl_add_u32 v94, 0x100000, v93, -1
	v_lshrrev_b32_e32 v95, v93, v92
	v_lshlrev_b32_e64 v105, v93, 0x80000
	s_delay_alu instid0(VALU_DEP_4) | instskip(NEXT) | instid1(VALU_DEP_4)
	v_add_nc_u32_e32 v93, v93, v148
	v_and_b32_e32 v92, v94, v92
	s_delay_alu instid0(VALU_DEP_4) | instskip(NEXT) | instid1(VALU_DEP_2)
	v_bfe_u32 v104, v95, 20, 1
	v_cmp_eq_u32_e64 s11, v92, v105
	s_delay_alu instid0(VALU_DEP_2) | instskip(NEXT) | instid1(VALU_DEP_1)
	v_add_nc_u32_e32 v94, -1, v104
	v_cndmask_b32_e64 v92, 0, v94, s11
	v_lshrrev_b32_e32 v94, 23, v95
	s_mov_b32 s11, exec_lo
	s_delay_alu instid0(VALU_DEP_2) | instskip(NEXT) | instid1(VALU_DEP_2)
	v_add_nc_u32_e32 v92, v92, v95
	v_xor_b32_e32 v94, 1, v94
	s_delay_alu instid0(VALU_DEP_2) | instskip(NEXT) | instid1(VALU_DEP_1)
	v_and_b32_e32 v148, 0xfffff, v92
	v_add_nc_u32_e32 v92, v148, v95
                                        ; implicit-def: $vgpr148
	s_delay_alu instid0(VALU_DEP_3)
	v_cmpx_ne_u32_e64 v93, v94
	s_xor_b32 s11, exec_lo, s11
; %bb.994:                              ;   in Loop: Header=BB6_142 Depth=2
	s_delay_alu instid0(VALU_DEP_2) | instskip(SKIP_2) | instid1(VALU_DEP_2)
	v_cmp_lt_u32_e32 vcc_lo, 0xffffff, v92
	v_sub_nc_u32_e32 v148, v93, v94
	v_cndmask_b32_e64 v93, 0, 1, vcc_lo
	v_add_co_ci_u32_e32 v148, vcc_lo, 0, v148, vcc_lo
	s_delay_alu instid0(VALU_DEP_2)
	v_lshrrev_b32_e32 v92, v93, v92
; %bb.995:                              ;   in Loop: Header=BB6_142 Depth=2
	s_and_not1_saveexec_b32 s11, s11
; %bb.996:                              ;   in Loop: Header=BB6_142 Depth=2
	s_delay_alu instid0(VALU_DEP_1)
	v_bfe_u32 v148, v92, 23, 1
; %bb.997:                              ;   in Loop: Header=BB6_142 Depth=2
	s_or_b32 exec_lo, exec_lo, s11
	v_lshrrev_b32_e32 v92, 20, v92
	s_delay_alu instid0(VALU_DEP_2) | instskip(SKIP_2) | instid1(VALU_DEP_4)
	v_cmp_gt_i32_e32 vcc_lo, 16, v148
	v_lshrrev_b32_e32 v160, 24, v160
	v_min_i32_e32 v93, 15, v148
	v_cndmask_b32_e32 v92, 7, v92, vcc_lo
	s_delay_alu instid0(VALU_DEP_3) | instskip(NEXT) | instid1(VALU_DEP_3)
	v_and_b32_e32 v160, 0x80, v160
	v_lshlrev_b32_e32 v93, 3, v93
	s_delay_alu instid0(VALU_DEP_3) | instskip(SKIP_1) | instid1(VALU_DEP_2)
	v_and_b32_e32 v94, 7, v92
	v_or_b32_e32 v148, v148, v92
	v_or3_b32 v160, v93, v160, v94
	s_delay_alu instid0(VALU_DEP_2) | instskip(NEXT) | instid1(VALU_DEP_2)
	v_cmp_ne_u32_e32 vcc_lo, 0, v148
	v_cndmask_b32_e32 v148, 0, v160, vcc_lo
.LBB6_998:                              ;   in Loop: Header=BB6_142 Depth=2
	s_or_b32 exec_lo, exec_lo, s26
.LBB6_999:                              ;   in Loop: Header=BB6_142 Depth=2
	s_delay_alu instid0(SALU_CYCLE_1) | instskip(SKIP_3) | instid1(VALU_DEP_1)
	s_or_b32 exec_lo, exec_lo, s25
	v_lshrrev_b16 v92, 8, v91
	s_mov_b32 s11, 0
	s_mov_b32 s26, exec_lo
                                        ; implicit-def: $sgpr25
	v_cmpx_lt_i16_e32 0x7f, v92
	s_xor_b32 s26, exec_lo, s26
	s_cbranch_execnz .LBB6_2237
; %bb.1000:                             ;   in Loop: Header=BB6_142 Depth=2
	s_or_saveexec_b32 s26, s26
	v_mov_b32_e32 v160, s25
	s_xor_b32 exec_lo, exec_lo, s26
	s_cbranch_execnz .LBB6_2240
.LBB6_1001:                             ;   in Loop: Header=BB6_142 Depth=2
	s_or_b32 exec_lo, exec_lo, s26
	s_and_saveexec_b32 s25, s11
	s_cbranch_execz .LBB6_1003
.LBB6_1002:                             ;   in Loop: Header=BB6_142 Depth=2
	v_and_b32_e32 v160, 0xffff, v92
	v_lshlrev_b32_e32 v92, 24, v92
	s_delay_alu instid0(VALU_DEP_2) | instskip(NEXT) | instid1(VALU_DEP_2)
	v_and_b32_e32 v93, 7, v160
	v_and_b32_e32 v92, 0x80000000, v92
	s_delay_alu instid0(VALU_DEP_2) | instskip(NEXT) | instid1(VALU_DEP_1)
	v_clz_i32_u32_e32 v94, v93
	v_min_u32_e32 v94, 32, v94
	s_delay_alu instid0(VALU_DEP_1) | instskip(SKIP_1) | instid1(VALU_DEP_2)
	v_subrev_nc_u32_e32 v95, 28, v94
	v_sub_nc_u32_e32 v94, 29, v94
	v_lshlrev_b32_e32 v95, v95, v160
	v_bfe_u32 v160, v160, 3, 4
	s_delay_alu instid0(VALU_DEP_2) | instskip(NEXT) | instid1(VALU_DEP_2)
	v_and_b32_e32 v95, 7, v95
	v_cmp_eq_u32_e32 vcc_lo, 0, v160
	s_delay_alu instid0(VALU_DEP_2) | instskip(NEXT) | instid1(VALU_DEP_1)
	v_dual_cndmask_b32 v160, v160, v94 :: v_dual_cndmask_b32 v93, v93, v95
	v_lshl_add_u32 v160, v160, 23, 0x3b800000
	s_delay_alu instid0(VALU_DEP_2) | instskip(NEXT) | instid1(VALU_DEP_1)
	v_lshlrev_b32_e32 v93, 20, v93
	v_or3_b32 v160, v92, v160, v93
.LBB6_1003:                             ;   in Loop: Header=BB6_142 Depth=2
	s_or_b32 exec_lo, exec_lo, s25
	v_lshrrev_b16 v92, 8, v23
	s_mov_b32 s11, 0
	s_mov_b32 s26, exec_lo
                                        ; implicit-def: $sgpr25
	s_delay_alu instid0(VALU_DEP_1)
	v_cmpx_lt_i16_e32 0x7f, v92
	s_xor_b32 s26, exec_lo, s26
	s_cbranch_execnz .LBB6_2241
; %bb.1004:                             ;   in Loop: Header=BB6_142 Depth=2
	s_or_saveexec_b32 s26, s26
	v_mov_b32_e32 v93, s25
	s_xor_b32 exec_lo, exec_lo, s26
	s_cbranch_execnz .LBB6_2244
.LBB6_1005:                             ;   in Loop: Header=BB6_142 Depth=2
	s_or_b32 exec_lo, exec_lo, s26
	s_and_saveexec_b32 s25, s11
	s_cbranch_execz .LBB6_1007
.LBB6_1006:                             ;   in Loop: Header=BB6_142 Depth=2
	v_and_b32_e32 v93, 0xffff, v92
	v_lshlrev_b32_e32 v92, 24, v92
	s_delay_alu instid0(VALU_DEP_2) | instskip(NEXT) | instid1(VALU_DEP_2)
	v_and_b32_e32 v94, 7, v93
	v_and_b32_e32 v92, 0x80000000, v92
	s_delay_alu instid0(VALU_DEP_2) | instskip(NEXT) | instid1(VALU_DEP_1)
	v_clz_i32_u32_e32 v95, v94
	v_min_u32_e32 v95, 32, v95
	s_delay_alu instid0(VALU_DEP_1) | instskip(SKIP_1) | instid1(VALU_DEP_2)
	v_subrev_nc_u32_e32 v104, 28, v95
	v_sub_nc_u32_e32 v95, 29, v95
	v_lshlrev_b32_e32 v104, v104, v93
	v_bfe_u32 v93, v93, 3, 4
	s_delay_alu instid0(VALU_DEP_2) | instskip(NEXT) | instid1(VALU_DEP_2)
	v_and_b32_e32 v104, 7, v104
	v_cmp_eq_u32_e32 vcc_lo, 0, v93
	s_delay_alu instid0(VALU_DEP_2) | instskip(NEXT) | instid1(VALU_DEP_1)
	v_dual_cndmask_b32 v93, v93, v95 :: v_dual_cndmask_b32 v94, v94, v104
	v_lshl_add_u32 v93, v93, 23, 0x3b800000
	s_delay_alu instid0(VALU_DEP_2) | instskip(NEXT) | instid1(VALU_DEP_1)
	v_lshlrev_b32_e32 v94, 20, v94
	v_or3_b32 v93, v92, v93, v94
.LBB6_1007:                             ;   in Loop: Header=BB6_142 Depth=2
	s_or_b32 exec_lo, exec_lo, s25
	s_delay_alu instid0(VALU_DEP_1) | instskip(NEXT) | instid1(VALU_DEP_1)
	v_add_f32_e32 v92, v160, v93
	v_and_b32_e32 v160, 0x7f800000, v92
	s_delay_alu instid0(VALU_DEP_1)
	v_cmp_ne_u32_e32 vcc_lo, 0x7f800000, v160
	v_mov_b32_e32 v160, 0x8000
	s_and_saveexec_b32 s25, vcc_lo
	s_cbranch_execz .LBB6_1015
; %bb.1008:                             ;   in Loop: Header=BB6_142 Depth=2
	v_mov_b32_e32 v160, 0
	s_mov_b32 s26, exec_lo
	v_cmpx_ne_u32_e32 0, v92
	s_cbranch_execz .LBB6_1014
; %bb.1009:                             ;   in Loop: Header=BB6_142 Depth=2
	v_bfe_u32 v160, v92, 23, 8
	s_delay_alu instid0(VALU_DEP_1) | instskip(SKIP_1) | instid1(VALU_DEP_2)
	v_sub_nc_u32_e32 v94, 0x78, v160
	v_cmp_gt_u32_e32 vcc_lo, 0x79, v160
	v_dual_cndmask_b32 v94, 0, v94 :: v_dual_and_b32 v93, 0x7fffff, v92
	s_delay_alu instid0(VALU_DEP_1) | instskip(SKIP_2) | instid1(VALU_DEP_4)
	v_or_b32_e32 v95, 0x800000, v93
	v_cmp_eq_u32_e32 vcc_lo, 0, v160
	v_add_nc_u32_e32 v160, 0xffffff89, v160
	v_cndmask_b32_e64 v94, v94, 0x77, vcc_lo
	s_delay_alu instid0(VALU_DEP_4) | instskip(NEXT) | instid1(VALU_DEP_3)
	v_cndmask_b32_e32 v93, v95, v93, vcc_lo
	v_cndmask_b32_e64 v160, v160, 0xffffff8a, vcc_lo
	s_delay_alu instid0(VALU_DEP_3) | instskip(NEXT) | instid1(VALU_DEP_3)
	v_lshl_add_u32 v95, 0x100000, v94, -1
	v_lshrrev_b32_e32 v104, v94, v93
	v_lshlrev_b32_e64 v106, v94, 0x80000
	s_delay_alu instid0(VALU_DEP_4) | instskip(NEXT) | instid1(VALU_DEP_4)
	v_add_nc_u32_e32 v94, v94, v160
	v_and_b32_e32 v93, v95, v93
	s_delay_alu instid0(VALU_DEP_4) | instskip(NEXT) | instid1(VALU_DEP_2)
	v_bfe_u32 v105, v104, 20, 1
	v_cmp_eq_u32_e64 s11, v93, v106
	s_delay_alu instid0(VALU_DEP_2) | instskip(NEXT) | instid1(VALU_DEP_1)
	v_add_nc_u32_e32 v95, -1, v105
	v_cndmask_b32_e64 v93, 0, v95, s11
	v_lshrrev_b32_e32 v95, 23, v104
	s_mov_b32 s11, exec_lo
	s_delay_alu instid0(VALU_DEP_2) | instskip(NEXT) | instid1(VALU_DEP_2)
	v_add_nc_u32_e32 v93, v93, v104
	v_xor_b32_e32 v95, 1, v95
	s_delay_alu instid0(VALU_DEP_2) | instskip(NEXT) | instid1(VALU_DEP_1)
	v_and_b32_e32 v160, 0xfffff, v93
	v_add_nc_u32_e32 v93, v160, v104
                                        ; implicit-def: $vgpr160
	s_delay_alu instid0(VALU_DEP_3)
	v_cmpx_ne_u32_e64 v94, v95
	s_xor_b32 s11, exec_lo, s11
; %bb.1010:                             ;   in Loop: Header=BB6_142 Depth=2
	s_delay_alu instid0(VALU_DEP_2) | instskip(SKIP_2) | instid1(VALU_DEP_2)
	v_cmp_lt_u32_e32 vcc_lo, 0xffffff, v93
	v_sub_nc_u32_e32 v160, v94, v95
	v_cndmask_b32_e64 v94, 0, 1, vcc_lo
	v_add_co_ci_u32_e32 v160, vcc_lo, 0, v160, vcc_lo
	s_delay_alu instid0(VALU_DEP_2)
	v_lshrrev_b32_e32 v93, v94, v93
; %bb.1011:                             ;   in Loop: Header=BB6_142 Depth=2
	s_and_not1_saveexec_b32 s11, s11
; %bb.1012:                             ;   in Loop: Header=BB6_142 Depth=2
	s_delay_alu instid0(VALU_DEP_1)
	v_bfe_u32 v160, v93, 23, 1
; %bb.1013:                             ;   in Loop: Header=BB6_142 Depth=2
	s_or_b32 exec_lo, exec_lo, s11
	v_lshrrev_b32_e32 v93, 20, v93
	s_delay_alu instid0(VALU_DEP_2) | instskip(SKIP_2) | instid1(VALU_DEP_2)
	v_cmp_gt_i32_e32 vcc_lo, 16, v160
	v_min_i32_e32 v94, 15, v160
	v_lshrrev_b32_e32 v92, 24, v92
	v_dual_cndmask_b32 v93, 7, v93 :: v_dual_lshlrev_b32 v94, 3, v94
	s_delay_alu instid0(VALU_DEP_2) | instskip(NEXT) | instid1(VALU_DEP_2)
	v_and_b32_e32 v92, 0x80, v92
	v_or_b32_e32 v160, v160, v93
	s_delay_alu instid0(VALU_DEP_3) | instskip(NEXT) | instid1(VALU_DEP_2)
	v_and_b32_e32 v94, 0xf8, v94
	v_cmp_ne_u32_e32 vcc_lo, 0, v160
	v_and_b32_e32 v95, 7, v93
	s_delay_alu instid0(VALU_DEP_1) | instskip(NEXT) | instid1(VALU_DEP_1)
	v_or3_b32 v92, v92, v94, v95
	v_lshlrev_b32_e32 v92, 8, v92
	s_delay_alu instid0(VALU_DEP_1)
	v_cndmask_b32_e32 v160, 0, v92, vcc_lo
.LBB6_1014:                             ;   in Loop: Header=BB6_142 Depth=2
	s_or_b32 exec_lo, exec_lo, s26
.LBB6_1015:                             ;   in Loop: Header=BB6_142 Depth=2
	s_delay_alu instid0(SALU_CYCLE_1) | instskip(SKIP_3) | instid1(VALU_DEP_1)
	s_or_b32 exec_lo, exec_lo, s25
	v_or_b32_e32 v90, v90, v165
	s_mov_b32 s11, 0
	s_mov_b32 s26, exec_lo
                                        ; implicit-def: $sgpr25
	v_and_b32_e32 v92, 0xff, v90
	s_delay_alu instid0(VALU_DEP_1)
	v_cmpx_lt_i16_e32 0x7f, v92
	s_xor_b32 s26, exec_lo, s26
	s_cbranch_execnz .LBB6_2245
; %bb.1016:                             ;   in Loop: Header=BB6_142 Depth=2
	s_or_saveexec_b32 s26, s26
	v_mov_b32_e32 v165, s25
	s_xor_b32 exec_lo, exec_lo, s26
	s_cbranch_execnz .LBB6_2248
.LBB6_1017:                             ;   in Loop: Header=BB6_142 Depth=2
	s_or_b32 exec_lo, exec_lo, s26
	v_lshl_or_b32 v90, v90, 16, v91
	s_and_saveexec_b32 s25, s11
	s_cbranch_execz .LBB6_1019
.LBB6_1018:                             ;   in Loop: Header=BB6_142 Depth=2
	s_delay_alu instid0(VALU_DEP_1) | instskip(SKIP_1) | instid1(VALU_DEP_2)
	v_bfe_u32 v165, v90, 16, 3
	v_lshrrev_b32_e32 v92, 16, v90
	v_clz_i32_u32_e32 v91, v165
	s_delay_alu instid0(VALU_DEP_1) | instskip(NEXT) | instid1(VALU_DEP_1)
	v_min_u32_e32 v91, 32, v91
	v_subrev_nc_u32_e32 v93, 28, v91
	v_sub_nc_u32_e32 v91, 29, v91
	s_delay_alu instid0(VALU_DEP_2) | instskip(SKIP_1) | instid1(VALU_DEP_1)
	v_lshlrev_b32_e32 v92, v93, v92
	v_bfe_u32 v93, v90, 19, 4
	v_cmp_eq_u32_e32 vcc_lo, 0, v93
	s_delay_alu instid0(VALU_DEP_3) | instskip(NEXT) | instid1(VALU_DEP_1)
	v_dual_cndmask_b32 v91, v93, v91 :: v_dual_and_b32 v92, 7, v92
	v_dual_cndmask_b32 v165, v165, v92 :: v_dual_lshlrev_b32 v94, 8, v90
	s_delay_alu instid0(VALU_DEP_2) | instskip(NEXT) | instid1(VALU_DEP_2)
	v_lshl_add_u32 v91, v91, 23, 0x3b800000
	v_and_b32_e32 v92, 0x80000000, v94
	s_delay_alu instid0(VALU_DEP_3) | instskip(NEXT) | instid1(VALU_DEP_1)
	v_lshlrev_b32_e32 v165, 20, v165
	v_or3_b32 v165, v92, v91, v165
.LBB6_1019:                             ;   in Loop: Header=BB6_142 Depth=2
	s_or_b32 exec_lo, exec_lo, s25
	v_lshrrev_b32_e32 v91, 16, v23
	s_mov_b32 s11, 0
	s_mov_b32 s26, exec_lo
                                        ; implicit-def: $sgpr25
	s_delay_alu instid0(VALU_DEP_1) | instskip(NEXT) | instid1(VALU_DEP_1)
	v_and_b32_e32 v93, 0xff, v91
	v_cmpx_lt_i16_e32 0x7f, v93
	s_xor_b32 s26, exec_lo, s26
	s_cbranch_execnz .LBB6_2249
; %bb.1020:                             ;   in Loop: Header=BB6_142 Depth=2
	s_or_saveexec_b32 s26, s26
	v_mov_b32_e32 v92, s25
	s_xor_b32 exec_lo, exec_lo, s26
	s_cbranch_execnz .LBB6_2252
.LBB6_1021:                             ;   in Loop: Header=BB6_142 Depth=2
	s_or_b32 exec_lo, exec_lo, s26
	s_and_saveexec_b32 s25, s11
	s_cbranch_execz .LBB6_1023
.LBB6_1022:                             ;   in Loop: Header=BB6_142 Depth=2
	v_bfe_u32 v92, v23, 16, 3
	v_lshlrev_b32_e32 v95, 8, v23
	s_delay_alu instid0(VALU_DEP_2) | instskip(NEXT) | instid1(VALU_DEP_1)
	v_clz_i32_u32_e32 v93, v92
	v_min_u32_e32 v93, 32, v93
	s_delay_alu instid0(VALU_DEP_1) | instskip(SKIP_1) | instid1(VALU_DEP_2)
	v_subrev_nc_u32_e32 v94, 28, v93
	v_sub_nc_u32_e32 v93, 29, v93
	v_lshlrev_b32_e32 v91, v94, v91
	v_bfe_u32 v94, v23, 19, 4
	s_delay_alu instid0(VALU_DEP_2) | instskip(NEXT) | instid1(VALU_DEP_2)
	v_and_b32_e32 v91, 7, v91
	v_cmp_eq_u32_e32 vcc_lo, 0, v94
	v_cndmask_b32_e32 v93, v94, v93, vcc_lo
	s_delay_alu instid0(VALU_DEP_3) | instskip(SKIP_1) | instid1(VALU_DEP_3)
	v_cndmask_b32_e32 v91, v92, v91, vcc_lo
	v_and_b32_e32 v92, 0x80000000, v95
	v_lshl_add_u32 v93, v93, 23, 0x3b800000
	s_delay_alu instid0(VALU_DEP_3) | instskip(NEXT) | instid1(VALU_DEP_1)
	v_lshlrev_b32_e32 v91, 20, v91
	v_or3_b32 v92, v92, v93, v91
.LBB6_1023:                             ;   in Loop: Header=BB6_142 Depth=2
	s_or_b32 exec_lo, exec_lo, s25
	s_delay_alu instid0(VALU_DEP_1) | instskip(NEXT) | instid1(VALU_DEP_1)
	v_add_f32_e32 v91, v165, v92
	v_and_b32_e32 v165, 0x7f800000, v91
	s_delay_alu instid0(VALU_DEP_1)
	v_cmp_ne_u32_e32 vcc_lo, 0x7f800000, v165
	v_mov_b32_e32 v165, 0x80
	s_and_saveexec_b32 s25, vcc_lo
	s_cbranch_execz .LBB6_1031
; %bb.1024:                             ;   in Loop: Header=BB6_142 Depth=2
	v_mov_b32_e32 v165, 0
	s_mov_b32 s26, exec_lo
	v_cmpx_ne_u32_e32 0, v91
	s_cbranch_execz .LBB6_1030
; %bb.1025:                             ;   in Loop: Header=BB6_142 Depth=2
	v_bfe_u32 v165, v91, 23, 8
	s_delay_alu instid0(VALU_DEP_1) | instskip(SKIP_1) | instid1(VALU_DEP_2)
	v_sub_nc_u32_e32 v93, 0x78, v165
	v_cmp_gt_u32_e32 vcc_lo, 0x79, v165
	v_dual_cndmask_b32 v93, 0, v93 :: v_dual_and_b32 v92, 0x7fffff, v91
	s_delay_alu instid0(VALU_DEP_1) | instskip(SKIP_2) | instid1(VALU_DEP_4)
	v_or_b32_e32 v94, 0x800000, v92
	v_cmp_eq_u32_e32 vcc_lo, 0, v165
	v_add_nc_u32_e32 v165, 0xffffff89, v165
	v_cndmask_b32_e64 v93, v93, 0x77, vcc_lo
	s_delay_alu instid0(VALU_DEP_4) | instskip(NEXT) | instid1(VALU_DEP_3)
	v_cndmask_b32_e32 v92, v94, v92, vcc_lo
	v_cndmask_b32_e64 v165, v165, 0xffffff8a, vcc_lo
	s_delay_alu instid0(VALU_DEP_3) | instskip(NEXT) | instid1(VALU_DEP_3)
	v_lshl_add_u32 v94, 0x100000, v93, -1
	v_lshrrev_b32_e32 v95, v93, v92
	v_lshlrev_b32_e64 v105, v93, 0x80000
	s_delay_alu instid0(VALU_DEP_4) | instskip(NEXT) | instid1(VALU_DEP_4)
	v_add_nc_u32_e32 v93, v93, v165
	v_and_b32_e32 v92, v94, v92
	s_delay_alu instid0(VALU_DEP_4) | instskip(NEXT) | instid1(VALU_DEP_2)
	v_bfe_u32 v104, v95, 20, 1
	v_cmp_eq_u32_e64 s11, v92, v105
	s_delay_alu instid0(VALU_DEP_2) | instskip(NEXT) | instid1(VALU_DEP_1)
	v_add_nc_u32_e32 v94, -1, v104
	v_cndmask_b32_e64 v92, 0, v94, s11
	v_lshrrev_b32_e32 v94, 23, v95
	s_mov_b32 s11, exec_lo
	s_delay_alu instid0(VALU_DEP_2) | instskip(NEXT) | instid1(VALU_DEP_2)
	v_add_nc_u32_e32 v92, v92, v95
	v_xor_b32_e32 v94, 1, v94
	s_delay_alu instid0(VALU_DEP_2) | instskip(NEXT) | instid1(VALU_DEP_1)
	v_and_b32_e32 v165, 0xfffff, v92
	v_add_nc_u32_e32 v92, v165, v95
                                        ; implicit-def: $vgpr165
	s_delay_alu instid0(VALU_DEP_3)
	v_cmpx_ne_u32_e64 v93, v94
	s_xor_b32 s11, exec_lo, s11
; %bb.1026:                             ;   in Loop: Header=BB6_142 Depth=2
	s_delay_alu instid0(VALU_DEP_2) | instskip(SKIP_2) | instid1(VALU_DEP_2)
	v_cmp_lt_u32_e32 vcc_lo, 0xffffff, v92
	v_sub_nc_u32_e32 v165, v93, v94
	v_cndmask_b32_e64 v93, 0, 1, vcc_lo
	v_add_co_ci_u32_e32 v165, vcc_lo, 0, v165, vcc_lo
	s_delay_alu instid0(VALU_DEP_2)
	v_lshrrev_b32_e32 v92, v93, v92
; %bb.1027:                             ;   in Loop: Header=BB6_142 Depth=2
	s_and_not1_saveexec_b32 s11, s11
; %bb.1028:                             ;   in Loop: Header=BB6_142 Depth=2
	s_delay_alu instid0(VALU_DEP_1)
	v_bfe_u32 v165, v92, 23, 1
; %bb.1029:                             ;   in Loop: Header=BB6_142 Depth=2
	s_or_b32 exec_lo, exec_lo, s11
	v_lshrrev_b32_e32 v92, 20, v92
	s_delay_alu instid0(VALU_DEP_2) | instskip(SKIP_2) | instid1(VALU_DEP_2)
	v_cmp_gt_i32_e32 vcc_lo, 16, v165
	v_min_i32_e32 v93, 15, v165
	v_lshrrev_b32_e32 v91, 24, v91
	v_dual_cndmask_b32 v92, 7, v92 :: v_dual_lshlrev_b32 v93, 3, v93
	s_delay_alu instid0(VALU_DEP_2) | instskip(NEXT) | instid1(VALU_DEP_2)
	v_and_b32_e32 v91, 0x80, v91
	v_or_b32_e32 v165, v165, v92
	s_delay_alu instid0(VALU_DEP_3) | instskip(NEXT) | instid1(VALU_DEP_2)
	v_and_b32_e32 v93, 0xf8, v93
	v_cmp_ne_u32_e32 vcc_lo, 0, v165
	v_and_b32_e32 v94, 7, v92
	s_delay_alu instid0(VALU_DEP_1) | instskip(NEXT) | instid1(VALU_DEP_1)
	v_or3_b32 v91, v93, v91, v94
	v_cndmask_b32_e32 v165, 0, v91, vcc_lo
.LBB6_1030:                             ;   in Loop: Header=BB6_142 Depth=2
	s_or_b32 exec_lo, exec_lo, s26
.LBB6_1031:                             ;   in Loop: Header=BB6_142 Depth=2
	s_delay_alu instid0(SALU_CYCLE_1) | instskip(SKIP_3) | instid1(VALU_DEP_1)
	s_or_b32 exec_lo, exec_lo, s25
	v_lshrrev_b32_e32 v92, 24, v90
	s_mov_b32 s11, 0
	s_mov_b32 s26, exec_lo
                                        ; implicit-def: $sgpr25
	v_cmpx_lt_i16_e32 0x7f, v92
	s_xor_b32 s26, exec_lo, s26
	s_cbranch_execnz .LBB6_2253
; %bb.1032:                             ;   in Loop: Header=BB6_142 Depth=2
	s_or_saveexec_b32 s26, s26
	v_mov_b32_e32 v91, s25
	s_xor_b32 exec_lo, exec_lo, s26
	s_cbranch_execnz .LBB6_2256
.LBB6_1033:                             ;   in Loop: Header=BB6_142 Depth=2
	s_or_b32 exec_lo, exec_lo, s26
	s_and_saveexec_b32 s25, s11
	s_cbranch_execz .LBB6_1035
.LBB6_1034:                             ;   in Loop: Header=BB6_142 Depth=2
	v_bfe_u32 v91, v90, 24, 3
	s_delay_alu instid0(VALU_DEP_1) | instskip(NEXT) | instid1(VALU_DEP_1)
	v_clz_i32_u32_e32 v93, v91
	v_min_u32_e32 v93, 32, v93
	s_delay_alu instid0(VALU_DEP_1) | instskip(SKIP_1) | instid1(VALU_DEP_2)
	v_subrev_nc_u32_e32 v94, 28, v93
	v_sub_nc_u32_e32 v93, 29, v93
	v_lshlrev_b32_e32 v92, v94, v92
	v_bfe_u32 v94, v90, 27, 4
	v_and_b32_e32 v90, 0x80000000, v90
	s_delay_alu instid0(VALU_DEP_2) | instskip(NEXT) | instid1(VALU_DEP_4)
	v_cmp_eq_u32_e32 vcc_lo, 0, v94
	v_dual_cndmask_b32 v93, v94, v93 :: v_dual_and_b32 v92, 7, v92
	s_delay_alu instid0(VALU_DEP_1) | instskip(NEXT) | instid1(VALU_DEP_2)
	v_cndmask_b32_e32 v91, v91, v92, vcc_lo
	v_lshl_add_u32 v92, v93, 23, 0x3b800000
	s_delay_alu instid0(VALU_DEP_2) | instskip(NEXT) | instid1(VALU_DEP_1)
	v_lshlrev_b32_e32 v91, 20, v91
	v_or3_b32 v91, v90, v92, v91
.LBB6_1035:                             ;   in Loop: Header=BB6_142 Depth=2
	s_or_b32 exec_lo, exec_lo, s25
	v_lshrrev_b32_e32 v90, 24, v23
	s_mov_b32 s11, 0
	s_mov_b32 s26, exec_lo
                                        ; implicit-def: $sgpr25
	s_delay_alu instid0(VALU_DEP_1)
	v_cmpx_lt_i16_e32 0x7f, v90
	s_xor_b32 s26, exec_lo, s26
	s_cbranch_execnz .LBB6_2257
; %bb.1036:                             ;   in Loop: Header=BB6_142 Depth=2
	s_or_saveexec_b32 s26, s26
	v_mov_b32_e32 v92, s25
	s_xor_b32 exec_lo, exec_lo, s26
	s_cbranch_execnz .LBB6_2260
.LBB6_1037:                             ;   in Loop: Header=BB6_142 Depth=2
	s_or_b32 exec_lo, exec_lo, s26
	s_and_saveexec_b32 s25, s11
	s_cbranch_execz .LBB6_1039
.LBB6_1038:                             ;   in Loop: Header=BB6_142 Depth=2
	v_bfe_u32 v92, v23, 24, 3
	s_delay_alu instid0(VALU_DEP_1) | instskip(NEXT) | instid1(VALU_DEP_1)
	v_clz_i32_u32_e32 v93, v92
	v_min_u32_e32 v93, 32, v93
	s_delay_alu instid0(VALU_DEP_1) | instskip(SKIP_1) | instid1(VALU_DEP_2)
	v_subrev_nc_u32_e32 v94, 28, v93
	v_sub_nc_u32_e32 v93, 29, v93
	v_lshlrev_b32_e32 v90, v94, v90
	v_bfe_u32 v94, v23, 27, 4
	v_and_b32_e32 v23, 0x80000000, v23
	s_delay_alu instid0(VALU_DEP_2) | instskip(NEXT) | instid1(VALU_DEP_4)
	v_cmp_eq_u32_e32 vcc_lo, 0, v94
	v_dual_cndmask_b32 v93, v94, v93 :: v_dual_and_b32 v90, 7, v90
	s_delay_alu instid0(VALU_DEP_1) | instskip(NEXT) | instid1(VALU_DEP_2)
	v_cndmask_b32_e32 v90, v92, v90, vcc_lo
	v_lshl_add_u32 v92, v93, 23, 0x3b800000
	s_delay_alu instid0(VALU_DEP_2) | instskip(NEXT) | instid1(VALU_DEP_1)
	v_lshlrev_b32_e32 v90, 20, v90
	v_or3_b32 v92, v23, v92, v90
.LBB6_1039:                             ;   in Loop: Header=BB6_142 Depth=2
	s_or_b32 exec_lo, exec_lo, s25
	s_delay_alu instid0(VALU_DEP_1) | instskip(NEXT) | instid1(VALU_DEP_1)
	v_add_f32_e32 v90, v91, v92
	v_and_b32_e32 v23, 0x7f800000, v90
	s_delay_alu instid0(VALU_DEP_1)
	v_cmp_ne_u32_e32 vcc_lo, 0x7f800000, v23
	v_mov_b32_e32 v23, 0x8000
	s_and_saveexec_b32 s25, vcc_lo
	s_cbranch_execz .LBB6_1047
; %bb.1040:                             ;   in Loop: Header=BB6_142 Depth=2
	v_mov_b32_e32 v23, 0
	s_mov_b32 s26, exec_lo
	v_cmpx_ne_u32_e32 0, v90
	s_cbranch_execz .LBB6_1046
; %bb.1041:                             ;   in Loop: Header=BB6_142 Depth=2
	v_bfe_u32 v23, v90, 23, 8
	s_delay_alu instid0(VALU_DEP_1) | instskip(SKIP_1) | instid1(VALU_DEP_2)
	v_sub_nc_u32_e32 v92, 0x78, v23
	v_cmp_gt_u32_e32 vcc_lo, 0x79, v23
	v_dual_cndmask_b32 v92, 0, v92 :: v_dual_and_b32 v91, 0x7fffff, v90
	s_delay_alu instid0(VALU_DEP_1) | instskip(SKIP_2) | instid1(VALU_DEP_4)
	v_or_b32_e32 v93, 0x800000, v91
	v_cmp_eq_u32_e32 vcc_lo, 0, v23
	v_add_nc_u32_e32 v23, 0xffffff89, v23
	v_cndmask_b32_e64 v92, v92, 0x77, vcc_lo
	s_delay_alu instid0(VALU_DEP_4) | instskip(NEXT) | instid1(VALU_DEP_3)
	v_cndmask_b32_e32 v91, v93, v91, vcc_lo
	v_cndmask_b32_e64 v23, v23, 0xffffff8a, vcc_lo
	s_delay_alu instid0(VALU_DEP_3) | instskip(NEXT) | instid1(VALU_DEP_3)
	v_lshl_add_u32 v93, 0x100000, v92, -1
	v_lshrrev_b32_e32 v94, v92, v91
	v_lshlrev_b32_e64 v104, v92, 0x80000
	s_delay_alu instid0(VALU_DEP_4) | instskip(NEXT) | instid1(VALU_DEP_4)
	v_add_nc_u32_e32 v92, v92, v23
	v_and_b32_e32 v91, v93, v91
	s_delay_alu instid0(VALU_DEP_4) | instskip(NEXT) | instid1(VALU_DEP_2)
	v_bfe_u32 v95, v94, 20, 1
	v_cmp_eq_u32_e64 s11, v91, v104
	s_delay_alu instid0(VALU_DEP_2) | instskip(NEXT) | instid1(VALU_DEP_1)
	v_add_nc_u32_e32 v93, -1, v95
	v_cndmask_b32_e64 v91, 0, v93, s11
	v_lshrrev_b32_e32 v93, 23, v94
	s_mov_b32 s11, exec_lo
	s_delay_alu instid0(VALU_DEP_2) | instskip(NEXT) | instid1(VALU_DEP_2)
	v_add_nc_u32_e32 v91, v91, v94
	v_xor_b32_e32 v93, 1, v93
	s_delay_alu instid0(VALU_DEP_2) | instskip(NEXT) | instid1(VALU_DEP_1)
	v_and_b32_e32 v23, 0xfffff, v91
	v_add_nc_u32_e32 v91, v23, v94
                                        ; implicit-def: $vgpr23
	s_delay_alu instid0(VALU_DEP_3)
	v_cmpx_ne_u32_e64 v92, v93
	s_xor_b32 s11, exec_lo, s11
; %bb.1042:                             ;   in Loop: Header=BB6_142 Depth=2
	s_delay_alu instid0(VALU_DEP_2) | instskip(SKIP_2) | instid1(VALU_DEP_2)
	v_cmp_lt_u32_e32 vcc_lo, 0xffffff, v91
	v_sub_nc_u32_e32 v23, v92, v93
	v_cndmask_b32_e64 v92, 0, 1, vcc_lo
	v_add_co_ci_u32_e32 v23, vcc_lo, 0, v23, vcc_lo
	s_delay_alu instid0(VALU_DEP_2)
	v_lshrrev_b32_e32 v91, v92, v91
; %bb.1043:                             ;   in Loop: Header=BB6_142 Depth=2
	s_and_not1_saveexec_b32 s11, s11
; %bb.1044:                             ;   in Loop: Header=BB6_142 Depth=2
	s_delay_alu instid0(VALU_DEP_1)
	v_bfe_u32 v23, v91, 23, 1
; %bb.1045:                             ;   in Loop: Header=BB6_142 Depth=2
	s_or_b32 exec_lo, exec_lo, s11
	v_lshrrev_b32_e32 v91, 20, v91
	s_delay_alu instid0(VALU_DEP_2) | instskip(SKIP_2) | instid1(VALU_DEP_2)
	v_cmp_gt_i32_e32 vcc_lo, 16, v23
	v_min_i32_e32 v92, 15, v23
	v_lshrrev_b32_e32 v90, 24, v90
	v_dual_cndmask_b32 v91, 7, v91 :: v_dual_lshlrev_b32 v92, 3, v92
	s_delay_alu instid0(VALU_DEP_2) | instskip(NEXT) | instid1(VALU_DEP_2)
	v_and_b32_e32 v90, 0x80, v90
	v_or_b32_e32 v23, v23, v91
	v_and_b32_e32 v93, 7, v91
	s_delay_alu instid0(VALU_DEP_2) | instskip(SKIP_1) | instid1(VALU_DEP_1)
	v_cmp_ne_u32_e32 vcc_lo, 0, v23
	v_and_b32_e32 v92, 0xf8, v92
	v_or3_b32 v90, v90, v92, v93
	s_delay_alu instid0(VALU_DEP_1) | instskip(NEXT) | instid1(VALU_DEP_1)
	v_lshlrev_b32_e32 v90, 8, v90
	v_cndmask_b32_e32 v23, 0, v90, vcc_lo
.LBB6_1046:                             ;   in Loop: Header=BB6_142 Depth=2
	s_or_b32 exec_lo, exec_lo, s26
.LBB6_1047:                             ;   in Loop: Header=BB6_142 Depth=2
	s_delay_alu instid0(SALU_CYCLE_1) | instskip(SKIP_3) | instid1(VALU_DEP_1)
	s_or_b32 exec_lo, exec_lo, s25
	v_and_b32_e32 v91, 0xff, v179
	s_mov_b32 s11, 0
	s_mov_b32 s26, exec_lo
                                        ; implicit-def: $sgpr25
	v_cmpx_lt_i16_e32 0x7f, v91
	s_xor_b32 s26, exec_lo, s26
	s_cbranch_execnz .LBB6_2261
; %bb.1048:                             ;   in Loop: Header=BB6_142 Depth=2
	s_or_saveexec_b32 s26, s26
	v_mov_b32_e32 v90, s25
	s_xor_b32 exec_lo, exec_lo, s26
	s_cbranch_execnz .LBB6_2264
.LBB6_1049:                             ;   in Loop: Header=BB6_142 Depth=2
	s_or_b32 exec_lo, exec_lo, s26
	s_and_saveexec_b32 s25, s11
	s_cbranch_execz .LBB6_1051
.LBB6_1050:                             ;   in Loop: Header=BB6_142 Depth=2
	v_and_b32_e32 v90, 7, v179
	v_bfe_u32 v93, v179, 3, 4
	s_delay_alu instid0(VALU_DEP_2) | instskip(NEXT) | instid1(VALU_DEP_2)
	v_clz_i32_u32_e32 v91, v90
	v_cmp_eq_u32_e32 vcc_lo, 0, v93
	s_delay_alu instid0(VALU_DEP_2) | instskip(NEXT) | instid1(VALU_DEP_1)
	v_min_u32_e32 v91, 32, v91
	v_subrev_nc_u32_e32 v92, 28, v91
	v_sub_nc_u32_e32 v91, 29, v91
	s_delay_alu instid0(VALU_DEP_2) | instskip(NEXT) | instid1(VALU_DEP_1)
	v_lshlrev_b32_e32 v92, v92, v179
	v_dual_cndmask_b32 v91, v93, v91 :: v_dual_and_b32 v92, 7, v92
	v_lshlrev_b32_e32 v179, 24, v179
	s_delay_alu instid0(VALU_DEP_2) | instskip(NEXT) | instid1(VALU_DEP_2)
	v_lshl_add_u32 v91, v91, 23, 0x3b800000
	v_dual_cndmask_b32 v90, v90, v92 :: v_dual_and_b32 v179, 0x80000000, v179
	s_delay_alu instid0(VALU_DEP_1) | instskip(NEXT) | instid1(VALU_DEP_1)
	v_lshlrev_b32_e32 v90, 20, v90
	v_or3_b32 v90, v179, v91, v90
.LBB6_1051:                             ;   in Loop: Header=BB6_142 Depth=2
	s_or_b32 exec_lo, exec_lo, s25
	v_and_b32_e32 v91, 0xff, v24
	s_mov_b32 s11, 0
	s_mov_b32 s26, exec_lo
                                        ; implicit-def: $sgpr25
	s_delay_alu instid0(VALU_DEP_1)
	v_cmpx_lt_i16_e32 0x7f, v91
	s_xor_b32 s26, exec_lo, s26
	s_cbranch_execnz .LBB6_2265
; %bb.1052:                             ;   in Loop: Header=BB6_142 Depth=2
	s_or_saveexec_b32 s26, s26
	v_mov_b32_e32 v179, s25
	s_xor_b32 exec_lo, exec_lo, s26
	s_cbranch_execnz .LBB6_2268
.LBB6_1053:                             ;   in Loop: Header=BB6_142 Depth=2
	s_or_b32 exec_lo, exec_lo, s26
	s_and_saveexec_b32 s25, s11
	s_cbranch_execz .LBB6_1055
.LBB6_1054:                             ;   in Loop: Header=BB6_142 Depth=2
	v_and_b32_e32 v179, 7, v24
	v_bfe_u32 v93, v24, 3, 4
	v_lshlrev_b32_e32 v94, 24, v24
	s_delay_alu instid0(VALU_DEP_3) | instskip(NEXT) | instid1(VALU_DEP_3)
	v_clz_i32_u32_e32 v91, v179
	v_cmp_eq_u32_e32 vcc_lo, 0, v93
	s_delay_alu instid0(VALU_DEP_2) | instskip(NEXT) | instid1(VALU_DEP_1)
	v_min_u32_e32 v91, 32, v91
	v_subrev_nc_u32_e32 v92, 28, v91
	v_sub_nc_u32_e32 v91, 29, v91
	s_delay_alu instid0(VALU_DEP_1) | instskip(NEXT) | instid1(VALU_DEP_1)
	v_dual_cndmask_b32 v91, v93, v91 :: v_dual_lshlrev_b32 v92, v92, v24
	v_and_b32_e32 v92, 7, v92
	s_delay_alu instid0(VALU_DEP_2) | instskip(NEXT) | instid1(VALU_DEP_2)
	v_lshl_add_u32 v91, v91, 23, 0x3b800000
	v_dual_cndmask_b32 v179, v179, v92 :: v_dual_and_b32 v92, 0x80000000, v94
	s_delay_alu instid0(VALU_DEP_1) | instskip(NEXT) | instid1(VALU_DEP_1)
	v_lshlrev_b32_e32 v179, 20, v179
	v_or3_b32 v179, v92, v91, v179
.LBB6_1055:                             ;   in Loop: Header=BB6_142 Depth=2
	s_or_b32 exec_lo, exec_lo, s25
	s_delay_alu instid0(VALU_DEP_1) | instskip(NEXT) | instid1(VALU_DEP_1)
	v_add_f32_e32 v90, v90, v179
	v_and_b32_e32 v179, 0x7f800000, v90
	s_delay_alu instid0(VALU_DEP_1)
	v_cmp_ne_u32_e32 vcc_lo, 0x7f800000, v179
	v_mov_b32_e32 v179, 0x80
	s_and_saveexec_b32 s25, vcc_lo
	s_cbranch_execz .LBB6_1063
; %bb.1056:                             ;   in Loop: Header=BB6_142 Depth=2
	v_mov_b32_e32 v179, 0
	s_mov_b32 s26, exec_lo
	v_cmpx_ne_u32_e32 0, v90
	s_cbranch_execz .LBB6_1062
; %bb.1057:                             ;   in Loop: Header=BB6_142 Depth=2
	v_bfe_u32 v179, v90, 23, 8
	s_delay_alu instid0(VALU_DEP_1) | instskip(SKIP_1) | instid1(VALU_DEP_2)
	v_sub_nc_u32_e32 v92, 0x78, v179
	v_cmp_gt_u32_e32 vcc_lo, 0x79, v179
	v_dual_cndmask_b32 v92, 0, v92 :: v_dual_and_b32 v91, 0x7fffff, v90
	s_delay_alu instid0(VALU_DEP_1) | instskip(SKIP_2) | instid1(VALU_DEP_4)
	v_or_b32_e32 v93, 0x800000, v91
	v_cmp_eq_u32_e32 vcc_lo, 0, v179
	v_add_nc_u32_e32 v179, 0xffffff89, v179
	v_cndmask_b32_e64 v92, v92, 0x77, vcc_lo
	s_delay_alu instid0(VALU_DEP_4) | instskip(NEXT) | instid1(VALU_DEP_3)
	v_cndmask_b32_e32 v91, v93, v91, vcc_lo
	v_cndmask_b32_e64 v179, v179, 0xffffff8a, vcc_lo
	s_delay_alu instid0(VALU_DEP_3) | instskip(NEXT) | instid1(VALU_DEP_3)
	v_lshl_add_u32 v93, 0x100000, v92, -1
	v_lshrrev_b32_e32 v94, v92, v91
	v_lshlrev_b32_e64 v104, v92, 0x80000
	s_delay_alu instid0(VALU_DEP_4) | instskip(NEXT) | instid1(VALU_DEP_4)
	v_add_nc_u32_e32 v92, v92, v179
	v_and_b32_e32 v91, v93, v91
	s_delay_alu instid0(VALU_DEP_4) | instskip(NEXT) | instid1(VALU_DEP_2)
	v_bfe_u32 v95, v94, 20, 1
	v_cmp_eq_u32_e64 s11, v91, v104
	s_delay_alu instid0(VALU_DEP_2) | instskip(NEXT) | instid1(VALU_DEP_1)
	v_add_nc_u32_e32 v93, -1, v95
	v_cndmask_b32_e64 v91, 0, v93, s11
	v_lshrrev_b32_e32 v93, 23, v94
	s_mov_b32 s11, exec_lo
	s_delay_alu instid0(VALU_DEP_2) | instskip(NEXT) | instid1(VALU_DEP_2)
	v_add_nc_u32_e32 v91, v91, v94
	v_xor_b32_e32 v93, 1, v93
	s_delay_alu instid0(VALU_DEP_2) | instskip(NEXT) | instid1(VALU_DEP_1)
	v_and_b32_e32 v179, 0xfffff, v91
	v_add_nc_u32_e32 v91, v179, v94
                                        ; implicit-def: $vgpr179
	s_delay_alu instid0(VALU_DEP_3)
	v_cmpx_ne_u32_e64 v92, v93
	s_xor_b32 s11, exec_lo, s11
; %bb.1058:                             ;   in Loop: Header=BB6_142 Depth=2
	s_delay_alu instid0(VALU_DEP_2) | instskip(SKIP_2) | instid1(VALU_DEP_2)
	v_cmp_lt_u32_e32 vcc_lo, 0xffffff, v91
	v_sub_nc_u32_e32 v179, v92, v93
	v_cndmask_b32_e64 v92, 0, 1, vcc_lo
	v_add_co_ci_u32_e32 v179, vcc_lo, 0, v179, vcc_lo
	s_delay_alu instid0(VALU_DEP_2)
	v_lshrrev_b32_e32 v91, v92, v91
; %bb.1059:                             ;   in Loop: Header=BB6_142 Depth=2
	s_and_not1_saveexec_b32 s11, s11
; %bb.1060:                             ;   in Loop: Header=BB6_142 Depth=2
	s_delay_alu instid0(VALU_DEP_1)
	v_bfe_u32 v179, v91, 23, 1
; %bb.1061:                             ;   in Loop: Header=BB6_142 Depth=2
	s_or_b32 exec_lo, exec_lo, s11
	v_lshrrev_b32_e32 v91, 20, v91
	s_delay_alu instid0(VALU_DEP_2) | instskip(SKIP_2) | instid1(VALU_DEP_2)
	v_cmp_gt_i32_e32 vcc_lo, 16, v179
	v_lshrrev_b32_e32 v90, 24, v90
	v_min_i32_e32 v92, 15, v179
	v_dual_cndmask_b32 v91, 7, v91 :: v_dual_and_b32 v90, 0x80, v90
	s_delay_alu instid0(VALU_DEP_1) | instskip(SKIP_1) | instid1(VALU_DEP_2)
	v_or_b32_e32 v179, v179, v91
	v_and_b32_e32 v93, 7, v91
	v_cmp_ne_u32_e32 vcc_lo, 0, v179
	v_lshlrev_b32_e32 v92, 3, v92
	s_delay_alu instid0(VALU_DEP_1) | instskip(NEXT) | instid1(VALU_DEP_1)
	v_or3_b32 v90, v92, v90, v93
	v_cndmask_b32_e32 v179, 0, v90, vcc_lo
.LBB6_1062:                             ;   in Loop: Header=BB6_142 Depth=2
	s_or_b32 exec_lo, exec_lo, s26
.LBB6_1063:                             ;   in Loop: Header=BB6_142 Depth=2
	s_delay_alu instid0(SALU_CYCLE_1) | instskip(SKIP_3) | instid1(VALU_DEP_1)
	s_or_b32 exec_lo, exec_lo, s25
	v_and_b32_e32 v91, 0xff, v40
	s_mov_b32 s11, 0
	s_mov_b32 s26, exec_lo
                                        ; implicit-def: $sgpr25
	v_cmpx_lt_i16_e32 0x7f, v91
	s_xor_b32 s26, exec_lo, s26
	s_cbranch_execnz .LBB6_2269
; %bb.1064:                             ;   in Loop: Header=BB6_142 Depth=2
	s_or_saveexec_b32 s26, s26
	v_mov_b32_e32 v90, s25
	s_xor_b32 exec_lo, exec_lo, s26
	s_cbranch_execnz .LBB6_2272
.LBB6_1065:                             ;   in Loop: Header=BB6_142 Depth=2
	s_or_b32 exec_lo, exec_lo, s26
	s_and_saveexec_b32 s25, s11
	s_cbranch_execz .LBB6_1067
.LBB6_1066:                             ;   in Loop: Header=BB6_142 Depth=2
	v_bfe_u32 v93, v40, 3, 4
	s_delay_alu instid0(VALU_DEP_1) | instskip(SKIP_1) | instid1(VALU_DEP_1)
	v_cmp_eq_u32_e32 vcc_lo, 0, v93
	v_and_b32_e32 v90, 7, v40
	v_clz_i32_u32_e32 v91, v90
	s_delay_alu instid0(VALU_DEP_1) | instskip(NEXT) | instid1(VALU_DEP_1)
	v_min_u32_e32 v91, 32, v91
	v_subrev_nc_u32_e32 v92, 28, v91
	v_sub_nc_u32_e32 v91, 29, v91
	s_delay_alu instid0(VALU_DEP_1) | instskip(SKIP_1) | instid1(VALU_DEP_2)
	v_dual_cndmask_b32 v91, v93, v91 :: v_dual_lshlrev_b32 v92, v92, v40
	v_lshlrev_b32_e32 v40, 24, v40
	v_and_b32_e32 v92, 7, v92
	s_delay_alu instid0(VALU_DEP_3) | instskip(NEXT) | instid1(VALU_DEP_3)
	v_lshl_add_u32 v91, v91, 23, 0x3b800000
	v_and_b32_e32 v40, 0x80000000, v40
	s_delay_alu instid0(VALU_DEP_3) | instskip(NEXT) | instid1(VALU_DEP_1)
	v_cndmask_b32_e32 v90, v90, v92, vcc_lo
	v_lshlrev_b32_e32 v90, 20, v90
	s_delay_alu instid0(VALU_DEP_1)
	v_or3_b32 v90, v40, v91, v90
.LBB6_1067:                             ;   in Loop: Header=BB6_142 Depth=2
	s_or_b32 exec_lo, exec_lo, s25
	v_lshrrev_b16 v40, 8, v24
	s_mov_b32 s11, 0
	s_mov_b32 s26, exec_lo
                                        ; implicit-def: $sgpr25
	s_delay_alu instid0(VALU_DEP_1)
	v_cmpx_lt_i16_e32 0x7f, v40
	s_xor_b32 s26, exec_lo, s26
	s_cbranch_execnz .LBB6_2273
; %bb.1068:                             ;   in Loop: Header=BB6_142 Depth=2
	s_or_saveexec_b32 s26, s26
	v_mov_b32_e32 v91, s25
	s_xor_b32 exec_lo, exec_lo, s26
	s_cbranch_execnz .LBB6_2276
.LBB6_1069:                             ;   in Loop: Header=BB6_142 Depth=2
	s_or_b32 exec_lo, exec_lo, s26
	s_and_saveexec_b32 s25, s11
	s_cbranch_execz .LBB6_1071
.LBB6_1070:                             ;   in Loop: Header=BB6_142 Depth=2
	v_and_b32_e32 v91, 0xffff, v40
	v_lshlrev_b32_e32 v40, 24, v40
	s_delay_alu instid0(VALU_DEP_2) | instskip(NEXT) | instid1(VALU_DEP_2)
	v_and_b32_e32 v92, 7, v91
	v_and_b32_e32 v40, 0x80000000, v40
	s_delay_alu instid0(VALU_DEP_2) | instskip(NEXT) | instid1(VALU_DEP_1)
	v_clz_i32_u32_e32 v93, v92
	v_min_u32_e32 v93, 32, v93
	s_delay_alu instid0(VALU_DEP_1) | instskip(SKIP_1) | instid1(VALU_DEP_2)
	v_subrev_nc_u32_e32 v94, 28, v93
	v_sub_nc_u32_e32 v93, 29, v93
	v_lshlrev_b32_e32 v94, v94, v91
	v_bfe_u32 v91, v91, 3, 4
	s_delay_alu instid0(VALU_DEP_2) | instskip(NEXT) | instid1(VALU_DEP_2)
	v_and_b32_e32 v94, 7, v94
	v_cmp_eq_u32_e32 vcc_lo, 0, v91
	s_delay_alu instid0(VALU_DEP_2) | instskip(NEXT) | instid1(VALU_DEP_1)
	v_dual_cndmask_b32 v91, v91, v93 :: v_dual_cndmask_b32 v92, v92, v94
	v_lshl_add_u32 v91, v91, 23, 0x3b800000
	s_delay_alu instid0(VALU_DEP_2) | instskip(NEXT) | instid1(VALU_DEP_1)
	v_lshlrev_b32_e32 v92, 20, v92
	v_or3_b32 v91, v40, v91, v92
.LBB6_1071:                             ;   in Loop: Header=BB6_142 Depth=2
	s_or_b32 exec_lo, exec_lo, s25
	s_delay_alu instid0(VALU_DEP_1) | instskip(NEXT) | instid1(VALU_DEP_1)
	v_add_f32_e32 v90, v90, v91
	v_and_b32_e32 v40, 0x7f800000, v90
	s_delay_alu instid0(VALU_DEP_1)
	v_cmp_ne_u32_e32 vcc_lo, 0x7f800000, v40
	v_mov_b32_e32 v40, 0x80
	s_and_saveexec_b32 s25, vcc_lo
	s_cbranch_execz .LBB6_1079
; %bb.1072:                             ;   in Loop: Header=BB6_142 Depth=2
	v_mov_b32_e32 v40, 0
	s_mov_b32 s26, exec_lo
	v_cmpx_ne_u32_e32 0, v90
	s_cbranch_execz .LBB6_1078
; %bb.1073:                             ;   in Loop: Header=BB6_142 Depth=2
	v_bfe_u32 v40, v90, 23, 8
	s_delay_alu instid0(VALU_DEP_1) | instskip(SKIP_1) | instid1(VALU_DEP_2)
	v_sub_nc_u32_e32 v92, 0x78, v40
	v_cmp_gt_u32_e32 vcc_lo, 0x79, v40
	v_dual_cndmask_b32 v92, 0, v92 :: v_dual_and_b32 v91, 0x7fffff, v90
	s_delay_alu instid0(VALU_DEP_1) | instskip(SKIP_2) | instid1(VALU_DEP_4)
	v_or_b32_e32 v93, 0x800000, v91
	v_cmp_eq_u32_e32 vcc_lo, 0, v40
	v_add_nc_u32_e32 v40, 0xffffff89, v40
	v_cndmask_b32_e64 v92, v92, 0x77, vcc_lo
	s_delay_alu instid0(VALU_DEP_4) | instskip(NEXT) | instid1(VALU_DEP_3)
	v_cndmask_b32_e32 v91, v93, v91, vcc_lo
	v_cndmask_b32_e64 v40, v40, 0xffffff8a, vcc_lo
	s_delay_alu instid0(VALU_DEP_3) | instskip(NEXT) | instid1(VALU_DEP_3)
	v_lshl_add_u32 v93, 0x100000, v92, -1
	v_lshrrev_b32_e32 v94, v92, v91
	v_lshlrev_b32_e64 v104, v92, 0x80000
	s_delay_alu instid0(VALU_DEP_4) | instskip(NEXT) | instid1(VALU_DEP_4)
	v_add_nc_u32_e32 v92, v92, v40
	v_and_b32_e32 v91, v93, v91
	s_delay_alu instid0(VALU_DEP_4) | instskip(NEXT) | instid1(VALU_DEP_2)
	v_bfe_u32 v95, v94, 20, 1
	v_cmp_eq_u32_e64 s11, v91, v104
	s_delay_alu instid0(VALU_DEP_2) | instskip(NEXT) | instid1(VALU_DEP_1)
	v_add_nc_u32_e32 v93, -1, v95
	v_cndmask_b32_e64 v91, 0, v93, s11
	v_lshrrev_b32_e32 v93, 23, v94
	s_mov_b32 s11, exec_lo
	s_delay_alu instid0(VALU_DEP_2) | instskip(NEXT) | instid1(VALU_DEP_2)
	v_add_nc_u32_e32 v91, v91, v94
	v_xor_b32_e32 v93, 1, v93
	s_delay_alu instid0(VALU_DEP_2) | instskip(NEXT) | instid1(VALU_DEP_1)
	v_and_b32_e32 v40, 0xfffff, v91
	v_add_nc_u32_e32 v91, v40, v94
                                        ; implicit-def: $vgpr40
	s_delay_alu instid0(VALU_DEP_3)
	v_cmpx_ne_u32_e64 v92, v93
	s_xor_b32 s11, exec_lo, s11
; %bb.1074:                             ;   in Loop: Header=BB6_142 Depth=2
	s_delay_alu instid0(VALU_DEP_2) | instskip(SKIP_2) | instid1(VALU_DEP_2)
	v_cmp_lt_u32_e32 vcc_lo, 0xffffff, v91
	v_sub_nc_u32_e32 v40, v92, v93
	v_cndmask_b32_e64 v92, 0, 1, vcc_lo
	v_add_co_ci_u32_e32 v40, vcc_lo, 0, v40, vcc_lo
	s_delay_alu instid0(VALU_DEP_2)
	v_lshrrev_b32_e32 v91, v92, v91
; %bb.1075:                             ;   in Loop: Header=BB6_142 Depth=2
	s_and_not1_saveexec_b32 s11, s11
; %bb.1076:                             ;   in Loop: Header=BB6_142 Depth=2
	s_delay_alu instid0(VALU_DEP_1)
	v_bfe_u32 v40, v91, 23, 1
; %bb.1077:                             ;   in Loop: Header=BB6_142 Depth=2
	s_or_b32 exec_lo, exec_lo, s11
	v_lshrrev_b32_e32 v91, 20, v91
	s_delay_alu instid0(VALU_DEP_2) | instskip(SKIP_2) | instid1(VALU_DEP_2)
	v_cmp_gt_i32_e32 vcc_lo, 16, v40
	v_lshrrev_b32_e32 v90, 24, v90
	v_min_i32_e32 v92, 15, v40
	v_dual_cndmask_b32 v91, 7, v91 :: v_dual_and_b32 v90, 0x80, v90
	s_delay_alu instid0(VALU_DEP_2) | instskip(NEXT) | instid1(VALU_DEP_2)
	v_lshlrev_b32_e32 v92, 3, v92
	v_or_b32_e32 v40, v40, v91
	s_delay_alu instid0(VALU_DEP_1) | instskip(SKIP_1) | instid1(VALU_DEP_1)
	v_cmp_ne_u32_e32 vcc_lo, 0, v40
	v_and_b32_e32 v93, 7, v91
	v_or3_b32 v90, v92, v90, v93
	s_delay_alu instid0(VALU_DEP_1)
	v_cndmask_b32_e32 v40, 0, v90, vcc_lo
.LBB6_1078:                             ;   in Loop: Header=BB6_142 Depth=2
	s_or_b32 exec_lo, exec_lo, s26
.LBB6_1079:                             ;   in Loop: Header=BB6_142 Depth=2
	s_delay_alu instid0(SALU_CYCLE_1) | instskip(SKIP_3) | instid1(VALU_DEP_1)
	s_or_b32 exec_lo, exec_lo, s25
	v_and_b32_e32 v91, 0xff, v44
	s_mov_b32 s11, 0
	s_mov_b32 s26, exec_lo
                                        ; implicit-def: $sgpr25
	v_cmpx_lt_i16_e32 0x7f, v91
	s_xor_b32 s26, exec_lo, s26
	s_cbranch_execnz .LBB6_2277
; %bb.1080:                             ;   in Loop: Header=BB6_142 Depth=2
	s_or_saveexec_b32 s26, s26
	v_mov_b32_e32 v90, s25
	s_xor_b32 exec_lo, exec_lo, s26
	s_cbranch_execnz .LBB6_2280
.LBB6_1081:                             ;   in Loop: Header=BB6_142 Depth=2
	s_or_b32 exec_lo, exec_lo, s26
	s_and_saveexec_b32 s25, s11
	s_cbranch_execz .LBB6_1083
.LBB6_1082:                             ;   in Loop: Header=BB6_142 Depth=2
	v_bfe_u32 v93, v44, 3, 4
	s_delay_alu instid0(VALU_DEP_1) | instskip(SKIP_1) | instid1(VALU_DEP_1)
	v_cmp_eq_u32_e32 vcc_lo, 0, v93
	v_and_b32_e32 v90, 7, v44
	v_clz_i32_u32_e32 v91, v90
	s_delay_alu instid0(VALU_DEP_1) | instskip(NEXT) | instid1(VALU_DEP_1)
	v_min_u32_e32 v91, 32, v91
	v_subrev_nc_u32_e32 v92, 28, v91
	v_sub_nc_u32_e32 v91, 29, v91
	s_delay_alu instid0(VALU_DEP_1) | instskip(SKIP_1) | instid1(VALU_DEP_2)
	v_dual_cndmask_b32 v91, v93, v91 :: v_dual_lshlrev_b32 v92, v92, v44
	v_lshlrev_b32_e32 v44, 24, v44
	v_and_b32_e32 v92, 7, v92
	s_delay_alu instid0(VALU_DEP_3) | instskip(NEXT) | instid1(VALU_DEP_3)
	v_lshl_add_u32 v91, v91, 23, 0x3b800000
	v_and_b32_e32 v44, 0x80000000, v44
	s_delay_alu instid0(VALU_DEP_3) | instskip(NEXT) | instid1(VALU_DEP_1)
	v_cndmask_b32_e32 v90, v90, v92, vcc_lo
	v_lshlrev_b32_e32 v90, 20, v90
	s_delay_alu instid0(VALU_DEP_1)
	v_or3_b32 v90, v44, v91, v90
.LBB6_1083:                             ;   in Loop: Header=BB6_142 Depth=2
	s_or_b32 exec_lo, exec_lo, s25
	v_lshrrev_b32_e32 v44, 16, v24
	s_mov_b32 s11, 0
	s_mov_b32 s26, exec_lo
                                        ; implicit-def: $sgpr25
	s_delay_alu instid0(VALU_DEP_1) | instskip(NEXT) | instid1(VALU_DEP_1)
	v_and_b32_e32 v92, 0xff, v44
	v_cmpx_lt_i16_e32 0x7f, v92
	s_xor_b32 s26, exec_lo, s26
	s_cbranch_execnz .LBB6_2281
; %bb.1084:                             ;   in Loop: Header=BB6_142 Depth=2
	s_or_saveexec_b32 s26, s26
	v_mov_b32_e32 v91, s25
	s_xor_b32 exec_lo, exec_lo, s26
	s_cbranch_execnz .LBB6_2284
.LBB6_1085:                             ;   in Loop: Header=BB6_142 Depth=2
	s_or_b32 exec_lo, exec_lo, s26
	s_and_saveexec_b32 s25, s11
	s_cbranch_execz .LBB6_1087
.LBB6_1086:                             ;   in Loop: Header=BB6_142 Depth=2
	v_bfe_u32 v91, v24, 16, 3
	v_lshlrev_b32_e32 v94, 8, v24
	s_delay_alu instid0(VALU_DEP_2) | instskip(NEXT) | instid1(VALU_DEP_1)
	v_clz_i32_u32_e32 v92, v91
	v_min_u32_e32 v92, 32, v92
	s_delay_alu instid0(VALU_DEP_1) | instskip(SKIP_1) | instid1(VALU_DEP_2)
	v_subrev_nc_u32_e32 v93, 28, v92
	v_sub_nc_u32_e32 v92, 29, v92
	v_lshlrev_b32_e32 v44, v93, v44
	v_bfe_u32 v93, v24, 19, 4
	s_delay_alu instid0(VALU_DEP_2) | instskip(NEXT) | instid1(VALU_DEP_2)
	v_and_b32_e32 v44, 7, v44
	v_cmp_eq_u32_e32 vcc_lo, 0, v93
	v_cndmask_b32_e32 v92, v93, v92, vcc_lo
	s_delay_alu instid0(VALU_DEP_3) | instskip(NEXT) | instid1(VALU_DEP_2)
	v_dual_cndmask_b32 v44, v91, v44 :: v_dual_and_b32 v91, 0x80000000, v94
	v_lshl_add_u32 v92, v92, 23, 0x3b800000
	s_delay_alu instid0(VALU_DEP_2) | instskip(NEXT) | instid1(VALU_DEP_1)
	v_lshlrev_b32_e32 v44, 20, v44
	v_or3_b32 v91, v91, v92, v44
.LBB6_1087:                             ;   in Loop: Header=BB6_142 Depth=2
	s_or_b32 exec_lo, exec_lo, s25
	s_delay_alu instid0(VALU_DEP_1) | instskip(NEXT) | instid1(VALU_DEP_1)
	v_add_f32_e32 v90, v90, v91
	v_and_b32_e32 v44, 0x7f800000, v90
	s_delay_alu instid0(VALU_DEP_1)
	v_cmp_ne_u32_e32 vcc_lo, 0x7f800000, v44
	v_mov_b32_e32 v44, 0x80
	s_and_saveexec_b32 s25, vcc_lo
	s_cbranch_execz .LBB6_1095
; %bb.1088:                             ;   in Loop: Header=BB6_142 Depth=2
	v_mov_b32_e32 v44, 0
	s_mov_b32 s26, exec_lo
	v_cmpx_ne_u32_e32 0, v90
	s_cbranch_execz .LBB6_1094
; %bb.1089:                             ;   in Loop: Header=BB6_142 Depth=2
	v_bfe_u32 v44, v90, 23, 8
	s_delay_alu instid0(VALU_DEP_1) | instskip(SKIP_1) | instid1(VALU_DEP_2)
	v_sub_nc_u32_e32 v92, 0x78, v44
	v_cmp_gt_u32_e32 vcc_lo, 0x79, v44
	v_dual_cndmask_b32 v92, 0, v92 :: v_dual_and_b32 v91, 0x7fffff, v90
	s_delay_alu instid0(VALU_DEP_1) | instskip(SKIP_2) | instid1(VALU_DEP_4)
	v_or_b32_e32 v93, 0x800000, v91
	v_cmp_eq_u32_e32 vcc_lo, 0, v44
	v_add_nc_u32_e32 v44, 0xffffff89, v44
	v_cndmask_b32_e64 v92, v92, 0x77, vcc_lo
	s_delay_alu instid0(VALU_DEP_4) | instskip(NEXT) | instid1(VALU_DEP_3)
	v_cndmask_b32_e32 v91, v93, v91, vcc_lo
	v_cndmask_b32_e64 v44, v44, 0xffffff8a, vcc_lo
	s_delay_alu instid0(VALU_DEP_3) | instskip(NEXT) | instid1(VALU_DEP_3)
	v_lshl_add_u32 v93, 0x100000, v92, -1
	v_lshrrev_b32_e32 v94, v92, v91
	v_lshlrev_b32_e64 v104, v92, 0x80000
	s_delay_alu instid0(VALU_DEP_4) | instskip(NEXT) | instid1(VALU_DEP_4)
	v_add_nc_u32_e32 v92, v92, v44
	v_and_b32_e32 v91, v93, v91
	s_delay_alu instid0(VALU_DEP_4) | instskip(NEXT) | instid1(VALU_DEP_2)
	v_bfe_u32 v95, v94, 20, 1
	v_cmp_eq_u32_e64 s11, v91, v104
	s_delay_alu instid0(VALU_DEP_2) | instskip(NEXT) | instid1(VALU_DEP_1)
	v_add_nc_u32_e32 v93, -1, v95
	v_cndmask_b32_e64 v91, 0, v93, s11
	v_lshrrev_b32_e32 v93, 23, v94
	s_mov_b32 s11, exec_lo
	s_delay_alu instid0(VALU_DEP_2) | instskip(NEXT) | instid1(VALU_DEP_2)
	v_add_nc_u32_e32 v91, v91, v94
	v_xor_b32_e32 v93, 1, v93
	s_delay_alu instid0(VALU_DEP_2) | instskip(NEXT) | instid1(VALU_DEP_1)
	v_and_b32_e32 v44, 0xfffff, v91
	v_add_nc_u32_e32 v91, v44, v94
                                        ; implicit-def: $vgpr44
	s_delay_alu instid0(VALU_DEP_3)
	v_cmpx_ne_u32_e64 v92, v93
	s_xor_b32 s11, exec_lo, s11
; %bb.1090:                             ;   in Loop: Header=BB6_142 Depth=2
	s_delay_alu instid0(VALU_DEP_2) | instskip(SKIP_2) | instid1(VALU_DEP_2)
	v_cmp_lt_u32_e32 vcc_lo, 0xffffff, v91
	v_sub_nc_u32_e32 v44, v92, v93
	v_cndmask_b32_e64 v92, 0, 1, vcc_lo
	v_add_co_ci_u32_e32 v44, vcc_lo, 0, v44, vcc_lo
	s_delay_alu instid0(VALU_DEP_2)
	v_lshrrev_b32_e32 v91, v92, v91
; %bb.1091:                             ;   in Loop: Header=BB6_142 Depth=2
	s_and_not1_saveexec_b32 s11, s11
; %bb.1092:                             ;   in Loop: Header=BB6_142 Depth=2
	s_delay_alu instid0(VALU_DEP_1)
	v_bfe_u32 v44, v91, 23, 1
; %bb.1093:                             ;   in Loop: Header=BB6_142 Depth=2
	s_or_b32 exec_lo, exec_lo, s11
	v_lshrrev_b32_e32 v91, 20, v91
	s_delay_alu instid0(VALU_DEP_2) | instskip(SKIP_2) | instid1(VALU_DEP_2)
	v_cmp_gt_i32_e32 vcc_lo, 16, v44
	v_lshrrev_b32_e32 v90, 24, v90
	v_min_i32_e32 v92, 15, v44
	v_dual_cndmask_b32 v91, 7, v91 :: v_dual_and_b32 v90, 0x80, v90
	s_delay_alu instid0(VALU_DEP_2) | instskip(NEXT) | instid1(VALU_DEP_2)
	v_lshlrev_b32_e32 v92, 3, v92
	v_or_b32_e32 v44, v44, v91
	s_delay_alu instid0(VALU_DEP_1) | instskip(SKIP_1) | instid1(VALU_DEP_1)
	v_cmp_ne_u32_e32 vcc_lo, 0, v44
	v_and_b32_e32 v93, 7, v91
	v_or3_b32 v90, v92, v90, v93
	s_delay_alu instid0(VALU_DEP_1)
	v_cndmask_b32_e32 v44, 0, v90, vcc_lo
.LBB6_1094:                             ;   in Loop: Header=BB6_142 Depth=2
	s_or_b32 exec_lo, exec_lo, s26
.LBB6_1095:                             ;   in Loop: Header=BB6_142 Depth=2
	s_delay_alu instid0(SALU_CYCLE_1) | instskip(SKIP_3) | instid1(VALU_DEP_1)
	s_or_b32 exec_lo, exec_lo, s25
	v_and_b32_e32 v91, 0xff, v63
	s_mov_b32 s11, 0
	s_mov_b32 s26, exec_lo
                                        ; implicit-def: $sgpr25
	v_cmpx_lt_i16_e32 0x7f, v91
	s_xor_b32 s26, exec_lo, s26
	s_cbranch_execnz .LBB6_2285
; %bb.1096:                             ;   in Loop: Header=BB6_142 Depth=2
	s_or_saveexec_b32 s26, s26
	v_mov_b32_e32 v90, s25
	s_xor_b32 exec_lo, exec_lo, s26
	s_cbranch_execnz .LBB6_2288
.LBB6_1097:                             ;   in Loop: Header=BB6_142 Depth=2
	s_or_b32 exec_lo, exec_lo, s26
	s_and_saveexec_b32 s25, s11
	s_cbranch_execz .LBB6_1099
.LBB6_1098:                             ;   in Loop: Header=BB6_142 Depth=2
	v_lshlrev_b32_e32 v63, 8, v63
	s_delay_alu instid0(VALU_DEP_1) | instskip(SKIP_1) | instid1(VALU_DEP_2)
	v_and_b32_e32 v90, 0xff00, v63
	v_bfe_u32 v63, v63, 11, 4
	v_bfe_u32 v92, v90, 8, 3
	s_delay_alu instid0(VALU_DEP_2) | instskip(NEXT) | instid1(VALU_DEP_2)
	v_cmp_eq_u32_e32 vcc_lo, 0, v63
	v_clz_i32_u32_e32 v93, v92
	s_delay_alu instid0(VALU_DEP_1) | instskip(NEXT) | instid1(VALU_DEP_1)
	v_min_u32_e32 v93, 32, v93
	v_subrev_nc_u32_e32 v94, 28, v93
	v_sub_nc_u32_e32 v93, 29, v93
	s_delay_alu instid0(VALU_DEP_2) | instskip(NEXT) | instid1(VALU_DEP_2)
	v_lshlrev_b32_e32 v91, v94, v91
	v_cndmask_b32_e32 v63, v63, v93, vcc_lo
	s_delay_alu instid0(VALU_DEP_2) | instskip(SKIP_1) | instid1(VALU_DEP_3)
	v_and_b32_e32 v91, 7, v91
	v_lshlrev_b32_e32 v90, 16, v90
	v_lshl_add_u32 v63, v63, 23, 0x3b800000
	s_delay_alu instid0(VALU_DEP_2) | instskip(NEXT) | instid1(VALU_DEP_1)
	v_dual_cndmask_b32 v91, v92, v91 :: v_dual_and_b32 v90, 0x80000000, v90
	v_lshlrev_b32_e32 v91, 20, v91
	s_delay_alu instid0(VALU_DEP_1)
	v_or3_b32 v90, v90, v63, v91
.LBB6_1099:                             ;   in Loop: Header=BB6_142 Depth=2
	s_or_b32 exec_lo, exec_lo, s25
	v_lshrrev_b32_e32 v63, 24, v24
	s_mov_b32 s11, 0
	s_mov_b32 s26, exec_lo
                                        ; implicit-def: $sgpr25
	s_delay_alu instid0(VALU_DEP_1)
	v_cmpx_lt_i16_e32 0x7f, v63
	s_xor_b32 s26, exec_lo, s26
	s_cbranch_execnz .LBB6_2289
; %bb.1100:                             ;   in Loop: Header=BB6_142 Depth=2
	s_or_saveexec_b32 s26, s26
	v_mov_b32_e32 v91, s25
	s_xor_b32 exec_lo, exec_lo, s26
	s_cbranch_execnz .LBB6_2292
.LBB6_1101:                             ;   in Loop: Header=BB6_142 Depth=2
	s_or_b32 exec_lo, exec_lo, s26
	s_and_saveexec_b32 s25, s11
	s_cbranch_execz .LBB6_1103
.LBB6_1102:                             ;   in Loop: Header=BB6_142 Depth=2
	v_bfe_u32 v91, v24, 24, 3
	s_delay_alu instid0(VALU_DEP_1) | instskip(NEXT) | instid1(VALU_DEP_1)
	v_clz_i32_u32_e32 v92, v91
	v_min_u32_e32 v92, 32, v92
	s_delay_alu instid0(VALU_DEP_1) | instskip(SKIP_1) | instid1(VALU_DEP_2)
	v_subrev_nc_u32_e32 v93, 28, v92
	v_sub_nc_u32_e32 v92, 29, v92
	v_lshlrev_b32_e32 v63, v93, v63
	v_bfe_u32 v93, v24, 27, 4
	v_and_b32_e32 v24, 0x80000000, v24
	s_delay_alu instid0(VALU_DEP_2) | instskip(NEXT) | instid1(VALU_DEP_4)
	v_cmp_eq_u32_e32 vcc_lo, 0, v93
	v_dual_cndmask_b32 v92, v93, v92 :: v_dual_and_b32 v63, 7, v63
	s_delay_alu instid0(VALU_DEP_1) | instskip(NEXT) | instid1(VALU_DEP_2)
	v_cndmask_b32_e32 v63, v91, v63, vcc_lo
	v_lshl_add_u32 v91, v92, 23, 0x3b800000
	s_delay_alu instid0(VALU_DEP_2) | instskip(NEXT) | instid1(VALU_DEP_1)
	v_lshlrev_b32_e32 v63, 20, v63
	v_or3_b32 v91, v24, v91, v63
.LBB6_1103:                             ;   in Loop: Header=BB6_142 Depth=2
	s_or_b32 exec_lo, exec_lo, s25
	s_delay_alu instid0(VALU_DEP_1) | instskip(NEXT) | instid1(VALU_DEP_1)
	v_add_f32_e32 v63, v90, v91
	v_and_b32_e32 v24, 0x7f800000, v63
	s_delay_alu instid0(VALU_DEP_1)
	v_cmp_ne_u32_e32 vcc_lo, 0x7f800000, v24
	v_mov_b32_e32 v24, 0x80
	s_and_saveexec_b32 s25, vcc_lo
	s_cbranch_execz .LBB6_1111
; %bb.1104:                             ;   in Loop: Header=BB6_142 Depth=2
	v_mov_b32_e32 v24, 0
	s_mov_b32 s26, exec_lo
	v_cmpx_ne_u32_e32 0, v63
	s_cbranch_execz .LBB6_1110
; %bb.1105:                             ;   in Loop: Header=BB6_142 Depth=2
	v_bfe_u32 v24, v63, 23, 8
	v_and_b32_e32 v90, 0x7fffff, v63
	s_delay_alu instid0(VALU_DEP_2) | instskip(SKIP_1) | instid1(VALU_DEP_3)
	v_sub_nc_u32_e32 v91, 0x78, v24
	v_cmp_gt_u32_e32 vcc_lo, 0x79, v24
	v_or_b32_e32 v92, 0x800000, v90
	s_delay_alu instid0(VALU_DEP_3) | instskip(SKIP_2) | instid1(VALU_DEP_4)
	v_cndmask_b32_e32 v91, 0, v91, vcc_lo
	v_cmp_eq_u32_e32 vcc_lo, 0, v24
	v_add_nc_u32_e32 v24, 0xffffff89, v24
	v_cndmask_b32_e32 v90, v92, v90, vcc_lo
	s_delay_alu instid0(VALU_DEP_4) | instskip(NEXT) | instid1(VALU_DEP_3)
	v_cndmask_b32_e64 v91, v91, 0x77, vcc_lo
	v_cndmask_b32_e64 v24, v24, 0xffffff8a, vcc_lo
	s_delay_alu instid0(VALU_DEP_2) | instskip(SKIP_2) | instid1(VALU_DEP_4)
	v_lshrrev_b32_e32 v93, v91, v90
	v_lshl_add_u32 v92, 0x100000, v91, -1
	v_lshlrev_b32_e64 v95, v91, 0x80000
	v_add_nc_u32_e32 v91, v91, v24
	s_delay_alu instid0(VALU_DEP_4) | instskip(NEXT) | instid1(VALU_DEP_4)
	v_bfe_u32 v94, v93, 20, 1
	v_and_b32_e32 v90, v92, v90
	s_delay_alu instid0(VALU_DEP_2) | instskip(NEXT) | instid1(VALU_DEP_2)
	v_add_nc_u32_e32 v92, -1, v94
	v_cmp_eq_u32_e64 s11, v90, v95
	s_delay_alu instid0(VALU_DEP_1) | instskip(SKIP_2) | instid1(VALU_DEP_2)
	v_cndmask_b32_e64 v90, 0, v92, s11
	v_lshrrev_b32_e32 v92, 23, v93
	s_mov_b32 s11, exec_lo
	v_add_nc_u32_e32 v90, v90, v93
	s_delay_alu instid0(VALU_DEP_2) | instskip(NEXT) | instid1(VALU_DEP_2)
	v_xor_b32_e32 v92, 1, v92
	v_and_b32_e32 v24, 0xfffff, v90
	s_delay_alu instid0(VALU_DEP_1) | instskip(NEXT) | instid1(VALU_DEP_3)
	v_add_nc_u32_e32 v90, v24, v93
                                        ; implicit-def: $vgpr24
	v_cmpx_ne_u32_e64 v91, v92
	s_xor_b32 s11, exec_lo, s11
; %bb.1106:                             ;   in Loop: Header=BB6_142 Depth=2
	s_delay_alu instid0(VALU_DEP_2) | instskip(SKIP_2) | instid1(VALU_DEP_2)
	v_cmp_lt_u32_e32 vcc_lo, 0xffffff, v90
	v_sub_nc_u32_e32 v24, v91, v92
	v_cndmask_b32_e64 v91, 0, 1, vcc_lo
	v_add_co_ci_u32_e32 v24, vcc_lo, 0, v24, vcc_lo
	s_delay_alu instid0(VALU_DEP_2)
	v_lshrrev_b32_e32 v90, v91, v90
; %bb.1107:                             ;   in Loop: Header=BB6_142 Depth=2
	s_and_not1_saveexec_b32 s11, s11
; %bb.1108:                             ;   in Loop: Header=BB6_142 Depth=2
	s_delay_alu instid0(VALU_DEP_1)
	v_bfe_u32 v24, v90, 23, 1
; %bb.1109:                             ;   in Loop: Header=BB6_142 Depth=2
	s_or_b32 exec_lo, exec_lo, s11
	v_lshrrev_b32_e32 v90, 20, v90
	s_delay_alu instid0(VALU_DEP_2) | instskip(SKIP_2) | instid1(VALU_DEP_2)
	v_cmp_gt_i32_e32 vcc_lo, 16, v24
	v_lshrrev_b32_e32 v63, 24, v63
	v_min_i32_e32 v91, 15, v24
	v_dual_cndmask_b32 v90, 7, v90 :: v_dual_and_b32 v63, 0x80, v63
	s_delay_alu instid0(VALU_DEP_2) | instskip(NEXT) | instid1(VALU_DEP_2)
	v_lshlrev_b32_e32 v91, 3, v91
	v_and_b32_e32 v92, 7, v90
	v_or_b32_e32 v24, v24, v90
	s_delay_alu instid0(VALU_DEP_2) | instskip(NEXT) | instid1(VALU_DEP_2)
	v_or3_b32 v63, v91, v63, v92
	v_cmp_ne_u32_e32 vcc_lo, 0, v24
	s_delay_alu instid0(VALU_DEP_2)
	v_cndmask_b32_e32 v24, 0, v63, vcc_lo
.LBB6_1110:                             ;   in Loop: Header=BB6_142 Depth=2
	s_or_b32 exec_lo, exec_lo, s26
.LBB6_1111:                             ;   in Loop: Header=BB6_142 Depth=2
	s_delay_alu instid0(SALU_CYCLE_1) | instskip(SKIP_3) | instid1(VALU_DEP_1)
	s_or_b32 exec_lo, exec_lo, s25
	v_or_b32_e32 v89, v89, v61
	s_mov_b32 s11, 0
	s_mov_b32 s26, exec_lo
                                        ; implicit-def: $sgpr25
	v_and_b32_e32 v63, 0xff, v89
	s_delay_alu instid0(VALU_DEP_1)
	v_cmpx_lt_i16_e32 0x7f, v63
	s_xor_b32 s26, exec_lo, s26
	s_cbranch_execnz .LBB6_2293
; %bb.1112:                             ;   in Loop: Header=BB6_142 Depth=2
	s_or_saveexec_b32 s26, s26
	v_mov_b32_e32 v61, s25
	s_xor_b32 exec_lo, exec_lo, s26
	s_cbranch_execnz .LBB6_2296
.LBB6_1113:                             ;   in Loop: Header=BB6_142 Depth=2
	s_or_b32 exec_lo, exec_lo, s26
	s_and_saveexec_b32 s25, s11
	s_cbranch_execz .LBB6_1115
.LBB6_1114:                             ;   in Loop: Header=BB6_142 Depth=2
	v_and_b32_e32 v61, 7, v89
	v_bfe_u32 v91, v89, 3, 4
	s_delay_alu instid0(VALU_DEP_2) | instskip(NEXT) | instid1(VALU_DEP_2)
	v_clz_i32_u32_e32 v63, v61
	v_cmp_eq_u32_e32 vcc_lo, 0, v91
	s_delay_alu instid0(VALU_DEP_2) | instskip(NEXT) | instid1(VALU_DEP_1)
	v_min_u32_e32 v63, 32, v63
	v_subrev_nc_u32_e32 v90, 28, v63
	v_sub_nc_u32_e32 v63, 29, v63
	s_delay_alu instid0(VALU_DEP_1) | instskip(NEXT) | instid1(VALU_DEP_1)
	v_dual_cndmask_b32 v63, v91, v63 :: v_dual_lshlrev_b32 v90, v90, v89
	v_and_b32_e32 v90, 7, v90
	v_lshlrev_b32_e32 v92, 24, v89
	s_delay_alu instid0(VALU_DEP_3) | instskip(NEXT) | instid1(VALU_DEP_2)
	v_lshl_add_u32 v63, v63, 23, 0x3b800000
	v_dual_cndmask_b32 v61, v61, v90 :: v_dual_and_b32 v90, 0x80000000, v92
	s_delay_alu instid0(VALU_DEP_1) | instskip(NEXT) | instid1(VALU_DEP_1)
	v_lshlrev_b32_e32 v61, 20, v61
	v_or3_b32 v61, v90, v63, v61
.LBB6_1115:                             ;   in Loop: Header=BB6_142 Depth=2
	s_or_b32 exec_lo, exec_lo, s25
	v_and_b32_e32 v90, 0xff, v25
	s_mov_b32 s11, 0
	s_mov_b32 s26, exec_lo
                                        ; implicit-def: $sgpr25
	s_delay_alu instid0(VALU_DEP_1)
	v_cmpx_lt_i16_e32 0x7f, v90
	s_xor_b32 s26, exec_lo, s26
	s_cbranch_execnz .LBB6_2297
; %bb.1116:                             ;   in Loop: Header=BB6_142 Depth=2
	s_or_saveexec_b32 s26, s26
	v_mov_b32_e32 v63, s25
	s_xor_b32 exec_lo, exec_lo, s26
	s_cbranch_execnz .LBB6_2300
.LBB6_1117:                             ;   in Loop: Header=BB6_142 Depth=2
	s_or_b32 exec_lo, exec_lo, s26
	s_and_saveexec_b32 s25, s11
	s_cbranch_execz .LBB6_1119
.LBB6_1118:                             ;   in Loop: Header=BB6_142 Depth=2
	v_bfe_u32 v92, v25, 3, 4
	v_lshlrev_b32_e32 v93, 24, v25
	s_delay_alu instid0(VALU_DEP_2) | instskip(SKIP_1) | instid1(VALU_DEP_1)
	v_cmp_eq_u32_e32 vcc_lo, 0, v92
	v_and_b32_e32 v63, 7, v25
	v_clz_i32_u32_e32 v90, v63
	s_delay_alu instid0(VALU_DEP_1) | instskip(NEXT) | instid1(VALU_DEP_1)
	v_min_u32_e32 v90, 32, v90
	v_subrev_nc_u32_e32 v91, 28, v90
	v_sub_nc_u32_e32 v90, 29, v90
	s_delay_alu instid0(VALU_DEP_1) | instskip(NEXT) | instid1(VALU_DEP_1)
	v_dual_cndmask_b32 v90, v92, v90 :: v_dual_lshlrev_b32 v91, v91, v25
	v_and_b32_e32 v91, 7, v91
	s_delay_alu instid0(VALU_DEP_2) | instskip(NEXT) | instid1(VALU_DEP_2)
	v_lshl_add_u32 v90, v90, 23, 0x3b800000
	v_cndmask_b32_e32 v63, v63, v91, vcc_lo
	v_and_b32_e32 v91, 0x80000000, v93
	s_delay_alu instid0(VALU_DEP_2) | instskip(NEXT) | instid1(VALU_DEP_1)
	v_lshlrev_b32_e32 v63, 20, v63
	v_or3_b32 v63, v91, v90, v63
.LBB6_1119:                             ;   in Loop: Header=BB6_142 Depth=2
	s_or_b32 exec_lo, exec_lo, s25
	s_delay_alu instid0(VALU_DEP_1) | instskip(NEXT) | instid1(VALU_DEP_1)
	v_add_f32_e32 v63, v61, v63
	v_and_b32_e32 v61, 0x7f800000, v63
	s_delay_alu instid0(VALU_DEP_1)
	v_cmp_ne_u32_e32 vcc_lo, 0x7f800000, v61
	v_mov_b32_e32 v61, 0x80
	s_and_saveexec_b32 s25, vcc_lo
	s_cbranch_execz .LBB6_1127
; %bb.1120:                             ;   in Loop: Header=BB6_142 Depth=2
	v_mov_b32_e32 v61, 0
	s_mov_b32 s26, exec_lo
	v_cmpx_ne_u32_e32 0, v63
	s_cbranch_execz .LBB6_1126
; %bb.1121:                             ;   in Loop: Header=BB6_142 Depth=2
	v_bfe_u32 v61, v63, 23, 8
	v_and_b32_e32 v90, 0x7fffff, v63
	s_delay_alu instid0(VALU_DEP_2) | instskip(SKIP_1) | instid1(VALU_DEP_3)
	v_sub_nc_u32_e32 v91, 0x78, v61
	v_cmp_gt_u32_e32 vcc_lo, 0x79, v61
	v_or_b32_e32 v92, 0x800000, v90
	s_delay_alu instid0(VALU_DEP_3) | instskip(SKIP_1) | instid1(VALU_DEP_3)
	v_cndmask_b32_e32 v91, 0, v91, vcc_lo
	v_cmp_eq_u32_e32 vcc_lo, 0, v61
	v_dual_cndmask_b32 v90, v92, v90 :: v_dual_add_nc_u32 v61, 0xffffff89, v61
	s_delay_alu instid0(VALU_DEP_3) | instskip(NEXT) | instid1(VALU_DEP_2)
	v_cndmask_b32_e64 v91, v91, 0x77, vcc_lo
	v_cndmask_b32_e64 v61, v61, 0xffffff8a, vcc_lo
	s_delay_alu instid0(VALU_DEP_2) | instskip(SKIP_2) | instid1(VALU_DEP_4)
	v_lshrrev_b32_e32 v93, v91, v90
	v_lshl_add_u32 v92, 0x100000, v91, -1
	v_lshlrev_b32_e64 v95, v91, 0x80000
	v_add_nc_u32_e32 v91, v91, v61
	s_delay_alu instid0(VALU_DEP_4) | instskip(NEXT) | instid1(VALU_DEP_4)
	v_bfe_u32 v94, v93, 20, 1
	v_and_b32_e32 v90, v92, v90
	s_delay_alu instid0(VALU_DEP_2) | instskip(NEXT) | instid1(VALU_DEP_2)
	v_add_nc_u32_e32 v92, -1, v94
	v_cmp_eq_u32_e64 s11, v90, v95
	s_delay_alu instid0(VALU_DEP_1) | instskip(SKIP_2) | instid1(VALU_DEP_2)
	v_cndmask_b32_e64 v90, 0, v92, s11
	v_lshrrev_b32_e32 v92, 23, v93
	s_mov_b32 s11, exec_lo
	v_add_nc_u32_e32 v90, v90, v93
	s_delay_alu instid0(VALU_DEP_2) | instskip(NEXT) | instid1(VALU_DEP_2)
	v_xor_b32_e32 v92, 1, v92
	v_and_b32_e32 v61, 0xfffff, v90
	s_delay_alu instid0(VALU_DEP_1) | instskip(NEXT) | instid1(VALU_DEP_3)
	v_add_nc_u32_e32 v90, v61, v93
                                        ; implicit-def: $vgpr61
	v_cmpx_ne_u32_e64 v91, v92
	s_xor_b32 s11, exec_lo, s11
; %bb.1122:                             ;   in Loop: Header=BB6_142 Depth=2
	s_delay_alu instid0(VALU_DEP_2) | instskip(SKIP_2) | instid1(VALU_DEP_2)
	v_cmp_lt_u32_e32 vcc_lo, 0xffffff, v90
	v_sub_nc_u32_e32 v61, v91, v92
	v_cndmask_b32_e64 v91, 0, 1, vcc_lo
	v_add_co_ci_u32_e32 v61, vcc_lo, 0, v61, vcc_lo
	s_delay_alu instid0(VALU_DEP_2)
	v_lshrrev_b32_e32 v90, v91, v90
; %bb.1123:                             ;   in Loop: Header=BB6_142 Depth=2
	s_and_not1_saveexec_b32 s11, s11
; %bb.1124:                             ;   in Loop: Header=BB6_142 Depth=2
	s_delay_alu instid0(VALU_DEP_1)
	v_bfe_u32 v61, v90, 23, 1
; %bb.1125:                             ;   in Loop: Header=BB6_142 Depth=2
	s_or_b32 exec_lo, exec_lo, s11
	v_lshrrev_b32_e32 v90, 20, v90
	s_delay_alu instid0(VALU_DEP_2) | instskip(SKIP_2) | instid1(VALU_DEP_2)
	v_cmp_gt_i32_e32 vcc_lo, 16, v61
	v_lshrrev_b32_e32 v63, 24, v63
	v_min_i32_e32 v91, 15, v61
	v_dual_cndmask_b32 v90, 7, v90 :: v_dual_and_b32 v63, 0x80, v63
	s_delay_alu instid0(VALU_DEP_2) | instskip(NEXT) | instid1(VALU_DEP_2)
	v_lshlrev_b32_e32 v91, 3, v91
	v_or_b32_e32 v61, v61, v90
	s_delay_alu instid0(VALU_DEP_1) | instskip(SKIP_1) | instid1(VALU_DEP_1)
	v_cmp_ne_u32_e32 vcc_lo, 0, v61
	v_and_b32_e32 v92, 7, v90
	v_or3_b32 v63, v91, v63, v92
	s_delay_alu instid0(VALU_DEP_1)
	v_cndmask_b32_e32 v61, 0, v63, vcc_lo
.LBB6_1126:                             ;   in Loop: Header=BB6_142 Depth=2
	s_or_b32 exec_lo, exec_lo, s26
.LBB6_1127:                             ;   in Loop: Header=BB6_142 Depth=2
	s_delay_alu instid0(SALU_CYCLE_1) | instskip(SKIP_3) | instid1(VALU_DEP_1)
	s_or_b32 exec_lo, exec_lo, s25
	v_lshrrev_b16 v90, 8, v89
	s_mov_b32 s11, 0
	s_mov_b32 s26, exec_lo
                                        ; implicit-def: $sgpr25
	v_cmpx_lt_i16_e32 0x7f, v90
	s_xor_b32 s26, exec_lo, s26
	s_cbranch_execnz .LBB6_2301
; %bb.1128:                             ;   in Loop: Header=BB6_142 Depth=2
	s_or_saveexec_b32 s26, s26
	v_mov_b32_e32 v63, s25
	s_xor_b32 exec_lo, exec_lo, s26
	s_cbranch_execnz .LBB6_2304
.LBB6_1129:                             ;   in Loop: Header=BB6_142 Depth=2
	s_or_b32 exec_lo, exec_lo, s26
	s_and_saveexec_b32 s25, s11
	s_cbranch_execz .LBB6_1131
.LBB6_1130:                             ;   in Loop: Header=BB6_142 Depth=2
	v_and_b32_e32 v63, 0xffff, v90
	s_delay_alu instid0(VALU_DEP_1) | instskip(NEXT) | instid1(VALU_DEP_1)
	v_and_b32_e32 v91, 7, v63
	v_clz_i32_u32_e32 v92, v91
	s_delay_alu instid0(VALU_DEP_1) | instskip(NEXT) | instid1(VALU_DEP_1)
	v_min_u32_e32 v92, 32, v92
	v_subrev_nc_u32_e32 v93, 28, v92
	v_sub_nc_u32_e32 v92, 29, v92
	s_delay_alu instid0(VALU_DEP_2) | instskip(SKIP_1) | instid1(VALU_DEP_2)
	v_lshlrev_b32_e32 v93, v93, v63
	v_bfe_u32 v63, v63, 3, 4
	v_and_b32_e32 v93, 7, v93
	s_delay_alu instid0(VALU_DEP_2) | instskip(SKIP_1) | instid1(VALU_DEP_1)
	v_cmp_eq_u32_e32 vcc_lo, 0, v63
	v_dual_cndmask_b32 v63, v63, v92 :: v_dual_lshlrev_b32 v90, 24, v90
	v_dual_cndmask_b32 v91, v91, v93 :: v_dual_and_b32 v90, 0x80000000, v90
	s_delay_alu instid0(VALU_DEP_2) | instskip(NEXT) | instid1(VALU_DEP_2)
	v_lshl_add_u32 v63, v63, 23, 0x3b800000
	v_lshlrev_b32_e32 v91, 20, v91
	s_delay_alu instid0(VALU_DEP_1)
	v_or3_b32 v63, v90, v63, v91
.LBB6_1131:                             ;   in Loop: Header=BB6_142 Depth=2
	s_or_b32 exec_lo, exec_lo, s25
	v_lshrrev_b16 v90, 8, v25
	s_mov_b32 s11, 0
	s_mov_b32 s26, exec_lo
                                        ; implicit-def: $sgpr25
	s_delay_alu instid0(VALU_DEP_1)
	v_cmpx_lt_i16_e32 0x7f, v90
	s_xor_b32 s26, exec_lo, s26
	s_cbranch_execnz .LBB6_2305
; %bb.1132:                             ;   in Loop: Header=BB6_142 Depth=2
	s_or_saveexec_b32 s26, s26
	v_mov_b32_e32 v91, s25
	s_xor_b32 exec_lo, exec_lo, s26
	s_cbranch_execnz .LBB6_2308
.LBB6_1133:                             ;   in Loop: Header=BB6_142 Depth=2
	s_or_b32 exec_lo, exec_lo, s26
	s_and_saveexec_b32 s25, s11
	s_cbranch_execz .LBB6_1135
.LBB6_1134:                             ;   in Loop: Header=BB6_142 Depth=2
	v_and_b32_e32 v91, 0xffff, v90
	v_lshlrev_b32_e32 v90, 24, v90
	s_delay_alu instid0(VALU_DEP_2) | instskip(NEXT) | instid1(VALU_DEP_2)
	v_and_b32_e32 v92, 7, v91
	v_and_b32_e32 v90, 0x80000000, v90
	s_delay_alu instid0(VALU_DEP_2) | instskip(NEXT) | instid1(VALU_DEP_1)
	v_clz_i32_u32_e32 v93, v92
	v_min_u32_e32 v93, 32, v93
	s_delay_alu instid0(VALU_DEP_1) | instskip(SKIP_1) | instid1(VALU_DEP_2)
	v_subrev_nc_u32_e32 v94, 28, v93
	v_sub_nc_u32_e32 v93, 29, v93
	v_lshlrev_b32_e32 v94, v94, v91
	v_bfe_u32 v91, v91, 3, 4
	s_delay_alu instid0(VALU_DEP_2) | instskip(NEXT) | instid1(VALU_DEP_2)
	v_and_b32_e32 v94, 7, v94
	v_cmp_eq_u32_e32 vcc_lo, 0, v91
	s_delay_alu instid0(VALU_DEP_2) | instskip(NEXT) | instid1(VALU_DEP_1)
	v_dual_cndmask_b32 v91, v91, v93 :: v_dual_cndmask_b32 v92, v92, v94
	v_lshl_add_u32 v91, v91, 23, 0x3b800000
	s_delay_alu instid0(VALU_DEP_2) | instskip(NEXT) | instid1(VALU_DEP_1)
	v_lshlrev_b32_e32 v92, 20, v92
	v_or3_b32 v91, v90, v91, v92
.LBB6_1135:                             ;   in Loop: Header=BB6_142 Depth=2
	s_or_b32 exec_lo, exec_lo, s25
	s_delay_alu instid0(VALU_DEP_1) | instskip(NEXT) | instid1(VALU_DEP_1)
	v_add_f32_e32 v90, v63, v91
	v_and_b32_e32 v63, 0x7f800000, v90
	s_delay_alu instid0(VALU_DEP_1)
	v_cmp_ne_u32_e32 vcc_lo, 0x7f800000, v63
	v_mov_b32_e32 v63, 0x8000
	s_and_saveexec_b32 s25, vcc_lo
	s_cbranch_execz .LBB6_1143
; %bb.1136:                             ;   in Loop: Header=BB6_142 Depth=2
	v_mov_b32_e32 v63, 0
	s_mov_b32 s26, exec_lo
	v_cmpx_ne_u32_e32 0, v90
	s_cbranch_execz .LBB6_1142
; %bb.1137:                             ;   in Loop: Header=BB6_142 Depth=2
	v_bfe_u32 v63, v90, 23, 8
	s_delay_alu instid0(VALU_DEP_1) | instskip(SKIP_1) | instid1(VALU_DEP_2)
	v_sub_nc_u32_e32 v92, 0x78, v63
	v_cmp_gt_u32_e32 vcc_lo, 0x79, v63
	v_dual_cndmask_b32 v92, 0, v92 :: v_dual_and_b32 v91, 0x7fffff, v90
	s_delay_alu instid0(VALU_DEP_1) | instskip(SKIP_2) | instid1(VALU_DEP_4)
	v_or_b32_e32 v93, 0x800000, v91
	v_cmp_eq_u32_e32 vcc_lo, 0, v63
	v_add_nc_u32_e32 v63, 0xffffff89, v63
	v_cndmask_b32_e64 v92, v92, 0x77, vcc_lo
	s_delay_alu instid0(VALU_DEP_4) | instskip(NEXT) | instid1(VALU_DEP_3)
	v_cndmask_b32_e32 v91, v93, v91, vcc_lo
	v_cndmask_b32_e64 v63, v63, 0xffffff8a, vcc_lo
	s_delay_alu instid0(VALU_DEP_3) | instskip(NEXT) | instid1(VALU_DEP_3)
	v_lshl_add_u32 v93, 0x100000, v92, -1
	v_lshrrev_b32_e32 v94, v92, v91
	v_lshlrev_b32_e64 v104, v92, 0x80000
	s_delay_alu instid0(VALU_DEP_4) | instskip(NEXT) | instid1(VALU_DEP_4)
	v_add_nc_u32_e32 v92, v92, v63
	v_and_b32_e32 v91, v93, v91
	s_delay_alu instid0(VALU_DEP_4) | instskip(NEXT) | instid1(VALU_DEP_2)
	v_bfe_u32 v95, v94, 20, 1
	v_cmp_eq_u32_e64 s11, v91, v104
	s_delay_alu instid0(VALU_DEP_2) | instskip(NEXT) | instid1(VALU_DEP_1)
	v_add_nc_u32_e32 v93, -1, v95
	v_cndmask_b32_e64 v91, 0, v93, s11
	v_lshrrev_b32_e32 v93, 23, v94
	s_mov_b32 s11, exec_lo
	s_delay_alu instid0(VALU_DEP_2) | instskip(NEXT) | instid1(VALU_DEP_2)
	v_add_nc_u32_e32 v91, v91, v94
	v_xor_b32_e32 v93, 1, v93
	s_delay_alu instid0(VALU_DEP_2) | instskip(NEXT) | instid1(VALU_DEP_1)
	v_and_b32_e32 v63, 0xfffff, v91
	v_add_nc_u32_e32 v91, v63, v94
                                        ; implicit-def: $vgpr63
	s_delay_alu instid0(VALU_DEP_3)
	v_cmpx_ne_u32_e64 v92, v93
	s_xor_b32 s11, exec_lo, s11
; %bb.1138:                             ;   in Loop: Header=BB6_142 Depth=2
	s_delay_alu instid0(VALU_DEP_2) | instskip(SKIP_2) | instid1(VALU_DEP_2)
	v_cmp_lt_u32_e32 vcc_lo, 0xffffff, v91
	v_sub_nc_u32_e32 v63, v92, v93
	v_cndmask_b32_e64 v92, 0, 1, vcc_lo
	v_add_co_ci_u32_e32 v63, vcc_lo, 0, v63, vcc_lo
	s_delay_alu instid0(VALU_DEP_2)
	v_lshrrev_b32_e32 v91, v92, v91
; %bb.1139:                             ;   in Loop: Header=BB6_142 Depth=2
	s_and_not1_saveexec_b32 s11, s11
; %bb.1140:                             ;   in Loop: Header=BB6_142 Depth=2
	s_delay_alu instid0(VALU_DEP_1)
	v_bfe_u32 v63, v91, 23, 1
; %bb.1141:                             ;   in Loop: Header=BB6_142 Depth=2
	s_or_b32 exec_lo, exec_lo, s11
	v_lshrrev_b32_e32 v91, 20, v91
	s_delay_alu instid0(VALU_DEP_2) | instskip(SKIP_2) | instid1(VALU_DEP_2)
	v_cmp_gt_i32_e32 vcc_lo, 16, v63
	v_min_i32_e32 v92, 15, v63
	v_lshrrev_b32_e32 v90, 24, v90
	v_dual_cndmask_b32 v91, 7, v91 :: v_dual_lshlrev_b32 v92, 3, v92
	s_delay_alu instid0(VALU_DEP_2) | instskip(NEXT) | instid1(VALU_DEP_2)
	v_and_b32_e32 v90, 0x80, v90
	v_or_b32_e32 v63, v63, v91
	v_and_b32_e32 v93, 7, v91
	s_delay_alu instid0(VALU_DEP_2) | instskip(SKIP_1) | instid1(VALU_DEP_1)
	v_cmp_ne_u32_e32 vcc_lo, 0, v63
	v_and_b32_e32 v92, 0xf8, v92
	v_or3_b32 v90, v90, v92, v93
	s_delay_alu instid0(VALU_DEP_1) | instskip(NEXT) | instid1(VALU_DEP_1)
	v_lshlrev_b32_e32 v90, 8, v90
	v_cndmask_b32_e32 v63, 0, v90, vcc_lo
.LBB6_1142:                             ;   in Loop: Header=BB6_142 Depth=2
	s_or_b32 exec_lo, exec_lo, s26
.LBB6_1143:                             ;   in Loop: Header=BB6_142 Depth=2
	s_delay_alu instid0(SALU_CYCLE_1) | instskip(SKIP_3) | instid1(VALU_DEP_1)
	s_or_b32 exec_lo, exec_lo, s25
	v_or_b32_e32 v88, v88, v78
	s_mov_b32 s11, 0
	s_mov_b32 s26, exec_lo
                                        ; implicit-def: $sgpr25
	v_and_b32_e32 v90, 0xff, v88
	s_delay_alu instid0(VALU_DEP_1)
	v_cmpx_lt_i16_e32 0x7f, v90
	s_xor_b32 s26, exec_lo, s26
	s_cbranch_execnz .LBB6_2309
; %bb.1144:                             ;   in Loop: Header=BB6_142 Depth=2
	s_or_saveexec_b32 s26, s26
	v_mov_b32_e32 v78, s25
	s_xor_b32 exec_lo, exec_lo, s26
	s_cbranch_execnz .LBB6_2312
.LBB6_1145:                             ;   in Loop: Header=BB6_142 Depth=2
	s_or_b32 exec_lo, exec_lo, s26
	v_lshl_or_b32 v88, v88, 16, v89
	s_and_saveexec_b32 s25, s11
	s_cbranch_execz .LBB6_1147
.LBB6_1146:                             ;   in Loop: Header=BB6_142 Depth=2
	s_delay_alu instid0(VALU_DEP_1) | instskip(SKIP_2) | instid1(VALU_DEP_3)
	v_bfe_u32 v78, v88, 16, 3
	v_lshrrev_b32_e32 v90, 16, v88
	v_lshlrev_b32_e32 v92, 8, v88
	v_clz_i32_u32_e32 v89, v78
	s_delay_alu instid0(VALU_DEP_1) | instskip(NEXT) | instid1(VALU_DEP_1)
	v_min_u32_e32 v89, 32, v89
	v_subrev_nc_u32_e32 v91, 28, v89
	v_sub_nc_u32_e32 v89, 29, v89
	s_delay_alu instid0(VALU_DEP_2) | instskip(SKIP_1) | instid1(VALU_DEP_1)
	v_lshlrev_b32_e32 v90, v91, v90
	v_bfe_u32 v91, v88, 19, 4
	v_cmp_eq_u32_e32 vcc_lo, 0, v91
	s_delay_alu instid0(VALU_DEP_3) | instskip(NEXT) | instid1(VALU_DEP_1)
	v_dual_cndmask_b32 v89, v91, v89 :: v_dual_and_b32 v90, 7, v90
	v_cndmask_b32_e32 v78, v78, v90, vcc_lo
	v_and_b32_e32 v90, 0x80000000, v92
	s_delay_alu instid0(VALU_DEP_3) | instskip(NEXT) | instid1(VALU_DEP_3)
	v_lshl_add_u32 v89, v89, 23, 0x3b800000
	v_lshlrev_b32_e32 v78, 20, v78
	s_delay_alu instid0(VALU_DEP_1)
	v_or3_b32 v78, v90, v89, v78
.LBB6_1147:                             ;   in Loop: Header=BB6_142 Depth=2
	s_or_b32 exec_lo, exec_lo, s25
	v_lshrrev_b32_e32 v89, 16, v25
	s_mov_b32 s11, 0
	s_mov_b32 s26, exec_lo
                                        ; implicit-def: $sgpr25
	s_delay_alu instid0(VALU_DEP_1) | instskip(NEXT) | instid1(VALU_DEP_1)
	v_and_b32_e32 v91, 0xff, v89
	v_cmpx_lt_i16_e32 0x7f, v91
	s_xor_b32 s26, exec_lo, s26
	s_cbranch_execnz .LBB6_2313
; %bb.1148:                             ;   in Loop: Header=BB6_142 Depth=2
	s_or_saveexec_b32 s26, s26
	v_mov_b32_e32 v90, s25
	s_xor_b32 exec_lo, exec_lo, s26
	s_cbranch_execnz .LBB6_2316
.LBB6_1149:                             ;   in Loop: Header=BB6_142 Depth=2
	s_or_b32 exec_lo, exec_lo, s26
	s_and_saveexec_b32 s25, s11
	s_cbranch_execz .LBB6_1151
.LBB6_1150:                             ;   in Loop: Header=BB6_142 Depth=2
	v_bfe_u32 v90, v25, 16, 3
	v_lshlrev_b32_e32 v93, 8, v25
	s_delay_alu instid0(VALU_DEP_2) | instskip(NEXT) | instid1(VALU_DEP_1)
	v_clz_i32_u32_e32 v91, v90
	v_min_u32_e32 v91, 32, v91
	s_delay_alu instid0(VALU_DEP_1) | instskip(SKIP_1) | instid1(VALU_DEP_2)
	v_subrev_nc_u32_e32 v92, 28, v91
	v_sub_nc_u32_e32 v91, 29, v91
	v_lshlrev_b32_e32 v89, v92, v89
	v_bfe_u32 v92, v25, 19, 4
	s_delay_alu instid0(VALU_DEP_2) | instskip(NEXT) | instid1(VALU_DEP_2)
	v_and_b32_e32 v89, 7, v89
	v_cmp_eq_u32_e32 vcc_lo, 0, v92
	v_cndmask_b32_e32 v91, v92, v91, vcc_lo
	s_delay_alu instid0(VALU_DEP_3) | instskip(SKIP_1) | instid1(VALU_DEP_3)
	v_cndmask_b32_e32 v89, v90, v89, vcc_lo
	v_and_b32_e32 v90, 0x80000000, v93
	v_lshl_add_u32 v91, v91, 23, 0x3b800000
	s_delay_alu instid0(VALU_DEP_3) | instskip(NEXT) | instid1(VALU_DEP_1)
	v_lshlrev_b32_e32 v89, 20, v89
	v_or3_b32 v90, v90, v91, v89
.LBB6_1151:                             ;   in Loop: Header=BB6_142 Depth=2
	s_or_b32 exec_lo, exec_lo, s25
	s_delay_alu instid0(VALU_DEP_1) | instskip(NEXT) | instid1(VALU_DEP_1)
	v_add_f32_e32 v89, v78, v90
	v_and_b32_e32 v78, 0x7f800000, v89
	s_delay_alu instid0(VALU_DEP_1)
	v_cmp_ne_u32_e32 vcc_lo, 0x7f800000, v78
	v_mov_b32_e32 v78, 0x80
	s_and_saveexec_b32 s25, vcc_lo
	s_cbranch_execz .LBB6_1159
; %bb.1152:                             ;   in Loop: Header=BB6_142 Depth=2
	v_mov_b32_e32 v78, 0
	s_mov_b32 s26, exec_lo
	v_cmpx_ne_u32_e32 0, v89
	s_cbranch_execz .LBB6_1158
; %bb.1153:                             ;   in Loop: Header=BB6_142 Depth=2
	v_bfe_u32 v78, v89, 23, 8
	s_delay_alu instid0(VALU_DEP_1) | instskip(SKIP_1) | instid1(VALU_DEP_2)
	v_sub_nc_u32_e32 v91, 0x78, v78
	v_cmp_gt_u32_e32 vcc_lo, 0x79, v78
	v_dual_cndmask_b32 v91, 0, v91 :: v_dual_and_b32 v90, 0x7fffff, v89
	s_delay_alu instid0(VALU_DEP_1) | instskip(SKIP_2) | instid1(VALU_DEP_4)
	v_or_b32_e32 v92, 0x800000, v90
	v_cmp_eq_u32_e32 vcc_lo, 0, v78
	v_add_nc_u32_e32 v78, 0xffffff89, v78
	v_cndmask_b32_e64 v91, v91, 0x77, vcc_lo
	s_delay_alu instid0(VALU_DEP_4) | instskip(NEXT) | instid1(VALU_DEP_3)
	v_cndmask_b32_e32 v90, v92, v90, vcc_lo
	v_cndmask_b32_e64 v78, v78, 0xffffff8a, vcc_lo
	s_delay_alu instid0(VALU_DEP_3) | instskip(NEXT) | instid1(VALU_DEP_3)
	v_lshl_add_u32 v92, 0x100000, v91, -1
	v_lshrrev_b32_e32 v93, v91, v90
	v_lshlrev_b32_e64 v95, v91, 0x80000
	s_delay_alu instid0(VALU_DEP_4) | instskip(NEXT) | instid1(VALU_DEP_4)
	v_add_nc_u32_e32 v91, v91, v78
	v_and_b32_e32 v90, v92, v90
	s_delay_alu instid0(VALU_DEP_4) | instskip(NEXT) | instid1(VALU_DEP_2)
	v_bfe_u32 v94, v93, 20, 1
	v_cmp_eq_u32_e64 s11, v90, v95
	s_delay_alu instid0(VALU_DEP_2) | instskip(NEXT) | instid1(VALU_DEP_1)
	v_add_nc_u32_e32 v92, -1, v94
	v_cndmask_b32_e64 v90, 0, v92, s11
	v_lshrrev_b32_e32 v92, 23, v93
	s_mov_b32 s11, exec_lo
	s_delay_alu instid0(VALU_DEP_2) | instskip(NEXT) | instid1(VALU_DEP_2)
	v_add_nc_u32_e32 v90, v90, v93
	v_xor_b32_e32 v92, 1, v92
	s_delay_alu instid0(VALU_DEP_2) | instskip(NEXT) | instid1(VALU_DEP_1)
	v_and_b32_e32 v78, 0xfffff, v90
	v_add_nc_u32_e32 v90, v78, v93
                                        ; implicit-def: $vgpr78
	s_delay_alu instid0(VALU_DEP_3)
	v_cmpx_ne_u32_e64 v91, v92
	s_xor_b32 s11, exec_lo, s11
; %bb.1154:                             ;   in Loop: Header=BB6_142 Depth=2
	s_delay_alu instid0(VALU_DEP_2) | instskip(SKIP_2) | instid1(VALU_DEP_2)
	v_cmp_lt_u32_e32 vcc_lo, 0xffffff, v90
	v_sub_nc_u32_e32 v78, v91, v92
	v_cndmask_b32_e64 v91, 0, 1, vcc_lo
	v_add_co_ci_u32_e32 v78, vcc_lo, 0, v78, vcc_lo
	s_delay_alu instid0(VALU_DEP_2)
	v_lshrrev_b32_e32 v90, v91, v90
; %bb.1155:                             ;   in Loop: Header=BB6_142 Depth=2
	s_and_not1_saveexec_b32 s11, s11
; %bb.1156:                             ;   in Loop: Header=BB6_142 Depth=2
	s_delay_alu instid0(VALU_DEP_1)
	v_bfe_u32 v78, v90, 23, 1
; %bb.1157:                             ;   in Loop: Header=BB6_142 Depth=2
	s_or_b32 exec_lo, exec_lo, s11
	v_lshrrev_b32_e32 v90, 20, v90
	s_delay_alu instid0(VALU_DEP_2) | instskip(SKIP_2) | instid1(VALU_DEP_2)
	v_cmp_gt_i32_e32 vcc_lo, 16, v78
	v_min_i32_e32 v91, 15, v78
	v_lshrrev_b32_e32 v89, 24, v89
	v_dual_cndmask_b32 v90, 7, v90 :: v_dual_lshlrev_b32 v91, 3, v91
	s_delay_alu instid0(VALU_DEP_2) | instskip(NEXT) | instid1(VALU_DEP_2)
	v_and_b32_e32 v89, 0x80, v89
	v_or_b32_e32 v78, v78, v90
	v_and_b32_e32 v92, 7, v90
	s_delay_alu instid0(VALU_DEP_2) | instskip(SKIP_1) | instid1(VALU_DEP_1)
	v_cmp_ne_u32_e32 vcc_lo, 0, v78
	v_and_b32_e32 v91, 0xf8, v91
	v_or3_b32 v89, v91, v89, v92
	s_delay_alu instid0(VALU_DEP_1)
	v_cndmask_b32_e32 v78, 0, v89, vcc_lo
.LBB6_1158:                             ;   in Loop: Header=BB6_142 Depth=2
	s_or_b32 exec_lo, exec_lo, s26
.LBB6_1159:                             ;   in Loop: Header=BB6_142 Depth=2
	s_delay_alu instid0(SALU_CYCLE_1) | instskip(SKIP_3) | instid1(VALU_DEP_1)
	s_or_b32 exec_lo, exec_lo, s25
	v_lshrrev_b32_e32 v90, 24, v88
	s_mov_b32 s11, 0
	s_mov_b32 s26, exec_lo
                                        ; implicit-def: $sgpr25
	v_cmpx_lt_i16_e32 0x7f, v90
	s_xor_b32 s26, exec_lo, s26
	s_cbranch_execnz .LBB6_2317
; %bb.1160:                             ;   in Loop: Header=BB6_142 Depth=2
	s_or_saveexec_b32 s26, s26
	v_mov_b32_e32 v89, s25
	s_xor_b32 exec_lo, exec_lo, s26
	s_cbranch_execnz .LBB6_2320
.LBB6_1161:                             ;   in Loop: Header=BB6_142 Depth=2
	s_or_b32 exec_lo, exec_lo, s26
	s_and_saveexec_b32 s25, s11
	s_cbranch_execz .LBB6_1163
.LBB6_1162:                             ;   in Loop: Header=BB6_142 Depth=2
	v_bfe_u32 v89, v88, 24, 3
	s_delay_alu instid0(VALU_DEP_1) | instskip(NEXT) | instid1(VALU_DEP_1)
	v_clz_i32_u32_e32 v91, v89
	v_min_u32_e32 v91, 32, v91
	s_delay_alu instid0(VALU_DEP_1) | instskip(SKIP_1) | instid1(VALU_DEP_2)
	v_subrev_nc_u32_e32 v92, 28, v91
	v_sub_nc_u32_e32 v91, 29, v91
	v_lshlrev_b32_e32 v90, v92, v90
	v_bfe_u32 v92, v88, 27, 4
	v_and_b32_e32 v88, 0x80000000, v88
	s_delay_alu instid0(VALU_DEP_2) | instskip(NEXT) | instid1(VALU_DEP_4)
	v_cmp_eq_u32_e32 vcc_lo, 0, v92
	v_dual_cndmask_b32 v91, v92, v91 :: v_dual_and_b32 v90, 7, v90
	s_delay_alu instid0(VALU_DEP_1) | instskip(NEXT) | instid1(VALU_DEP_2)
	v_cndmask_b32_e32 v89, v89, v90, vcc_lo
	v_lshl_add_u32 v90, v91, 23, 0x3b800000
	s_delay_alu instid0(VALU_DEP_2) | instskip(NEXT) | instid1(VALU_DEP_1)
	v_lshlrev_b32_e32 v89, 20, v89
	v_or3_b32 v89, v88, v90, v89
.LBB6_1163:                             ;   in Loop: Header=BB6_142 Depth=2
	s_or_b32 exec_lo, exec_lo, s25
	v_lshrrev_b32_e32 v88, 24, v25
	s_mov_b32 s11, 0
	s_mov_b32 s26, exec_lo
                                        ; implicit-def: $sgpr25
	s_delay_alu instid0(VALU_DEP_1)
	v_cmpx_lt_i16_e32 0x7f, v88
	s_xor_b32 s26, exec_lo, s26
	s_cbranch_execnz .LBB6_2321
; %bb.1164:                             ;   in Loop: Header=BB6_142 Depth=2
	s_or_saveexec_b32 s26, s26
	v_mov_b32_e32 v90, s25
	s_xor_b32 exec_lo, exec_lo, s26
	s_cbranch_execnz .LBB6_2324
.LBB6_1165:                             ;   in Loop: Header=BB6_142 Depth=2
	s_or_b32 exec_lo, exec_lo, s26
	s_and_saveexec_b32 s25, s11
	s_cbranch_execz .LBB6_1167
.LBB6_1166:                             ;   in Loop: Header=BB6_142 Depth=2
	v_bfe_u32 v90, v25, 24, 3
	s_delay_alu instid0(VALU_DEP_1) | instskip(NEXT) | instid1(VALU_DEP_1)
	v_clz_i32_u32_e32 v91, v90
	v_min_u32_e32 v91, 32, v91
	s_delay_alu instid0(VALU_DEP_1) | instskip(SKIP_1) | instid1(VALU_DEP_2)
	v_subrev_nc_u32_e32 v92, 28, v91
	v_sub_nc_u32_e32 v91, 29, v91
	v_lshlrev_b32_e32 v88, v92, v88
	v_bfe_u32 v92, v25, 27, 4
	v_and_b32_e32 v25, 0x80000000, v25
	s_delay_alu instid0(VALU_DEP_2) | instskip(NEXT) | instid1(VALU_DEP_4)
	v_cmp_eq_u32_e32 vcc_lo, 0, v92
	v_dual_cndmask_b32 v91, v92, v91 :: v_dual_and_b32 v88, 7, v88
	s_delay_alu instid0(VALU_DEP_1) | instskip(NEXT) | instid1(VALU_DEP_2)
	v_cndmask_b32_e32 v88, v90, v88, vcc_lo
	v_lshl_add_u32 v90, v91, 23, 0x3b800000
	s_delay_alu instid0(VALU_DEP_2) | instskip(NEXT) | instid1(VALU_DEP_1)
	v_lshlrev_b32_e32 v88, 20, v88
	v_or3_b32 v90, v25, v90, v88
.LBB6_1167:                             ;   in Loop: Header=BB6_142 Depth=2
	s_or_b32 exec_lo, exec_lo, s25
	s_delay_alu instid0(VALU_DEP_1) | instskip(NEXT) | instid1(VALU_DEP_1)
	v_add_f32_e32 v88, v89, v90
	v_and_b32_e32 v25, 0x7f800000, v88
	s_delay_alu instid0(VALU_DEP_1)
	v_cmp_ne_u32_e32 vcc_lo, 0x7f800000, v25
	v_mov_b32_e32 v25, 0x8000
	s_and_saveexec_b32 s25, vcc_lo
	s_cbranch_execz .LBB6_1175
; %bb.1168:                             ;   in Loop: Header=BB6_142 Depth=2
	v_mov_b32_e32 v25, 0
	s_mov_b32 s26, exec_lo
	v_cmpx_ne_u32_e32 0, v88
	s_cbranch_execz .LBB6_1174
; %bb.1169:                             ;   in Loop: Header=BB6_142 Depth=2
	v_bfe_u32 v25, v88, 23, 8
	s_delay_alu instid0(VALU_DEP_1) | instskip(SKIP_1) | instid1(VALU_DEP_2)
	v_sub_nc_u32_e32 v90, 0x78, v25
	v_cmp_gt_u32_e32 vcc_lo, 0x79, v25
	v_dual_cndmask_b32 v90, 0, v90 :: v_dual_and_b32 v89, 0x7fffff, v88
	s_delay_alu instid0(VALU_DEP_1) | instskip(SKIP_2) | instid1(VALU_DEP_4)
	v_or_b32_e32 v91, 0x800000, v89
	v_cmp_eq_u32_e32 vcc_lo, 0, v25
	v_add_nc_u32_e32 v25, 0xffffff89, v25
	v_cndmask_b32_e64 v90, v90, 0x77, vcc_lo
	s_delay_alu instid0(VALU_DEP_4) | instskip(NEXT) | instid1(VALU_DEP_3)
	v_cndmask_b32_e32 v89, v91, v89, vcc_lo
	v_cndmask_b32_e64 v25, v25, 0xffffff8a, vcc_lo
	s_delay_alu instid0(VALU_DEP_3) | instskip(NEXT) | instid1(VALU_DEP_3)
	v_lshl_add_u32 v91, 0x100000, v90, -1
	v_lshrrev_b32_e32 v92, v90, v89
	v_lshlrev_b32_e64 v94, v90, 0x80000
	s_delay_alu instid0(VALU_DEP_4) | instskip(NEXT) | instid1(VALU_DEP_4)
	v_add_nc_u32_e32 v90, v90, v25
	v_and_b32_e32 v89, v91, v89
	s_delay_alu instid0(VALU_DEP_4) | instskip(NEXT) | instid1(VALU_DEP_2)
	v_bfe_u32 v93, v92, 20, 1
	v_cmp_eq_u32_e64 s11, v89, v94
	s_delay_alu instid0(VALU_DEP_2) | instskip(NEXT) | instid1(VALU_DEP_1)
	v_add_nc_u32_e32 v91, -1, v93
	v_cndmask_b32_e64 v89, 0, v91, s11
	v_lshrrev_b32_e32 v91, 23, v92
	s_mov_b32 s11, exec_lo
	s_delay_alu instid0(VALU_DEP_2) | instskip(NEXT) | instid1(VALU_DEP_2)
	v_add_nc_u32_e32 v89, v89, v92
	v_xor_b32_e32 v91, 1, v91
	s_delay_alu instid0(VALU_DEP_2) | instskip(NEXT) | instid1(VALU_DEP_1)
	v_and_b32_e32 v25, 0xfffff, v89
	v_add_nc_u32_e32 v89, v25, v92
                                        ; implicit-def: $vgpr25
	s_delay_alu instid0(VALU_DEP_3)
	v_cmpx_ne_u32_e64 v90, v91
	s_xor_b32 s11, exec_lo, s11
; %bb.1170:                             ;   in Loop: Header=BB6_142 Depth=2
	s_delay_alu instid0(VALU_DEP_2) | instskip(SKIP_2) | instid1(VALU_DEP_2)
	v_cmp_lt_u32_e32 vcc_lo, 0xffffff, v89
	v_sub_nc_u32_e32 v25, v90, v91
	v_cndmask_b32_e64 v90, 0, 1, vcc_lo
	v_add_co_ci_u32_e32 v25, vcc_lo, 0, v25, vcc_lo
	s_delay_alu instid0(VALU_DEP_2)
	v_lshrrev_b32_e32 v89, v90, v89
; %bb.1171:                             ;   in Loop: Header=BB6_142 Depth=2
	s_and_not1_saveexec_b32 s11, s11
; %bb.1172:                             ;   in Loop: Header=BB6_142 Depth=2
	s_delay_alu instid0(VALU_DEP_1)
	v_bfe_u32 v25, v89, 23, 1
; %bb.1173:                             ;   in Loop: Header=BB6_142 Depth=2
	s_or_b32 exec_lo, exec_lo, s11
	v_lshrrev_b32_e32 v89, 20, v89
	s_delay_alu instid0(VALU_DEP_2) | instskip(SKIP_2) | instid1(VALU_DEP_2)
	v_cmp_gt_i32_e32 vcc_lo, 16, v25
	v_min_i32_e32 v90, 15, v25
	v_lshrrev_b32_e32 v88, 24, v88
	v_dual_cndmask_b32 v89, 7, v89 :: v_dual_lshlrev_b32 v90, 3, v90
	s_delay_alu instid0(VALU_DEP_2) | instskip(NEXT) | instid1(VALU_DEP_2)
	v_and_b32_e32 v88, 0x80, v88
	v_or_b32_e32 v25, v25, v89
	v_and_b32_e32 v91, 7, v89
	s_delay_alu instid0(VALU_DEP_2) | instskip(SKIP_1) | instid1(VALU_DEP_1)
	v_cmp_ne_u32_e32 vcc_lo, 0, v25
	v_and_b32_e32 v90, 0xf8, v90
	v_or3_b32 v88, v88, v90, v91
	s_delay_alu instid0(VALU_DEP_1) | instskip(NEXT) | instid1(VALU_DEP_1)
	v_lshlrev_b32_e32 v88, 8, v88
	v_cndmask_b32_e32 v25, 0, v88, vcc_lo
.LBB6_1174:                             ;   in Loop: Header=BB6_142 Depth=2
	s_or_b32 exec_lo, exec_lo, s26
.LBB6_1175:                             ;   in Loop: Header=BB6_142 Depth=2
	s_delay_alu instid0(SALU_CYCLE_1) | instskip(SKIP_3) | instid1(VALU_DEP_1)
	s_or_b32 exec_lo, exec_lo, s25
	v_and_b32_e32 v89, 0xff, v79
	s_mov_b32 s11, 0
	s_mov_b32 s26, exec_lo
                                        ; implicit-def: $sgpr25
	v_cmpx_lt_i16_e32 0x7f, v89
	s_xor_b32 s26, exec_lo, s26
	s_cbranch_execnz .LBB6_2325
; %bb.1176:                             ;   in Loop: Header=BB6_142 Depth=2
	s_or_saveexec_b32 s26, s26
	v_mov_b32_e32 v88, s25
	s_xor_b32 exec_lo, exec_lo, s26
	s_cbranch_execnz .LBB6_2328
.LBB6_1177:                             ;   in Loop: Header=BB6_142 Depth=2
	s_or_b32 exec_lo, exec_lo, s26
	s_and_saveexec_b32 s25, s11
	s_cbranch_execz .LBB6_1179
.LBB6_1178:                             ;   in Loop: Header=BB6_142 Depth=2
	v_bfe_u32 v91, v79, 3, 4
	s_delay_alu instid0(VALU_DEP_1) | instskip(SKIP_1) | instid1(VALU_DEP_1)
	v_cmp_eq_u32_e32 vcc_lo, 0, v91
	v_and_b32_e32 v88, 7, v79
	v_clz_i32_u32_e32 v89, v88
	s_delay_alu instid0(VALU_DEP_1) | instskip(NEXT) | instid1(VALU_DEP_1)
	v_min_u32_e32 v89, 32, v89
	v_subrev_nc_u32_e32 v90, 28, v89
	v_sub_nc_u32_e32 v89, 29, v89
	s_delay_alu instid0(VALU_DEP_1) | instskip(NEXT) | instid1(VALU_DEP_1)
	v_dual_cndmask_b32 v89, v91, v89 :: v_dual_lshlrev_b32 v90, v90, v79
	v_and_b32_e32 v90, 7, v90
	v_lshlrev_b32_e32 v79, 24, v79
	s_delay_alu instid0(VALU_DEP_3) | instskip(NEXT) | instid1(VALU_DEP_2)
	v_lshl_add_u32 v89, v89, 23, 0x3b800000
	v_dual_cndmask_b32 v88, v88, v90 :: v_dual_and_b32 v79, 0x80000000, v79
	s_delay_alu instid0(VALU_DEP_1) | instskip(NEXT) | instid1(VALU_DEP_1)
	v_lshlrev_b32_e32 v88, 20, v88
	v_or3_b32 v88, v79, v89, v88
.LBB6_1179:                             ;   in Loop: Header=BB6_142 Depth=2
	s_or_b32 exec_lo, exec_lo, s25
	s_waitcnt vmcnt(2)
	v_and_b32_e32 v89, 0xff, v18
	s_mov_b32 s11, 0
	s_mov_b32 s26, exec_lo
                                        ; implicit-def: $sgpr25
	s_delay_alu instid0(VALU_DEP_1)
	v_cmpx_lt_i16_e32 0x7f, v89
	s_xor_b32 s26, exec_lo, s26
	s_cbranch_execnz .LBB6_2329
; %bb.1180:                             ;   in Loop: Header=BB6_142 Depth=2
	s_or_saveexec_b32 s26, s26
	v_mov_b32_e32 v79, s25
	s_xor_b32 exec_lo, exec_lo, s26
	s_cbranch_execnz .LBB6_2332
.LBB6_1181:                             ;   in Loop: Header=BB6_142 Depth=2
	s_or_b32 exec_lo, exec_lo, s26
	s_and_saveexec_b32 s25, s11
	s_cbranch_execz .LBB6_1183
.LBB6_1182:                             ;   in Loop: Header=BB6_142 Depth=2
	v_and_b32_e32 v79, 7, v18
	v_bfe_u32 v91, v18, 3, 4
	v_lshlrev_b32_e32 v92, 24, v18
	s_delay_alu instid0(VALU_DEP_3) | instskip(NEXT) | instid1(VALU_DEP_3)
	v_clz_i32_u32_e32 v89, v79
	v_cmp_eq_u32_e32 vcc_lo, 0, v91
	s_delay_alu instid0(VALU_DEP_2) | instskip(NEXT) | instid1(VALU_DEP_1)
	v_min_u32_e32 v89, 32, v89
	v_subrev_nc_u32_e32 v90, 28, v89
	v_sub_nc_u32_e32 v89, 29, v89
	s_delay_alu instid0(VALU_DEP_1) | instskip(NEXT) | instid1(VALU_DEP_1)
	v_dual_cndmask_b32 v89, v91, v89 :: v_dual_lshlrev_b32 v90, v90, v18
	v_and_b32_e32 v90, 7, v90
	s_delay_alu instid0(VALU_DEP_2) | instskip(NEXT) | instid1(VALU_DEP_2)
	v_lshl_add_u32 v89, v89, 23, 0x3b800000
	v_dual_cndmask_b32 v79, v79, v90 :: v_dual_and_b32 v90, 0x80000000, v92
	s_delay_alu instid0(VALU_DEP_1) | instskip(NEXT) | instid1(VALU_DEP_1)
	v_lshlrev_b32_e32 v79, 20, v79
	v_or3_b32 v79, v90, v89, v79
.LBB6_1183:                             ;   in Loop: Header=BB6_142 Depth=2
	s_or_b32 exec_lo, exec_lo, s25
	s_delay_alu instid0(VALU_DEP_1) | instskip(NEXT) | instid1(VALU_DEP_1)
	v_add_f32_e32 v88, v88, v79
	v_and_b32_e32 v79, 0x7f800000, v88
	s_delay_alu instid0(VALU_DEP_1)
	v_cmp_ne_u32_e32 vcc_lo, 0x7f800000, v79
	v_mov_b32_e32 v79, 0x80
	s_and_saveexec_b32 s25, vcc_lo
	s_cbranch_execz .LBB6_1191
; %bb.1184:                             ;   in Loop: Header=BB6_142 Depth=2
	v_mov_b32_e32 v79, 0
	s_mov_b32 s26, exec_lo
	v_cmpx_ne_u32_e32 0, v88
	s_cbranch_execz .LBB6_1190
; %bb.1185:                             ;   in Loop: Header=BB6_142 Depth=2
	v_bfe_u32 v79, v88, 23, 8
	s_delay_alu instid0(VALU_DEP_1) | instskip(SKIP_1) | instid1(VALU_DEP_2)
	v_sub_nc_u32_e32 v90, 0x78, v79
	v_cmp_gt_u32_e32 vcc_lo, 0x79, v79
	v_dual_cndmask_b32 v90, 0, v90 :: v_dual_and_b32 v89, 0x7fffff, v88
	s_delay_alu instid0(VALU_DEP_1) | instskip(SKIP_2) | instid1(VALU_DEP_4)
	v_or_b32_e32 v91, 0x800000, v89
	v_cmp_eq_u32_e32 vcc_lo, 0, v79
	v_add_nc_u32_e32 v79, 0xffffff89, v79
	v_cndmask_b32_e64 v90, v90, 0x77, vcc_lo
	s_delay_alu instid0(VALU_DEP_2) | instskip(SKIP_1) | instid1(VALU_DEP_3)
	v_cndmask_b32_e64 v79, v79, 0xffffff8a, vcc_lo
	v_cndmask_b32_e32 v89, v91, v89, vcc_lo
	v_lshl_add_u32 v91, 0x100000, v90, -1
	v_lshlrev_b32_e64 v94, v90, 0x80000
	s_delay_alu instid0(VALU_DEP_3) | instskip(SKIP_1) | instid1(VALU_DEP_4)
	v_lshrrev_b32_e32 v92, v90, v89
	v_add_nc_u32_e32 v90, v90, v79
	v_and_b32_e32 v89, v91, v89
	s_delay_alu instid0(VALU_DEP_3) | instskip(NEXT) | instid1(VALU_DEP_2)
	v_bfe_u32 v93, v92, 20, 1
	v_cmp_eq_u32_e64 s11, v89, v94
	s_delay_alu instid0(VALU_DEP_2) | instskip(NEXT) | instid1(VALU_DEP_1)
	v_add_nc_u32_e32 v91, -1, v93
	v_cndmask_b32_e64 v89, 0, v91, s11
	v_lshrrev_b32_e32 v91, 23, v92
	s_mov_b32 s11, exec_lo
	s_delay_alu instid0(VALU_DEP_2) | instskip(NEXT) | instid1(VALU_DEP_2)
	v_add_nc_u32_e32 v89, v89, v92
	v_xor_b32_e32 v91, 1, v91
	s_delay_alu instid0(VALU_DEP_2) | instskip(NEXT) | instid1(VALU_DEP_1)
	v_and_b32_e32 v79, 0xfffff, v89
	v_add_nc_u32_e32 v89, v79, v92
                                        ; implicit-def: $vgpr79
	s_delay_alu instid0(VALU_DEP_3)
	v_cmpx_ne_u32_e64 v90, v91
	s_xor_b32 s11, exec_lo, s11
; %bb.1186:                             ;   in Loop: Header=BB6_142 Depth=2
	s_delay_alu instid0(VALU_DEP_2) | instskip(SKIP_2) | instid1(VALU_DEP_2)
	v_cmp_lt_u32_e32 vcc_lo, 0xffffff, v89
	v_sub_nc_u32_e32 v79, v90, v91
	v_cndmask_b32_e64 v90, 0, 1, vcc_lo
	v_add_co_ci_u32_e32 v79, vcc_lo, 0, v79, vcc_lo
	s_delay_alu instid0(VALU_DEP_2)
	v_lshrrev_b32_e32 v89, v90, v89
; %bb.1187:                             ;   in Loop: Header=BB6_142 Depth=2
	s_and_not1_saveexec_b32 s11, s11
; %bb.1188:                             ;   in Loop: Header=BB6_142 Depth=2
	s_delay_alu instid0(VALU_DEP_1)
	v_bfe_u32 v79, v89, 23, 1
; %bb.1189:                             ;   in Loop: Header=BB6_142 Depth=2
	s_or_b32 exec_lo, exec_lo, s11
	v_lshrrev_b32_e32 v89, 20, v89
	s_delay_alu instid0(VALU_DEP_2) | instskip(SKIP_2) | instid1(VALU_DEP_2)
	v_cmp_gt_i32_e32 vcc_lo, 16, v79
	v_lshrrev_b32_e32 v88, 24, v88
	v_min_i32_e32 v90, 15, v79
	v_dual_cndmask_b32 v89, 7, v89 :: v_dual_and_b32 v88, 0x80, v88
	s_delay_alu instid0(VALU_DEP_1) | instskip(SKIP_1) | instid1(VALU_DEP_2)
	v_or_b32_e32 v79, v79, v89
	v_and_b32_e32 v91, 7, v89
	v_cmp_ne_u32_e32 vcc_lo, 0, v79
	v_lshlrev_b32_e32 v90, 3, v90
	s_delay_alu instid0(VALU_DEP_1) | instskip(NEXT) | instid1(VALU_DEP_1)
	v_or3_b32 v88, v90, v88, v91
	v_cndmask_b32_e32 v79, 0, v88, vcc_lo
.LBB6_1190:                             ;   in Loop: Header=BB6_142 Depth=2
	s_or_b32 exec_lo, exec_lo, s26
.LBB6_1191:                             ;   in Loop: Header=BB6_142 Depth=2
	s_delay_alu instid0(SALU_CYCLE_1) | instskip(SKIP_3) | instid1(VALU_DEP_1)
	s_or_b32 exec_lo, exec_lo, s25
	v_and_b32_e32 v89, 0xff, v76
	s_mov_b32 s11, 0
	s_mov_b32 s26, exec_lo
                                        ; implicit-def: $sgpr25
	v_cmpx_lt_i16_e32 0x7f, v89
	s_xor_b32 s26, exec_lo, s26
	s_cbranch_execnz .LBB6_2333
; %bb.1192:                             ;   in Loop: Header=BB6_142 Depth=2
	s_or_saveexec_b32 s26, s26
	v_mov_b32_e32 v88, s25
	s_xor_b32 exec_lo, exec_lo, s26
	s_cbranch_execnz .LBB6_2336
.LBB6_1193:                             ;   in Loop: Header=BB6_142 Depth=2
	s_or_b32 exec_lo, exec_lo, s26
	s_and_saveexec_b32 s25, s11
	s_cbranch_execz .LBB6_1195
.LBB6_1194:                             ;   in Loop: Header=BB6_142 Depth=2
	v_bfe_u32 v91, v76, 3, 4
	s_delay_alu instid0(VALU_DEP_1) | instskip(SKIP_1) | instid1(VALU_DEP_1)
	v_cmp_eq_u32_e32 vcc_lo, 0, v91
	v_and_b32_e32 v88, 7, v76
	v_clz_i32_u32_e32 v89, v88
	s_delay_alu instid0(VALU_DEP_1) | instskip(NEXT) | instid1(VALU_DEP_1)
	v_min_u32_e32 v89, 32, v89
	v_subrev_nc_u32_e32 v90, 28, v89
	v_sub_nc_u32_e32 v89, 29, v89
	s_delay_alu instid0(VALU_DEP_1) | instskip(SKIP_1) | instid1(VALU_DEP_2)
	v_dual_cndmask_b32 v89, v91, v89 :: v_dual_lshlrev_b32 v90, v90, v76
	v_lshlrev_b32_e32 v76, 24, v76
	v_and_b32_e32 v90, 7, v90
	s_delay_alu instid0(VALU_DEP_3) | instskip(NEXT) | instid1(VALU_DEP_3)
	v_lshl_add_u32 v89, v89, 23, 0x3b800000
	v_and_b32_e32 v76, 0x80000000, v76
	s_delay_alu instid0(VALU_DEP_3) | instskip(NEXT) | instid1(VALU_DEP_1)
	v_cndmask_b32_e32 v88, v88, v90, vcc_lo
	v_lshlrev_b32_e32 v88, 20, v88
	s_delay_alu instid0(VALU_DEP_1)
	v_or3_b32 v88, v76, v89, v88
.LBB6_1195:                             ;   in Loop: Header=BB6_142 Depth=2
	s_or_b32 exec_lo, exec_lo, s25
	v_lshrrev_b16 v76, 8, v18
	s_mov_b32 s11, 0
	s_mov_b32 s26, exec_lo
                                        ; implicit-def: $sgpr25
	s_delay_alu instid0(VALU_DEP_1)
	v_cmpx_lt_i16_e32 0x7f, v76
	s_xor_b32 s26, exec_lo, s26
	s_cbranch_execnz .LBB6_2337
; %bb.1196:                             ;   in Loop: Header=BB6_142 Depth=2
	s_or_saveexec_b32 s26, s26
	v_mov_b32_e32 v89, s25
	s_xor_b32 exec_lo, exec_lo, s26
	s_cbranch_execnz .LBB6_2340
.LBB6_1197:                             ;   in Loop: Header=BB6_142 Depth=2
	s_or_b32 exec_lo, exec_lo, s26
	s_and_saveexec_b32 s25, s11
	s_cbranch_execz .LBB6_1199
.LBB6_1198:                             ;   in Loop: Header=BB6_142 Depth=2
	v_and_b32_e32 v89, 0xffff, v76
	v_lshlrev_b32_e32 v76, 24, v76
	s_delay_alu instid0(VALU_DEP_2) | instskip(NEXT) | instid1(VALU_DEP_2)
	v_and_b32_e32 v90, 7, v89
	v_and_b32_e32 v76, 0x80000000, v76
	s_delay_alu instid0(VALU_DEP_2) | instskip(NEXT) | instid1(VALU_DEP_1)
	v_clz_i32_u32_e32 v91, v90
	v_min_u32_e32 v91, 32, v91
	s_delay_alu instid0(VALU_DEP_1) | instskip(SKIP_1) | instid1(VALU_DEP_2)
	v_subrev_nc_u32_e32 v92, 28, v91
	v_sub_nc_u32_e32 v91, 29, v91
	v_lshlrev_b32_e32 v92, v92, v89
	v_bfe_u32 v89, v89, 3, 4
	s_delay_alu instid0(VALU_DEP_2) | instskip(NEXT) | instid1(VALU_DEP_2)
	v_and_b32_e32 v92, 7, v92
	v_cmp_eq_u32_e32 vcc_lo, 0, v89
	s_delay_alu instid0(VALU_DEP_2) | instskip(NEXT) | instid1(VALU_DEP_1)
	v_dual_cndmask_b32 v89, v89, v91 :: v_dual_cndmask_b32 v90, v90, v92
	v_lshl_add_u32 v89, v89, 23, 0x3b800000
	s_delay_alu instid0(VALU_DEP_2) | instskip(NEXT) | instid1(VALU_DEP_1)
	v_lshlrev_b32_e32 v90, 20, v90
	v_or3_b32 v89, v76, v89, v90
.LBB6_1199:                             ;   in Loop: Header=BB6_142 Depth=2
	s_or_b32 exec_lo, exec_lo, s25
	s_delay_alu instid0(VALU_DEP_1) | instskip(NEXT) | instid1(VALU_DEP_1)
	v_add_f32_e32 v88, v88, v89
	v_and_b32_e32 v76, 0x7f800000, v88
	s_delay_alu instid0(VALU_DEP_1)
	v_cmp_ne_u32_e32 vcc_lo, 0x7f800000, v76
	v_mov_b32_e32 v76, 0x80
	s_and_saveexec_b32 s25, vcc_lo
	s_cbranch_execz .LBB6_1207
; %bb.1200:                             ;   in Loop: Header=BB6_142 Depth=2
	v_mov_b32_e32 v76, 0
	s_mov_b32 s26, exec_lo
	v_cmpx_ne_u32_e32 0, v88
	s_cbranch_execz .LBB6_1206
; %bb.1201:                             ;   in Loop: Header=BB6_142 Depth=2
	v_bfe_u32 v76, v88, 23, 8
	s_delay_alu instid0(VALU_DEP_1) | instskip(SKIP_1) | instid1(VALU_DEP_2)
	v_sub_nc_u32_e32 v90, 0x78, v76
	v_cmp_gt_u32_e32 vcc_lo, 0x79, v76
	v_dual_cndmask_b32 v90, 0, v90 :: v_dual_and_b32 v89, 0x7fffff, v88
	s_delay_alu instid0(VALU_DEP_1) | instskip(SKIP_2) | instid1(VALU_DEP_4)
	v_or_b32_e32 v91, 0x800000, v89
	v_cmp_eq_u32_e32 vcc_lo, 0, v76
	v_add_nc_u32_e32 v76, 0xffffff89, v76
	v_cndmask_b32_e64 v90, v90, 0x77, vcc_lo
	s_delay_alu instid0(VALU_DEP_4) | instskip(NEXT) | instid1(VALU_DEP_3)
	v_cndmask_b32_e32 v89, v91, v89, vcc_lo
	v_cndmask_b32_e64 v76, v76, 0xffffff8a, vcc_lo
	s_delay_alu instid0(VALU_DEP_3) | instskip(NEXT) | instid1(VALU_DEP_3)
	v_lshl_add_u32 v91, 0x100000, v90, -1
	v_lshrrev_b32_e32 v92, v90, v89
	v_lshlrev_b32_e64 v94, v90, 0x80000
	s_delay_alu instid0(VALU_DEP_4) | instskip(NEXT) | instid1(VALU_DEP_4)
	v_add_nc_u32_e32 v90, v90, v76
	v_and_b32_e32 v89, v91, v89
	s_delay_alu instid0(VALU_DEP_4) | instskip(NEXT) | instid1(VALU_DEP_2)
	v_bfe_u32 v93, v92, 20, 1
	v_cmp_eq_u32_e64 s11, v89, v94
	s_delay_alu instid0(VALU_DEP_2) | instskip(NEXT) | instid1(VALU_DEP_1)
	v_add_nc_u32_e32 v91, -1, v93
	v_cndmask_b32_e64 v89, 0, v91, s11
	v_lshrrev_b32_e32 v91, 23, v92
	s_mov_b32 s11, exec_lo
	s_delay_alu instid0(VALU_DEP_2) | instskip(NEXT) | instid1(VALU_DEP_2)
	v_add_nc_u32_e32 v89, v89, v92
	v_xor_b32_e32 v91, 1, v91
	s_delay_alu instid0(VALU_DEP_2) | instskip(NEXT) | instid1(VALU_DEP_1)
	v_and_b32_e32 v76, 0xfffff, v89
	v_add_nc_u32_e32 v89, v76, v92
                                        ; implicit-def: $vgpr76
	s_delay_alu instid0(VALU_DEP_3)
	v_cmpx_ne_u32_e64 v90, v91
	s_xor_b32 s11, exec_lo, s11
; %bb.1202:                             ;   in Loop: Header=BB6_142 Depth=2
	s_delay_alu instid0(VALU_DEP_2) | instskip(SKIP_2) | instid1(VALU_DEP_2)
	v_cmp_lt_u32_e32 vcc_lo, 0xffffff, v89
	v_sub_nc_u32_e32 v76, v90, v91
	v_cndmask_b32_e64 v90, 0, 1, vcc_lo
	v_add_co_ci_u32_e32 v76, vcc_lo, 0, v76, vcc_lo
	s_delay_alu instid0(VALU_DEP_2)
	v_lshrrev_b32_e32 v89, v90, v89
; %bb.1203:                             ;   in Loop: Header=BB6_142 Depth=2
	s_and_not1_saveexec_b32 s11, s11
; %bb.1204:                             ;   in Loop: Header=BB6_142 Depth=2
	s_delay_alu instid0(VALU_DEP_1)
	v_bfe_u32 v76, v89, 23, 1
; %bb.1205:                             ;   in Loop: Header=BB6_142 Depth=2
	s_or_b32 exec_lo, exec_lo, s11
	v_lshrrev_b32_e32 v89, 20, v89
	s_delay_alu instid0(VALU_DEP_2) | instskip(SKIP_2) | instid1(VALU_DEP_2)
	v_cmp_gt_i32_e32 vcc_lo, 16, v76
	v_lshrrev_b32_e32 v88, 24, v88
	v_min_i32_e32 v90, 15, v76
	v_dual_cndmask_b32 v89, 7, v89 :: v_dual_and_b32 v88, 0x80, v88
	s_delay_alu instid0(VALU_DEP_2) | instskip(NEXT) | instid1(VALU_DEP_2)
	v_lshlrev_b32_e32 v90, 3, v90
	v_or_b32_e32 v76, v76, v89
	s_delay_alu instid0(VALU_DEP_1) | instskip(SKIP_1) | instid1(VALU_DEP_1)
	v_cmp_ne_u32_e32 vcc_lo, 0, v76
	v_and_b32_e32 v91, 7, v89
	v_or3_b32 v88, v90, v88, v91
	s_delay_alu instid0(VALU_DEP_1)
	v_cndmask_b32_e32 v76, 0, v88, vcc_lo
.LBB6_1206:                             ;   in Loop: Header=BB6_142 Depth=2
	s_or_b32 exec_lo, exec_lo, s26
.LBB6_1207:                             ;   in Loop: Header=BB6_142 Depth=2
	s_delay_alu instid0(SALU_CYCLE_1) | instskip(SKIP_3) | instid1(VALU_DEP_1)
	s_or_b32 exec_lo, exec_lo, s25
	v_and_b32_e32 v89, 0xff, v75
	s_mov_b32 s11, 0
	s_mov_b32 s26, exec_lo
                                        ; implicit-def: $sgpr25
	v_cmpx_lt_i16_e32 0x7f, v89
	s_xor_b32 s26, exec_lo, s26
	s_cbranch_execnz .LBB6_2341
; %bb.1208:                             ;   in Loop: Header=BB6_142 Depth=2
	s_or_saveexec_b32 s26, s26
	v_mov_b32_e32 v88, s25
	s_xor_b32 exec_lo, exec_lo, s26
	s_cbranch_execnz .LBB6_2344
.LBB6_1209:                             ;   in Loop: Header=BB6_142 Depth=2
	s_or_b32 exec_lo, exec_lo, s26
	s_and_saveexec_b32 s25, s11
	s_cbranch_execz .LBB6_1211
.LBB6_1210:                             ;   in Loop: Header=BB6_142 Depth=2
	v_bfe_u32 v91, v75, 3, 4
	s_delay_alu instid0(VALU_DEP_1) | instskip(SKIP_1) | instid1(VALU_DEP_1)
	v_cmp_eq_u32_e32 vcc_lo, 0, v91
	v_and_b32_e32 v88, 7, v75
	v_clz_i32_u32_e32 v89, v88
	s_delay_alu instid0(VALU_DEP_1) | instskip(NEXT) | instid1(VALU_DEP_1)
	v_min_u32_e32 v89, 32, v89
	v_subrev_nc_u32_e32 v90, 28, v89
	v_sub_nc_u32_e32 v89, 29, v89
	s_delay_alu instid0(VALU_DEP_1) | instskip(NEXT) | instid1(VALU_DEP_1)
	v_dual_cndmask_b32 v89, v91, v89 :: v_dual_lshlrev_b32 v90, v90, v75
	v_and_b32_e32 v90, 7, v90
	v_lshlrev_b32_e32 v75, 24, v75
	s_delay_alu instid0(VALU_DEP_3) | instskip(NEXT) | instid1(VALU_DEP_2)
	v_lshl_add_u32 v89, v89, 23, 0x3b800000
	v_dual_cndmask_b32 v88, v88, v90 :: v_dual_and_b32 v75, 0x80000000, v75
	s_delay_alu instid0(VALU_DEP_1) | instskip(NEXT) | instid1(VALU_DEP_1)
	v_lshlrev_b32_e32 v88, 20, v88
	v_or3_b32 v88, v75, v89, v88
.LBB6_1211:                             ;   in Loop: Header=BB6_142 Depth=2
	s_or_b32 exec_lo, exec_lo, s25
	v_lshrrev_b32_e32 v75, 16, v18
	s_mov_b32 s11, 0
	s_mov_b32 s26, exec_lo
                                        ; implicit-def: $sgpr25
	s_delay_alu instid0(VALU_DEP_1) | instskip(NEXT) | instid1(VALU_DEP_1)
	v_and_b32_e32 v90, 0xff, v75
	v_cmpx_lt_i16_e32 0x7f, v90
	s_xor_b32 s26, exec_lo, s26
	s_cbranch_execnz .LBB6_2345
; %bb.1212:                             ;   in Loop: Header=BB6_142 Depth=2
	s_or_saveexec_b32 s26, s26
	v_mov_b32_e32 v89, s25
	s_xor_b32 exec_lo, exec_lo, s26
	s_cbranch_execnz .LBB6_2348
.LBB6_1213:                             ;   in Loop: Header=BB6_142 Depth=2
	s_or_b32 exec_lo, exec_lo, s26
	s_and_saveexec_b32 s25, s11
	s_cbranch_execz .LBB6_1215
.LBB6_1214:                             ;   in Loop: Header=BB6_142 Depth=2
	v_bfe_u32 v89, v18, 16, 3
	s_delay_alu instid0(VALU_DEP_1) | instskip(NEXT) | instid1(VALU_DEP_1)
	v_clz_i32_u32_e32 v90, v89
	v_min_u32_e32 v90, 32, v90
	s_delay_alu instid0(VALU_DEP_1) | instskip(SKIP_1) | instid1(VALU_DEP_2)
	v_subrev_nc_u32_e32 v91, 28, v90
	v_sub_nc_u32_e32 v90, 29, v90
	v_lshlrev_b32_e32 v75, v91, v75
	v_bfe_u32 v91, v18, 19, 4
	s_delay_alu instid0(VALU_DEP_1) | instskip(NEXT) | instid1(VALU_DEP_3)
	v_cmp_eq_u32_e32 vcc_lo, 0, v91
	v_dual_cndmask_b32 v90, v91, v90 :: v_dual_and_b32 v75, 7, v75
	s_delay_alu instid0(VALU_DEP_1) | instskip(NEXT) | instid1(VALU_DEP_2)
	v_dual_cndmask_b32 v75, v89, v75 :: v_dual_lshlrev_b32 v92, 8, v18
	v_lshl_add_u32 v90, v90, 23, 0x3b800000
	s_delay_alu instid0(VALU_DEP_2) | instskip(NEXT) | instid1(VALU_DEP_3)
	v_and_b32_e32 v89, 0x80000000, v92
	v_lshlrev_b32_e32 v75, 20, v75
	s_delay_alu instid0(VALU_DEP_1)
	v_or3_b32 v89, v89, v90, v75
.LBB6_1215:                             ;   in Loop: Header=BB6_142 Depth=2
	s_or_b32 exec_lo, exec_lo, s25
	s_delay_alu instid0(VALU_DEP_1) | instskip(NEXT) | instid1(VALU_DEP_1)
	v_add_f32_e32 v88, v88, v89
	v_and_b32_e32 v75, 0x7f800000, v88
	s_delay_alu instid0(VALU_DEP_1)
	v_cmp_ne_u32_e32 vcc_lo, 0x7f800000, v75
	v_mov_b32_e32 v75, 0x80
	s_and_saveexec_b32 s25, vcc_lo
	s_cbranch_execz .LBB6_1223
; %bb.1216:                             ;   in Loop: Header=BB6_142 Depth=2
	v_mov_b32_e32 v75, 0
	s_mov_b32 s26, exec_lo
	v_cmpx_ne_u32_e32 0, v88
	s_cbranch_execz .LBB6_1222
; %bb.1217:                             ;   in Loop: Header=BB6_142 Depth=2
	v_bfe_u32 v75, v88, 23, 8
	s_delay_alu instid0(VALU_DEP_1) | instskip(SKIP_1) | instid1(VALU_DEP_2)
	v_sub_nc_u32_e32 v90, 0x78, v75
	v_cmp_gt_u32_e32 vcc_lo, 0x79, v75
	v_dual_cndmask_b32 v90, 0, v90 :: v_dual_and_b32 v89, 0x7fffff, v88
	s_delay_alu instid0(VALU_DEP_1) | instskip(SKIP_2) | instid1(VALU_DEP_4)
	v_or_b32_e32 v91, 0x800000, v89
	v_cmp_eq_u32_e32 vcc_lo, 0, v75
	v_add_nc_u32_e32 v75, 0xffffff89, v75
	v_cndmask_b32_e64 v90, v90, 0x77, vcc_lo
	s_delay_alu instid0(VALU_DEP_2) | instskip(SKIP_1) | instid1(VALU_DEP_3)
	v_cndmask_b32_e64 v75, v75, 0xffffff8a, vcc_lo
	v_cndmask_b32_e32 v89, v91, v89, vcc_lo
	v_lshl_add_u32 v91, 0x100000, v90, -1
	v_lshlrev_b32_e64 v94, v90, 0x80000
	s_delay_alu instid0(VALU_DEP_3) | instskip(SKIP_1) | instid1(VALU_DEP_4)
	v_lshrrev_b32_e32 v92, v90, v89
	v_add_nc_u32_e32 v90, v90, v75
	v_and_b32_e32 v89, v91, v89
	s_delay_alu instid0(VALU_DEP_3) | instskip(NEXT) | instid1(VALU_DEP_2)
	v_bfe_u32 v93, v92, 20, 1
	v_cmp_eq_u32_e64 s11, v89, v94
	s_delay_alu instid0(VALU_DEP_2) | instskip(NEXT) | instid1(VALU_DEP_1)
	v_add_nc_u32_e32 v91, -1, v93
	v_cndmask_b32_e64 v89, 0, v91, s11
	v_lshrrev_b32_e32 v91, 23, v92
	s_mov_b32 s11, exec_lo
	s_delay_alu instid0(VALU_DEP_2) | instskip(NEXT) | instid1(VALU_DEP_2)
	v_add_nc_u32_e32 v89, v89, v92
	v_xor_b32_e32 v91, 1, v91
	s_delay_alu instid0(VALU_DEP_2) | instskip(NEXT) | instid1(VALU_DEP_1)
	v_and_b32_e32 v75, 0xfffff, v89
	v_add_nc_u32_e32 v89, v75, v92
                                        ; implicit-def: $vgpr75
	s_delay_alu instid0(VALU_DEP_3)
	v_cmpx_ne_u32_e64 v90, v91
	s_xor_b32 s11, exec_lo, s11
; %bb.1218:                             ;   in Loop: Header=BB6_142 Depth=2
	s_delay_alu instid0(VALU_DEP_2) | instskip(SKIP_2) | instid1(VALU_DEP_2)
	v_cmp_lt_u32_e32 vcc_lo, 0xffffff, v89
	v_sub_nc_u32_e32 v75, v90, v91
	v_cndmask_b32_e64 v90, 0, 1, vcc_lo
	v_add_co_ci_u32_e32 v75, vcc_lo, 0, v75, vcc_lo
	s_delay_alu instid0(VALU_DEP_2)
	v_lshrrev_b32_e32 v89, v90, v89
; %bb.1219:                             ;   in Loop: Header=BB6_142 Depth=2
	s_and_not1_saveexec_b32 s11, s11
; %bb.1220:                             ;   in Loop: Header=BB6_142 Depth=2
	s_delay_alu instid0(VALU_DEP_1)
	v_bfe_u32 v75, v89, 23, 1
; %bb.1221:                             ;   in Loop: Header=BB6_142 Depth=2
	s_or_b32 exec_lo, exec_lo, s11
	v_lshrrev_b32_e32 v89, 20, v89
	s_delay_alu instid0(VALU_DEP_2) | instskip(SKIP_2) | instid1(VALU_DEP_2)
	v_cmp_gt_i32_e32 vcc_lo, 16, v75
	v_lshrrev_b32_e32 v88, 24, v88
	v_min_i32_e32 v90, 15, v75
	v_dual_cndmask_b32 v89, 7, v89 :: v_dual_and_b32 v88, 0x80, v88
	s_delay_alu instid0(VALU_DEP_1) | instskip(SKIP_1) | instid1(VALU_DEP_2)
	v_or_b32_e32 v75, v75, v89
	v_and_b32_e32 v91, 7, v89
	v_cmp_ne_u32_e32 vcc_lo, 0, v75
	v_lshlrev_b32_e32 v90, 3, v90
	s_delay_alu instid0(VALU_DEP_1) | instskip(NEXT) | instid1(VALU_DEP_1)
	v_or3_b32 v88, v90, v88, v91
	v_cndmask_b32_e32 v75, 0, v88, vcc_lo
.LBB6_1222:                             ;   in Loop: Header=BB6_142 Depth=2
	s_or_b32 exec_lo, exec_lo, s26
.LBB6_1223:                             ;   in Loop: Header=BB6_142 Depth=2
	s_delay_alu instid0(SALU_CYCLE_1) | instskip(SKIP_3) | instid1(VALU_DEP_1)
	s_or_b32 exec_lo, exec_lo, s25
	v_and_b32_e32 v89, 0xff, v73
	s_mov_b32 s11, 0
	s_mov_b32 s26, exec_lo
                                        ; implicit-def: $sgpr25
	v_cmpx_lt_i16_e32 0x7f, v89
	s_xor_b32 s26, exec_lo, s26
	s_cbranch_execnz .LBB6_2349
; %bb.1224:                             ;   in Loop: Header=BB6_142 Depth=2
	s_or_saveexec_b32 s26, s26
	v_mov_b32_e32 v88, s25
	s_xor_b32 exec_lo, exec_lo, s26
	s_cbranch_execnz .LBB6_2352
.LBB6_1225:                             ;   in Loop: Header=BB6_142 Depth=2
	s_or_b32 exec_lo, exec_lo, s26
	s_and_saveexec_b32 s25, s11
	s_cbranch_execz .LBB6_1227
.LBB6_1226:                             ;   in Loop: Header=BB6_142 Depth=2
	v_lshlrev_b32_e32 v73, 8, v73
	s_delay_alu instid0(VALU_DEP_1) | instskip(SKIP_1) | instid1(VALU_DEP_2)
	v_and_b32_e32 v88, 0xff00, v73
	v_bfe_u32 v73, v73, 11, 4
	v_bfe_u32 v90, v88, 8, 3
	s_delay_alu instid0(VALU_DEP_2) | instskip(NEXT) | instid1(VALU_DEP_2)
	v_cmp_eq_u32_e32 vcc_lo, 0, v73
	v_clz_i32_u32_e32 v91, v90
	s_delay_alu instid0(VALU_DEP_1) | instskip(NEXT) | instid1(VALU_DEP_1)
	v_min_u32_e32 v91, 32, v91
	v_subrev_nc_u32_e32 v92, 28, v91
	v_sub_nc_u32_e32 v91, 29, v91
	s_delay_alu instid0(VALU_DEP_2) | instskip(NEXT) | instid1(VALU_DEP_2)
	v_lshlrev_b32_e32 v89, v92, v89
	v_cndmask_b32_e32 v73, v73, v91, vcc_lo
	s_delay_alu instid0(VALU_DEP_2) | instskip(SKIP_1) | instid1(VALU_DEP_3)
	v_and_b32_e32 v89, 7, v89
	v_lshlrev_b32_e32 v88, 16, v88
	v_lshl_add_u32 v73, v73, 23, 0x3b800000
	s_delay_alu instid0(VALU_DEP_2) | instskip(NEXT) | instid1(VALU_DEP_1)
	v_dual_cndmask_b32 v89, v90, v89 :: v_dual_and_b32 v88, 0x80000000, v88
	v_lshlrev_b32_e32 v89, 20, v89
	s_delay_alu instid0(VALU_DEP_1)
	v_or3_b32 v88, v88, v73, v89
.LBB6_1227:                             ;   in Loop: Header=BB6_142 Depth=2
	s_or_b32 exec_lo, exec_lo, s25
	v_lshrrev_b32_e32 v73, 24, v18
	s_mov_b32 s11, 0
	s_mov_b32 s26, exec_lo
                                        ; implicit-def: $sgpr25
	s_delay_alu instid0(VALU_DEP_1)
	v_cmpx_lt_i16_e32 0x7f, v73
	s_xor_b32 s26, exec_lo, s26
	s_cbranch_execnz .LBB6_2353
; %bb.1228:                             ;   in Loop: Header=BB6_142 Depth=2
	s_or_saveexec_b32 s26, s26
	v_mov_b32_e32 v89, s25
	s_xor_b32 exec_lo, exec_lo, s26
	s_cbranch_execnz .LBB6_2356
.LBB6_1229:                             ;   in Loop: Header=BB6_142 Depth=2
	s_or_b32 exec_lo, exec_lo, s26
	s_and_saveexec_b32 s25, s11
	s_cbranch_execz .LBB6_1231
.LBB6_1230:                             ;   in Loop: Header=BB6_142 Depth=2
	v_bfe_u32 v89, v18, 24, 3
	s_delay_alu instid0(VALU_DEP_1) | instskip(NEXT) | instid1(VALU_DEP_1)
	v_clz_i32_u32_e32 v90, v89
	v_min_u32_e32 v90, 32, v90
	s_delay_alu instid0(VALU_DEP_1) | instskip(SKIP_1) | instid1(VALU_DEP_2)
	v_subrev_nc_u32_e32 v91, 28, v90
	v_sub_nc_u32_e32 v90, 29, v90
	v_lshlrev_b32_e32 v73, v91, v73
	v_bfe_u32 v91, v18, 27, 4
	v_and_b32_e32 v18, 0x80000000, v18
	s_delay_alu instid0(VALU_DEP_2) | instskip(NEXT) | instid1(VALU_DEP_4)
	v_cmp_eq_u32_e32 vcc_lo, 0, v91
	v_dual_cndmask_b32 v90, v91, v90 :: v_dual_and_b32 v73, 7, v73
	s_delay_alu instid0(VALU_DEP_1) | instskip(NEXT) | instid1(VALU_DEP_2)
	v_cndmask_b32_e32 v73, v89, v73, vcc_lo
	v_lshl_add_u32 v89, v90, 23, 0x3b800000
	s_delay_alu instid0(VALU_DEP_2) | instskip(NEXT) | instid1(VALU_DEP_1)
	v_lshlrev_b32_e32 v73, 20, v73
	v_or3_b32 v89, v18, v89, v73
.LBB6_1231:                             ;   in Loop: Header=BB6_142 Depth=2
	s_or_b32 exec_lo, exec_lo, s25
	s_delay_alu instid0(VALU_DEP_1) | instskip(NEXT) | instid1(VALU_DEP_1)
	v_add_f32_e32 v73, v88, v89
	v_and_b32_e32 v18, 0x7f800000, v73
	s_delay_alu instid0(VALU_DEP_1)
	v_cmp_ne_u32_e32 vcc_lo, 0x7f800000, v18
	v_mov_b32_e32 v18, 0x80
	s_and_saveexec_b32 s25, vcc_lo
	s_cbranch_execz .LBB6_1239
; %bb.1232:                             ;   in Loop: Header=BB6_142 Depth=2
	v_mov_b32_e32 v18, 0
	s_mov_b32 s26, exec_lo
	v_cmpx_ne_u32_e32 0, v73
	s_cbranch_execz .LBB6_1238
; %bb.1233:                             ;   in Loop: Header=BB6_142 Depth=2
	v_bfe_u32 v18, v73, 23, 8
	v_and_b32_e32 v88, 0x7fffff, v73
	s_delay_alu instid0(VALU_DEP_2) | instskip(SKIP_1) | instid1(VALU_DEP_3)
	v_sub_nc_u32_e32 v89, 0x78, v18
	v_cmp_gt_u32_e32 vcc_lo, 0x79, v18
	v_or_b32_e32 v90, 0x800000, v88
	s_delay_alu instid0(VALU_DEP_3) | instskip(SKIP_2) | instid1(VALU_DEP_4)
	v_cndmask_b32_e32 v89, 0, v89, vcc_lo
	v_cmp_eq_u32_e32 vcc_lo, 0, v18
	v_add_nc_u32_e32 v18, 0xffffff89, v18
	v_cndmask_b32_e32 v88, v90, v88, vcc_lo
	s_delay_alu instid0(VALU_DEP_4) | instskip(NEXT) | instid1(VALU_DEP_3)
	v_cndmask_b32_e64 v89, v89, 0x77, vcc_lo
	v_cndmask_b32_e64 v18, v18, 0xffffff8a, vcc_lo
	s_delay_alu instid0(VALU_DEP_2) | instskip(SKIP_2) | instid1(VALU_DEP_4)
	v_lshrrev_b32_e32 v91, v89, v88
	v_lshl_add_u32 v90, 0x100000, v89, -1
	v_lshlrev_b32_e64 v93, v89, 0x80000
	v_add_nc_u32_e32 v89, v89, v18
	s_delay_alu instid0(VALU_DEP_4) | instskip(NEXT) | instid1(VALU_DEP_4)
	v_bfe_u32 v92, v91, 20, 1
	v_and_b32_e32 v88, v90, v88
	s_delay_alu instid0(VALU_DEP_2) | instskip(NEXT) | instid1(VALU_DEP_2)
	v_add_nc_u32_e32 v90, -1, v92
	v_cmp_eq_u32_e64 s11, v88, v93
	s_delay_alu instid0(VALU_DEP_1) | instskip(SKIP_2) | instid1(VALU_DEP_2)
	v_cndmask_b32_e64 v88, 0, v90, s11
	v_lshrrev_b32_e32 v90, 23, v91
	s_mov_b32 s11, exec_lo
	v_add_nc_u32_e32 v88, v88, v91
	s_delay_alu instid0(VALU_DEP_2) | instskip(NEXT) | instid1(VALU_DEP_2)
	v_xor_b32_e32 v90, 1, v90
	v_and_b32_e32 v18, 0xfffff, v88
	s_delay_alu instid0(VALU_DEP_1) | instskip(NEXT) | instid1(VALU_DEP_3)
	v_add_nc_u32_e32 v88, v18, v91
                                        ; implicit-def: $vgpr18
	v_cmpx_ne_u32_e64 v89, v90
	s_xor_b32 s11, exec_lo, s11
; %bb.1234:                             ;   in Loop: Header=BB6_142 Depth=2
	s_delay_alu instid0(VALU_DEP_2) | instskip(SKIP_2) | instid1(VALU_DEP_2)
	v_cmp_lt_u32_e32 vcc_lo, 0xffffff, v88
	v_sub_nc_u32_e32 v18, v89, v90
	v_cndmask_b32_e64 v89, 0, 1, vcc_lo
	v_add_co_ci_u32_e32 v18, vcc_lo, 0, v18, vcc_lo
	s_delay_alu instid0(VALU_DEP_2)
	v_lshrrev_b32_e32 v88, v89, v88
; %bb.1235:                             ;   in Loop: Header=BB6_142 Depth=2
	s_and_not1_saveexec_b32 s11, s11
; %bb.1236:                             ;   in Loop: Header=BB6_142 Depth=2
	s_delay_alu instid0(VALU_DEP_1)
	v_bfe_u32 v18, v88, 23, 1
; %bb.1237:                             ;   in Loop: Header=BB6_142 Depth=2
	s_or_b32 exec_lo, exec_lo, s11
	v_lshrrev_b32_e32 v88, 20, v88
	s_delay_alu instid0(VALU_DEP_2) | instskip(SKIP_2) | instid1(VALU_DEP_2)
	v_cmp_gt_i32_e32 vcc_lo, 16, v18
	v_lshrrev_b32_e32 v73, 24, v73
	v_min_i32_e32 v89, 15, v18
	v_dual_cndmask_b32 v88, 7, v88 :: v_dual_and_b32 v73, 0x80, v73
	s_delay_alu instid0(VALU_DEP_2) | instskip(NEXT) | instid1(VALU_DEP_2)
	v_lshlrev_b32_e32 v89, 3, v89
	v_and_b32_e32 v90, 7, v88
	v_or_b32_e32 v18, v18, v88
	s_delay_alu instid0(VALU_DEP_2) | instskip(NEXT) | instid1(VALU_DEP_2)
	v_or3_b32 v73, v89, v73, v90
	v_cmp_ne_u32_e32 vcc_lo, 0, v18
	s_delay_alu instid0(VALU_DEP_2)
	v_cndmask_b32_e32 v18, 0, v73, vcc_lo
.LBB6_1238:                             ;   in Loop: Header=BB6_142 Depth=2
	s_or_b32 exec_lo, exec_lo, s26
.LBB6_1239:                             ;   in Loop: Header=BB6_142 Depth=2
	s_delay_alu instid0(SALU_CYCLE_1) | instskip(SKIP_3) | instid1(VALU_DEP_1)
	s_or_b32 exec_lo, exec_lo, s25
	v_or_b32_e32 v77, v77, v72
	s_mov_b32 s11, 0
	s_mov_b32 s26, exec_lo
                                        ; implicit-def: $sgpr25
	v_and_b32_e32 v73, 0xff, v77
	s_delay_alu instid0(VALU_DEP_1)
	v_cmpx_lt_i16_e32 0x7f, v73
	s_xor_b32 s26, exec_lo, s26
	s_cbranch_execnz .LBB6_2357
; %bb.1240:                             ;   in Loop: Header=BB6_142 Depth=2
	s_or_saveexec_b32 s26, s26
	v_mov_b32_e32 v72, s25
	s_xor_b32 exec_lo, exec_lo, s26
	s_cbranch_execnz .LBB6_2360
.LBB6_1241:                             ;   in Loop: Header=BB6_142 Depth=2
	s_or_b32 exec_lo, exec_lo, s26
	s_and_saveexec_b32 s25, s11
	s_cbranch_execz .LBB6_1243
.LBB6_1242:                             ;   in Loop: Header=BB6_142 Depth=2
	v_and_b32_e32 v72, 7, v77
	v_bfe_u32 v89, v77, 3, 4
	v_lshlrev_b32_e32 v90, 24, v77
	s_delay_alu instid0(VALU_DEP_3) | instskip(NEXT) | instid1(VALU_DEP_3)
	v_clz_i32_u32_e32 v73, v72
	v_cmp_eq_u32_e32 vcc_lo, 0, v89
	s_delay_alu instid0(VALU_DEP_2) | instskip(NEXT) | instid1(VALU_DEP_1)
	v_min_u32_e32 v73, 32, v73
	v_subrev_nc_u32_e32 v88, 28, v73
	v_sub_nc_u32_e32 v73, 29, v73
	s_delay_alu instid0(VALU_DEP_2) | instskip(NEXT) | instid1(VALU_DEP_1)
	v_lshlrev_b32_e32 v88, v88, v77
	v_dual_cndmask_b32 v73, v89, v73 :: v_dual_and_b32 v88, 7, v88
	s_delay_alu instid0(VALU_DEP_1) | instskip(NEXT) | instid1(VALU_DEP_2)
	v_lshl_add_u32 v73, v73, 23, 0x3b800000
	v_cndmask_b32_e32 v72, v72, v88, vcc_lo
	v_and_b32_e32 v88, 0x80000000, v90
	s_delay_alu instid0(VALU_DEP_2) | instskip(NEXT) | instid1(VALU_DEP_1)
	v_lshlrev_b32_e32 v72, 20, v72
	v_or3_b32 v72, v88, v73, v72
.LBB6_1243:                             ;   in Loop: Header=BB6_142 Depth=2
	s_or_b32 exec_lo, exec_lo, s25
	v_and_b32_e32 v88, 0xff, v19
	s_mov_b32 s11, 0
	s_mov_b32 s26, exec_lo
                                        ; implicit-def: $sgpr25
	s_delay_alu instid0(VALU_DEP_1)
	v_cmpx_lt_i16_e32 0x7f, v88
	s_xor_b32 s26, exec_lo, s26
	s_cbranch_execnz .LBB6_2361
; %bb.1244:                             ;   in Loop: Header=BB6_142 Depth=2
	s_or_saveexec_b32 s26, s26
	v_mov_b32_e32 v73, s25
	s_xor_b32 exec_lo, exec_lo, s26
	s_cbranch_execnz .LBB6_2364
.LBB6_1245:                             ;   in Loop: Header=BB6_142 Depth=2
	s_or_b32 exec_lo, exec_lo, s26
	s_and_saveexec_b32 s25, s11
	s_cbranch_execz .LBB6_1247
.LBB6_1246:                             ;   in Loop: Header=BB6_142 Depth=2
	v_bfe_u32 v90, v19, 3, 4
	v_lshlrev_b32_e32 v91, 24, v19
	s_delay_alu instid0(VALU_DEP_2) | instskip(SKIP_1) | instid1(VALU_DEP_1)
	v_cmp_eq_u32_e32 vcc_lo, 0, v90
	v_and_b32_e32 v73, 7, v19
	v_clz_i32_u32_e32 v88, v73
	s_delay_alu instid0(VALU_DEP_1) | instskip(NEXT) | instid1(VALU_DEP_1)
	v_min_u32_e32 v88, 32, v88
	v_subrev_nc_u32_e32 v89, 28, v88
	v_sub_nc_u32_e32 v88, 29, v88
	s_delay_alu instid0(VALU_DEP_1) | instskip(NEXT) | instid1(VALU_DEP_1)
	v_dual_cndmask_b32 v88, v90, v88 :: v_dual_lshlrev_b32 v89, v89, v19
	v_and_b32_e32 v89, 7, v89
	s_delay_alu instid0(VALU_DEP_2) | instskip(NEXT) | instid1(VALU_DEP_2)
	v_lshl_add_u32 v88, v88, 23, 0x3b800000
	v_cndmask_b32_e32 v73, v73, v89, vcc_lo
	v_and_b32_e32 v89, 0x80000000, v91
	s_delay_alu instid0(VALU_DEP_2) | instskip(NEXT) | instid1(VALU_DEP_1)
	v_lshlrev_b32_e32 v73, 20, v73
	v_or3_b32 v73, v89, v88, v73
.LBB6_1247:                             ;   in Loop: Header=BB6_142 Depth=2
	s_or_b32 exec_lo, exec_lo, s25
	s_delay_alu instid0(VALU_DEP_1) | instskip(NEXT) | instid1(VALU_DEP_1)
	v_add_f32_e32 v73, v72, v73
	v_and_b32_e32 v72, 0x7f800000, v73
	s_delay_alu instid0(VALU_DEP_1)
	v_cmp_ne_u32_e32 vcc_lo, 0x7f800000, v72
	v_mov_b32_e32 v72, 0x80
	s_and_saveexec_b32 s25, vcc_lo
	s_cbranch_execz .LBB6_1255
; %bb.1248:                             ;   in Loop: Header=BB6_142 Depth=2
	v_mov_b32_e32 v72, 0
	s_mov_b32 s26, exec_lo
	v_cmpx_ne_u32_e32 0, v73
	s_cbranch_execz .LBB6_1254
; %bb.1249:                             ;   in Loop: Header=BB6_142 Depth=2
	v_bfe_u32 v72, v73, 23, 8
	v_and_b32_e32 v88, 0x7fffff, v73
	s_delay_alu instid0(VALU_DEP_2) | instskip(SKIP_1) | instid1(VALU_DEP_3)
	v_sub_nc_u32_e32 v89, 0x78, v72
	v_cmp_gt_u32_e32 vcc_lo, 0x79, v72
	v_or_b32_e32 v90, 0x800000, v88
	s_delay_alu instid0(VALU_DEP_3) | instskip(SKIP_2) | instid1(VALU_DEP_4)
	v_cndmask_b32_e32 v89, 0, v89, vcc_lo
	v_cmp_eq_u32_e32 vcc_lo, 0, v72
	v_add_nc_u32_e32 v72, 0xffffff89, v72
	v_cndmask_b32_e32 v88, v90, v88, vcc_lo
	s_delay_alu instid0(VALU_DEP_4) | instskip(NEXT) | instid1(VALU_DEP_3)
	v_cndmask_b32_e64 v89, v89, 0x77, vcc_lo
	v_cndmask_b32_e64 v72, v72, 0xffffff8a, vcc_lo
	s_delay_alu instid0(VALU_DEP_2) | instskip(SKIP_2) | instid1(VALU_DEP_4)
	v_lshrrev_b32_e32 v91, v89, v88
	v_lshl_add_u32 v90, 0x100000, v89, -1
	v_lshlrev_b32_e64 v93, v89, 0x80000
	v_add_nc_u32_e32 v89, v89, v72
	s_delay_alu instid0(VALU_DEP_4) | instskip(NEXT) | instid1(VALU_DEP_4)
	v_bfe_u32 v92, v91, 20, 1
	v_and_b32_e32 v88, v90, v88
	s_delay_alu instid0(VALU_DEP_2) | instskip(NEXT) | instid1(VALU_DEP_2)
	v_add_nc_u32_e32 v90, -1, v92
	v_cmp_eq_u32_e64 s11, v88, v93
	s_delay_alu instid0(VALU_DEP_1) | instskip(SKIP_2) | instid1(VALU_DEP_2)
	v_cndmask_b32_e64 v88, 0, v90, s11
	v_lshrrev_b32_e32 v90, 23, v91
	s_mov_b32 s11, exec_lo
	v_add_nc_u32_e32 v88, v88, v91
	s_delay_alu instid0(VALU_DEP_2) | instskip(NEXT) | instid1(VALU_DEP_2)
	v_xor_b32_e32 v90, 1, v90
	v_and_b32_e32 v72, 0xfffff, v88
	s_delay_alu instid0(VALU_DEP_1) | instskip(NEXT) | instid1(VALU_DEP_3)
	v_add_nc_u32_e32 v88, v72, v91
                                        ; implicit-def: $vgpr72
	v_cmpx_ne_u32_e64 v89, v90
	s_xor_b32 s11, exec_lo, s11
; %bb.1250:                             ;   in Loop: Header=BB6_142 Depth=2
	s_delay_alu instid0(VALU_DEP_2) | instskip(SKIP_2) | instid1(VALU_DEP_2)
	v_cmp_lt_u32_e32 vcc_lo, 0xffffff, v88
	v_sub_nc_u32_e32 v72, v89, v90
	v_cndmask_b32_e64 v89, 0, 1, vcc_lo
	v_add_co_ci_u32_e32 v72, vcc_lo, 0, v72, vcc_lo
	s_delay_alu instid0(VALU_DEP_2)
	v_lshrrev_b32_e32 v88, v89, v88
; %bb.1251:                             ;   in Loop: Header=BB6_142 Depth=2
	s_and_not1_saveexec_b32 s11, s11
; %bb.1252:                             ;   in Loop: Header=BB6_142 Depth=2
	s_delay_alu instid0(VALU_DEP_1)
	v_bfe_u32 v72, v88, 23, 1
; %bb.1253:                             ;   in Loop: Header=BB6_142 Depth=2
	s_or_b32 exec_lo, exec_lo, s11
	v_lshrrev_b32_e32 v88, 20, v88
	s_delay_alu instid0(VALU_DEP_2) | instskip(SKIP_2) | instid1(VALU_DEP_2)
	v_cmp_gt_i32_e32 vcc_lo, 16, v72
	v_lshrrev_b32_e32 v73, 24, v73
	v_min_i32_e32 v89, 15, v72
	v_dual_cndmask_b32 v88, 7, v88 :: v_dual_and_b32 v73, 0x80, v73
	s_delay_alu instid0(VALU_DEP_2) | instskip(NEXT) | instid1(VALU_DEP_2)
	v_lshlrev_b32_e32 v89, 3, v89
	v_and_b32_e32 v90, 7, v88
	v_or_b32_e32 v72, v72, v88
	s_delay_alu instid0(VALU_DEP_2) | instskip(NEXT) | instid1(VALU_DEP_2)
	v_or3_b32 v73, v89, v73, v90
	v_cmp_ne_u32_e32 vcc_lo, 0, v72
	s_delay_alu instid0(VALU_DEP_2)
	v_cndmask_b32_e32 v72, 0, v73, vcc_lo
.LBB6_1254:                             ;   in Loop: Header=BB6_142 Depth=2
	s_or_b32 exec_lo, exec_lo, s26
.LBB6_1255:                             ;   in Loop: Header=BB6_142 Depth=2
	s_delay_alu instid0(SALU_CYCLE_1) | instskip(SKIP_3) | instid1(VALU_DEP_1)
	s_or_b32 exec_lo, exec_lo, s25
	v_lshrrev_b16 v88, 8, v77
	s_mov_b32 s11, 0
	s_mov_b32 s26, exec_lo
                                        ; implicit-def: $sgpr25
	v_cmpx_lt_i16_e32 0x7f, v88
	s_xor_b32 s26, exec_lo, s26
	s_cbranch_execnz .LBB6_2365
; %bb.1256:                             ;   in Loop: Header=BB6_142 Depth=2
	s_or_saveexec_b32 s26, s26
	v_mov_b32_e32 v73, s25
	s_xor_b32 exec_lo, exec_lo, s26
	s_cbranch_execnz .LBB6_2368
.LBB6_1257:                             ;   in Loop: Header=BB6_142 Depth=2
	s_or_b32 exec_lo, exec_lo, s26
	s_and_saveexec_b32 s25, s11
	s_cbranch_execz .LBB6_1259
.LBB6_1258:                             ;   in Loop: Header=BB6_142 Depth=2
	v_and_b32_e32 v73, 0xffff, v88
	s_delay_alu instid0(VALU_DEP_1) | instskip(NEXT) | instid1(VALU_DEP_1)
	v_and_b32_e32 v89, 7, v73
	v_clz_i32_u32_e32 v90, v89
	s_delay_alu instid0(VALU_DEP_1) | instskip(NEXT) | instid1(VALU_DEP_1)
	v_min_u32_e32 v90, 32, v90
	v_subrev_nc_u32_e32 v91, 28, v90
	v_sub_nc_u32_e32 v90, 29, v90
	s_delay_alu instid0(VALU_DEP_2) | instskip(SKIP_1) | instid1(VALU_DEP_2)
	v_lshlrev_b32_e32 v91, v91, v73
	v_bfe_u32 v73, v73, 3, 4
	v_and_b32_e32 v91, 7, v91
	s_delay_alu instid0(VALU_DEP_2) | instskip(SKIP_1) | instid1(VALU_DEP_1)
	v_cmp_eq_u32_e32 vcc_lo, 0, v73
	v_dual_cndmask_b32 v73, v73, v90 :: v_dual_lshlrev_b32 v88, 24, v88
	v_dual_cndmask_b32 v89, v89, v91 :: v_dual_and_b32 v88, 0x80000000, v88
	s_delay_alu instid0(VALU_DEP_2) | instskip(NEXT) | instid1(VALU_DEP_2)
	v_lshl_add_u32 v73, v73, 23, 0x3b800000
	v_lshlrev_b32_e32 v89, 20, v89
	s_delay_alu instid0(VALU_DEP_1)
	v_or3_b32 v73, v88, v73, v89
.LBB6_1259:                             ;   in Loop: Header=BB6_142 Depth=2
	s_or_b32 exec_lo, exec_lo, s25
	v_lshrrev_b16 v88, 8, v19
	s_mov_b32 s11, 0
	s_mov_b32 s26, exec_lo
                                        ; implicit-def: $sgpr25
	s_delay_alu instid0(VALU_DEP_1)
	v_cmpx_lt_i16_e32 0x7f, v88
	s_xor_b32 s26, exec_lo, s26
	s_cbranch_execnz .LBB6_2369
; %bb.1260:                             ;   in Loop: Header=BB6_142 Depth=2
	s_or_saveexec_b32 s26, s26
	v_mov_b32_e32 v89, s25
	s_xor_b32 exec_lo, exec_lo, s26
	s_cbranch_execnz .LBB6_2372
.LBB6_1261:                             ;   in Loop: Header=BB6_142 Depth=2
	s_or_b32 exec_lo, exec_lo, s26
	s_and_saveexec_b32 s25, s11
	s_cbranch_execz .LBB6_1263
.LBB6_1262:                             ;   in Loop: Header=BB6_142 Depth=2
	v_and_b32_e32 v89, 0xffff, v88
	v_lshlrev_b32_e32 v88, 24, v88
	s_delay_alu instid0(VALU_DEP_2) | instskip(NEXT) | instid1(VALU_DEP_2)
	v_and_b32_e32 v90, 7, v89
	v_and_b32_e32 v88, 0x80000000, v88
	s_delay_alu instid0(VALU_DEP_2) | instskip(NEXT) | instid1(VALU_DEP_1)
	v_clz_i32_u32_e32 v91, v90
	v_min_u32_e32 v91, 32, v91
	s_delay_alu instid0(VALU_DEP_1) | instskip(SKIP_1) | instid1(VALU_DEP_2)
	v_subrev_nc_u32_e32 v92, 28, v91
	v_sub_nc_u32_e32 v91, 29, v91
	v_lshlrev_b32_e32 v92, v92, v89
	v_bfe_u32 v89, v89, 3, 4
	s_delay_alu instid0(VALU_DEP_2) | instskip(NEXT) | instid1(VALU_DEP_2)
	v_and_b32_e32 v92, 7, v92
	v_cmp_eq_u32_e32 vcc_lo, 0, v89
	s_delay_alu instid0(VALU_DEP_2) | instskip(NEXT) | instid1(VALU_DEP_1)
	v_dual_cndmask_b32 v89, v89, v91 :: v_dual_cndmask_b32 v90, v90, v92
	v_lshl_add_u32 v89, v89, 23, 0x3b800000
	s_delay_alu instid0(VALU_DEP_2) | instskip(NEXT) | instid1(VALU_DEP_1)
	v_lshlrev_b32_e32 v90, 20, v90
	v_or3_b32 v89, v88, v89, v90
.LBB6_1263:                             ;   in Loop: Header=BB6_142 Depth=2
	s_or_b32 exec_lo, exec_lo, s25
	s_delay_alu instid0(VALU_DEP_1) | instskip(NEXT) | instid1(VALU_DEP_1)
	v_add_f32_e32 v88, v73, v89
	v_and_b32_e32 v73, 0x7f800000, v88
	s_delay_alu instid0(VALU_DEP_1)
	v_cmp_ne_u32_e32 vcc_lo, 0x7f800000, v73
	v_mov_b32_e32 v73, 0x8000
	s_and_saveexec_b32 s25, vcc_lo
	s_cbranch_execz .LBB6_1271
; %bb.1264:                             ;   in Loop: Header=BB6_142 Depth=2
	v_mov_b32_e32 v73, 0
	s_mov_b32 s26, exec_lo
	v_cmpx_ne_u32_e32 0, v88
	s_cbranch_execz .LBB6_1270
; %bb.1265:                             ;   in Loop: Header=BB6_142 Depth=2
	v_bfe_u32 v73, v88, 23, 8
	s_delay_alu instid0(VALU_DEP_1) | instskip(SKIP_1) | instid1(VALU_DEP_2)
	v_sub_nc_u32_e32 v90, 0x78, v73
	v_cmp_gt_u32_e32 vcc_lo, 0x79, v73
	v_dual_cndmask_b32 v90, 0, v90 :: v_dual_and_b32 v89, 0x7fffff, v88
	s_delay_alu instid0(VALU_DEP_1) | instskip(SKIP_2) | instid1(VALU_DEP_4)
	v_or_b32_e32 v91, 0x800000, v89
	v_cmp_eq_u32_e32 vcc_lo, 0, v73
	v_add_nc_u32_e32 v73, 0xffffff89, v73
	v_cndmask_b32_e64 v90, v90, 0x77, vcc_lo
	s_delay_alu instid0(VALU_DEP_4) | instskip(NEXT) | instid1(VALU_DEP_3)
	v_cndmask_b32_e32 v89, v91, v89, vcc_lo
	v_cndmask_b32_e64 v73, v73, 0xffffff8a, vcc_lo
	s_delay_alu instid0(VALU_DEP_3) | instskip(NEXT) | instid1(VALU_DEP_3)
	v_lshl_add_u32 v91, 0x100000, v90, -1
	v_lshrrev_b32_e32 v92, v90, v89
	v_lshlrev_b32_e64 v94, v90, 0x80000
	s_delay_alu instid0(VALU_DEP_4) | instskip(NEXT) | instid1(VALU_DEP_4)
	v_add_nc_u32_e32 v90, v90, v73
	v_and_b32_e32 v89, v91, v89
	s_delay_alu instid0(VALU_DEP_4) | instskip(NEXT) | instid1(VALU_DEP_2)
	v_bfe_u32 v93, v92, 20, 1
	v_cmp_eq_u32_e64 s11, v89, v94
	s_delay_alu instid0(VALU_DEP_2) | instskip(NEXT) | instid1(VALU_DEP_1)
	v_add_nc_u32_e32 v91, -1, v93
	v_cndmask_b32_e64 v89, 0, v91, s11
	v_lshrrev_b32_e32 v91, 23, v92
	s_mov_b32 s11, exec_lo
	s_delay_alu instid0(VALU_DEP_2) | instskip(NEXT) | instid1(VALU_DEP_2)
	v_add_nc_u32_e32 v89, v89, v92
	v_xor_b32_e32 v91, 1, v91
	s_delay_alu instid0(VALU_DEP_2) | instskip(NEXT) | instid1(VALU_DEP_1)
	v_and_b32_e32 v73, 0xfffff, v89
	v_add_nc_u32_e32 v89, v73, v92
                                        ; implicit-def: $vgpr73
	s_delay_alu instid0(VALU_DEP_3)
	v_cmpx_ne_u32_e64 v90, v91
	s_xor_b32 s11, exec_lo, s11
; %bb.1266:                             ;   in Loop: Header=BB6_142 Depth=2
	s_delay_alu instid0(VALU_DEP_2) | instskip(SKIP_2) | instid1(VALU_DEP_2)
	v_cmp_lt_u32_e32 vcc_lo, 0xffffff, v89
	v_sub_nc_u32_e32 v73, v90, v91
	v_cndmask_b32_e64 v90, 0, 1, vcc_lo
	v_add_co_ci_u32_e32 v73, vcc_lo, 0, v73, vcc_lo
	s_delay_alu instid0(VALU_DEP_2)
	v_lshrrev_b32_e32 v89, v90, v89
; %bb.1267:                             ;   in Loop: Header=BB6_142 Depth=2
	s_and_not1_saveexec_b32 s11, s11
; %bb.1268:                             ;   in Loop: Header=BB6_142 Depth=2
	s_delay_alu instid0(VALU_DEP_1)
	v_bfe_u32 v73, v89, 23, 1
; %bb.1269:                             ;   in Loop: Header=BB6_142 Depth=2
	s_or_b32 exec_lo, exec_lo, s11
	v_lshrrev_b32_e32 v89, 20, v89
	s_delay_alu instid0(VALU_DEP_2) | instskip(SKIP_2) | instid1(VALU_DEP_2)
	v_cmp_gt_i32_e32 vcc_lo, 16, v73
	v_min_i32_e32 v90, 15, v73
	v_lshrrev_b32_e32 v88, 24, v88
	v_dual_cndmask_b32 v89, 7, v89 :: v_dual_lshlrev_b32 v90, 3, v90
	s_delay_alu instid0(VALU_DEP_2) | instskip(NEXT) | instid1(VALU_DEP_2)
	v_and_b32_e32 v88, 0x80, v88
	v_or_b32_e32 v73, v73, v89
	v_and_b32_e32 v91, 7, v89
	s_delay_alu instid0(VALU_DEP_2) | instskip(SKIP_1) | instid1(VALU_DEP_1)
	v_cmp_ne_u32_e32 vcc_lo, 0, v73
	v_and_b32_e32 v90, 0xf8, v90
	v_or3_b32 v88, v88, v90, v91
	s_delay_alu instid0(VALU_DEP_1) | instskip(NEXT) | instid1(VALU_DEP_1)
	v_lshlrev_b32_e32 v88, 8, v88
	v_cndmask_b32_e32 v73, 0, v88, vcc_lo
.LBB6_1270:                             ;   in Loop: Header=BB6_142 Depth=2
	s_or_b32 exec_lo, exec_lo, s26
.LBB6_1271:                             ;   in Loop: Header=BB6_142 Depth=2
	s_delay_alu instid0(SALU_CYCLE_1) | instskip(SKIP_3) | instid1(VALU_DEP_1)
	s_or_b32 exec_lo, exec_lo, s25
	v_or_b32_e32 v74, v74, v62
	s_mov_b32 s11, 0
	s_mov_b32 s26, exec_lo
                                        ; implicit-def: $sgpr25
	v_and_b32_e32 v88, 0xff, v74
	s_delay_alu instid0(VALU_DEP_1)
	v_cmpx_lt_i16_e32 0x7f, v88
	s_xor_b32 s26, exec_lo, s26
	s_cbranch_execnz .LBB6_2373
; %bb.1272:                             ;   in Loop: Header=BB6_142 Depth=2
	s_or_saveexec_b32 s26, s26
	v_mov_b32_e32 v62, s25
	s_xor_b32 exec_lo, exec_lo, s26
	s_cbranch_execnz .LBB6_2376
.LBB6_1273:                             ;   in Loop: Header=BB6_142 Depth=2
	s_or_b32 exec_lo, exec_lo, s26
	v_lshl_or_b32 v74, v74, 16, v77
	s_and_saveexec_b32 s25, s11
	s_cbranch_execz .LBB6_1275
.LBB6_1274:                             ;   in Loop: Header=BB6_142 Depth=2
	s_delay_alu instid0(VALU_DEP_1) | instskip(SKIP_2) | instid1(VALU_DEP_3)
	v_bfe_u32 v62, v74, 16, 3
	v_lshrrev_b32_e32 v88, 16, v74
	v_lshlrev_b32_e32 v90, 8, v74
	v_clz_i32_u32_e32 v77, v62
	s_delay_alu instid0(VALU_DEP_1) | instskip(NEXT) | instid1(VALU_DEP_1)
	v_min_u32_e32 v77, 32, v77
	v_subrev_nc_u32_e32 v89, 28, v77
	v_sub_nc_u32_e32 v77, 29, v77
	s_delay_alu instid0(VALU_DEP_2) | instskip(SKIP_1) | instid1(VALU_DEP_1)
	v_lshlrev_b32_e32 v88, v89, v88
	v_bfe_u32 v89, v74, 19, 4
	v_cmp_eq_u32_e32 vcc_lo, 0, v89
	s_delay_alu instid0(VALU_DEP_3) | instskip(NEXT) | instid1(VALU_DEP_1)
	v_dual_cndmask_b32 v77, v89, v77 :: v_dual_and_b32 v88, 7, v88
	v_cndmask_b32_e32 v62, v62, v88, vcc_lo
	v_and_b32_e32 v88, 0x80000000, v90
	s_delay_alu instid0(VALU_DEP_3) | instskip(NEXT) | instid1(VALU_DEP_3)
	v_lshl_add_u32 v77, v77, 23, 0x3b800000
	v_lshlrev_b32_e32 v62, 20, v62
	s_delay_alu instid0(VALU_DEP_1)
	v_or3_b32 v62, v88, v77, v62
.LBB6_1275:                             ;   in Loop: Header=BB6_142 Depth=2
	s_or_b32 exec_lo, exec_lo, s25
	v_lshrrev_b32_e32 v77, 16, v19
	s_mov_b32 s11, 0
	s_mov_b32 s26, exec_lo
                                        ; implicit-def: $sgpr25
	s_delay_alu instid0(VALU_DEP_1) | instskip(NEXT) | instid1(VALU_DEP_1)
	v_and_b32_e32 v89, 0xff, v77
	v_cmpx_lt_i16_e32 0x7f, v89
	s_xor_b32 s26, exec_lo, s26
	s_cbranch_execnz .LBB6_2377
; %bb.1276:                             ;   in Loop: Header=BB6_142 Depth=2
	s_or_saveexec_b32 s26, s26
	v_mov_b32_e32 v88, s25
	s_xor_b32 exec_lo, exec_lo, s26
	s_cbranch_execnz .LBB6_2380
.LBB6_1277:                             ;   in Loop: Header=BB6_142 Depth=2
	s_or_b32 exec_lo, exec_lo, s26
	s_and_saveexec_b32 s25, s11
	s_cbranch_execz .LBB6_1279
.LBB6_1278:                             ;   in Loop: Header=BB6_142 Depth=2
	v_bfe_u32 v88, v19, 16, 3
	v_lshlrev_b32_e32 v91, 8, v19
	s_delay_alu instid0(VALU_DEP_2) | instskip(NEXT) | instid1(VALU_DEP_1)
	v_clz_i32_u32_e32 v89, v88
	v_min_u32_e32 v89, 32, v89
	s_delay_alu instid0(VALU_DEP_1) | instskip(SKIP_1) | instid1(VALU_DEP_2)
	v_subrev_nc_u32_e32 v90, 28, v89
	v_sub_nc_u32_e32 v89, 29, v89
	v_lshlrev_b32_e32 v77, v90, v77
	v_bfe_u32 v90, v19, 19, 4
	s_delay_alu instid0(VALU_DEP_2) | instskip(NEXT) | instid1(VALU_DEP_2)
	v_and_b32_e32 v77, 7, v77
	v_cmp_eq_u32_e32 vcc_lo, 0, v90
	v_cndmask_b32_e32 v89, v90, v89, vcc_lo
	s_delay_alu instid0(VALU_DEP_3) | instskip(NEXT) | instid1(VALU_DEP_2)
	v_dual_cndmask_b32 v77, v88, v77 :: v_dual_and_b32 v88, 0x80000000, v91
	v_lshl_add_u32 v89, v89, 23, 0x3b800000
	s_delay_alu instid0(VALU_DEP_2) | instskip(NEXT) | instid1(VALU_DEP_1)
	v_lshlrev_b32_e32 v77, 20, v77
	v_or3_b32 v88, v88, v89, v77
.LBB6_1279:                             ;   in Loop: Header=BB6_142 Depth=2
	s_or_b32 exec_lo, exec_lo, s25
	s_delay_alu instid0(VALU_DEP_1) | instskip(NEXT) | instid1(VALU_DEP_1)
	v_add_f32_e32 v77, v62, v88
	v_and_b32_e32 v62, 0x7f800000, v77
	s_delay_alu instid0(VALU_DEP_1)
	v_cmp_ne_u32_e32 vcc_lo, 0x7f800000, v62
	v_mov_b32_e32 v62, 0x80
	s_and_saveexec_b32 s25, vcc_lo
	s_cbranch_execz .LBB6_1287
; %bb.1280:                             ;   in Loop: Header=BB6_142 Depth=2
	v_mov_b32_e32 v62, 0
	s_mov_b32 s26, exec_lo
	v_cmpx_ne_u32_e32 0, v77
	s_cbranch_execz .LBB6_1286
; %bb.1281:                             ;   in Loop: Header=BB6_142 Depth=2
	v_bfe_u32 v62, v77, 23, 8
	v_and_b32_e32 v88, 0x7fffff, v77
	s_delay_alu instid0(VALU_DEP_2) | instskip(SKIP_1) | instid1(VALU_DEP_3)
	v_sub_nc_u32_e32 v89, 0x78, v62
	v_cmp_gt_u32_e32 vcc_lo, 0x79, v62
	v_or_b32_e32 v90, 0x800000, v88
	s_delay_alu instid0(VALU_DEP_3) | instskip(SKIP_2) | instid1(VALU_DEP_4)
	v_cndmask_b32_e32 v89, 0, v89, vcc_lo
	v_cmp_eq_u32_e32 vcc_lo, 0, v62
	v_add_nc_u32_e32 v62, 0xffffff89, v62
	v_cndmask_b32_e32 v88, v90, v88, vcc_lo
	s_delay_alu instid0(VALU_DEP_4) | instskip(NEXT) | instid1(VALU_DEP_3)
	v_cndmask_b32_e64 v89, v89, 0x77, vcc_lo
	v_cndmask_b32_e64 v62, v62, 0xffffff8a, vcc_lo
	s_delay_alu instid0(VALU_DEP_2) | instskip(SKIP_2) | instid1(VALU_DEP_4)
	v_lshrrev_b32_e32 v91, v89, v88
	v_lshl_add_u32 v90, 0x100000, v89, -1
	v_lshlrev_b32_e64 v93, v89, 0x80000
	v_add_nc_u32_e32 v89, v89, v62
	s_delay_alu instid0(VALU_DEP_4) | instskip(NEXT) | instid1(VALU_DEP_4)
	v_bfe_u32 v92, v91, 20, 1
	v_and_b32_e32 v88, v90, v88
	s_delay_alu instid0(VALU_DEP_2) | instskip(NEXT) | instid1(VALU_DEP_2)
	v_add_nc_u32_e32 v90, -1, v92
	v_cmp_eq_u32_e64 s11, v88, v93
	s_delay_alu instid0(VALU_DEP_1) | instskip(SKIP_2) | instid1(VALU_DEP_2)
	v_cndmask_b32_e64 v88, 0, v90, s11
	v_lshrrev_b32_e32 v90, 23, v91
	s_mov_b32 s11, exec_lo
	v_add_nc_u32_e32 v88, v88, v91
	s_delay_alu instid0(VALU_DEP_2) | instskip(NEXT) | instid1(VALU_DEP_2)
	v_xor_b32_e32 v90, 1, v90
	v_and_b32_e32 v62, 0xfffff, v88
	s_delay_alu instid0(VALU_DEP_1) | instskip(NEXT) | instid1(VALU_DEP_3)
	v_add_nc_u32_e32 v88, v62, v91
                                        ; implicit-def: $vgpr62
	v_cmpx_ne_u32_e64 v89, v90
	s_xor_b32 s11, exec_lo, s11
; %bb.1282:                             ;   in Loop: Header=BB6_142 Depth=2
	s_delay_alu instid0(VALU_DEP_2) | instskip(SKIP_2) | instid1(VALU_DEP_2)
	v_cmp_lt_u32_e32 vcc_lo, 0xffffff, v88
	v_sub_nc_u32_e32 v62, v89, v90
	v_cndmask_b32_e64 v89, 0, 1, vcc_lo
	v_add_co_ci_u32_e32 v62, vcc_lo, 0, v62, vcc_lo
	s_delay_alu instid0(VALU_DEP_2)
	v_lshrrev_b32_e32 v88, v89, v88
; %bb.1283:                             ;   in Loop: Header=BB6_142 Depth=2
	s_and_not1_saveexec_b32 s11, s11
; %bb.1284:                             ;   in Loop: Header=BB6_142 Depth=2
	s_delay_alu instid0(VALU_DEP_1)
	v_bfe_u32 v62, v88, 23, 1
; %bb.1285:                             ;   in Loop: Header=BB6_142 Depth=2
	s_or_b32 exec_lo, exec_lo, s11
	v_lshrrev_b32_e32 v88, 20, v88
	s_delay_alu instid0(VALU_DEP_2) | instskip(SKIP_2) | instid1(VALU_DEP_3)
	v_min_i32_e32 v89, 15, v62
	v_cmp_gt_i32_e32 vcc_lo, 16, v62
	v_lshrrev_b32_e32 v77, 24, v77
	v_dual_cndmask_b32 v88, 7, v88 :: v_dual_lshlrev_b32 v89, 3, v89
	s_delay_alu instid0(VALU_DEP_2) | instskip(NEXT) | instid1(VALU_DEP_2)
	v_and_b32_e32 v77, 0x80, v77
	v_and_b32_e32 v89, 0xf8, v89
	s_delay_alu instid0(VALU_DEP_3) | instskip(SKIP_1) | instid1(VALU_DEP_2)
	v_and_b32_e32 v90, 7, v88
	v_or_b32_e32 v62, v62, v88
	v_or3_b32 v77, v89, v77, v90
	s_delay_alu instid0(VALU_DEP_2) | instskip(NEXT) | instid1(VALU_DEP_2)
	v_cmp_ne_u32_e32 vcc_lo, 0, v62
	v_cndmask_b32_e32 v62, 0, v77, vcc_lo
.LBB6_1286:                             ;   in Loop: Header=BB6_142 Depth=2
	s_or_b32 exec_lo, exec_lo, s26
.LBB6_1287:                             ;   in Loop: Header=BB6_142 Depth=2
	s_delay_alu instid0(SALU_CYCLE_1) | instskip(SKIP_3) | instid1(VALU_DEP_1)
	s_or_b32 exec_lo, exec_lo, s25
	v_lshrrev_b32_e32 v88, 24, v74
	s_mov_b32 s11, 0
	s_mov_b32 s26, exec_lo
                                        ; implicit-def: $sgpr25
	v_cmpx_lt_i16_e32 0x7f, v88
	s_xor_b32 s26, exec_lo, s26
	s_cbranch_execnz .LBB6_2381
; %bb.1288:                             ;   in Loop: Header=BB6_142 Depth=2
	s_or_saveexec_b32 s26, s26
	v_mov_b32_e32 v77, s25
	s_xor_b32 exec_lo, exec_lo, s26
	s_cbranch_execnz .LBB6_2384
.LBB6_1289:                             ;   in Loop: Header=BB6_142 Depth=2
	s_or_b32 exec_lo, exec_lo, s26
	s_and_saveexec_b32 s25, s11
	s_cbranch_execz .LBB6_1291
.LBB6_1290:                             ;   in Loop: Header=BB6_142 Depth=2
	v_bfe_u32 v77, v74, 24, 3
	s_delay_alu instid0(VALU_DEP_1) | instskip(NEXT) | instid1(VALU_DEP_1)
	v_clz_i32_u32_e32 v89, v77
	v_min_u32_e32 v89, 32, v89
	s_delay_alu instid0(VALU_DEP_1) | instskip(SKIP_1) | instid1(VALU_DEP_2)
	v_subrev_nc_u32_e32 v90, 28, v89
	v_sub_nc_u32_e32 v89, 29, v89
	v_lshlrev_b32_e32 v88, v90, v88
	v_bfe_u32 v90, v74, 27, 4
	v_and_b32_e32 v74, 0x80000000, v74
	s_delay_alu instid0(VALU_DEP_2) | instskip(NEXT) | instid1(VALU_DEP_4)
	v_cmp_eq_u32_e32 vcc_lo, 0, v90
	v_dual_cndmask_b32 v89, v90, v89 :: v_dual_and_b32 v88, 7, v88
	s_delay_alu instid0(VALU_DEP_1) | instskip(NEXT) | instid1(VALU_DEP_2)
	v_cndmask_b32_e32 v77, v77, v88, vcc_lo
	v_lshl_add_u32 v88, v89, 23, 0x3b800000
	s_delay_alu instid0(VALU_DEP_2) | instskip(NEXT) | instid1(VALU_DEP_1)
	v_lshlrev_b32_e32 v77, 20, v77
	v_or3_b32 v77, v74, v88, v77
.LBB6_1291:                             ;   in Loop: Header=BB6_142 Depth=2
	s_or_b32 exec_lo, exec_lo, s25
	v_lshrrev_b32_e32 v74, 24, v19
	s_mov_b32 s11, 0
	s_mov_b32 s26, exec_lo
                                        ; implicit-def: $sgpr25
	s_delay_alu instid0(VALU_DEP_1)
	v_cmpx_lt_i16_e32 0x7f, v74
	s_xor_b32 s26, exec_lo, s26
	s_cbranch_execnz .LBB6_2385
; %bb.1292:                             ;   in Loop: Header=BB6_142 Depth=2
	s_or_saveexec_b32 s26, s26
	v_mov_b32_e32 v88, s25
	s_xor_b32 exec_lo, exec_lo, s26
	s_cbranch_execnz .LBB6_2388
.LBB6_1293:                             ;   in Loop: Header=BB6_142 Depth=2
	s_or_b32 exec_lo, exec_lo, s26
	s_and_saveexec_b32 s25, s11
	s_cbranch_execz .LBB6_1295
.LBB6_1294:                             ;   in Loop: Header=BB6_142 Depth=2
	v_bfe_u32 v88, v19, 24, 3
	s_delay_alu instid0(VALU_DEP_1) | instskip(NEXT) | instid1(VALU_DEP_1)
	v_clz_i32_u32_e32 v89, v88
	v_min_u32_e32 v89, 32, v89
	s_delay_alu instid0(VALU_DEP_1) | instskip(SKIP_1) | instid1(VALU_DEP_2)
	v_subrev_nc_u32_e32 v90, 28, v89
	v_sub_nc_u32_e32 v89, 29, v89
	v_lshlrev_b32_e32 v74, v90, v74
	v_bfe_u32 v90, v19, 27, 4
	v_and_b32_e32 v19, 0x80000000, v19
	s_delay_alu instid0(VALU_DEP_2) | instskip(NEXT) | instid1(VALU_DEP_4)
	v_cmp_eq_u32_e32 vcc_lo, 0, v90
	v_dual_cndmask_b32 v89, v90, v89 :: v_dual_and_b32 v74, 7, v74
	s_delay_alu instid0(VALU_DEP_1) | instskip(NEXT) | instid1(VALU_DEP_2)
	v_cndmask_b32_e32 v74, v88, v74, vcc_lo
	v_lshl_add_u32 v88, v89, 23, 0x3b800000
	s_delay_alu instid0(VALU_DEP_2) | instskip(NEXT) | instid1(VALU_DEP_1)
	v_lshlrev_b32_e32 v74, 20, v74
	v_or3_b32 v88, v19, v88, v74
.LBB6_1295:                             ;   in Loop: Header=BB6_142 Depth=2
	s_or_b32 exec_lo, exec_lo, s25
	s_delay_alu instid0(VALU_DEP_1) | instskip(NEXT) | instid1(VALU_DEP_1)
	v_add_f32_e32 v74, v77, v88
	v_and_b32_e32 v19, 0x7f800000, v74
	s_delay_alu instid0(VALU_DEP_1)
	v_cmp_ne_u32_e32 vcc_lo, 0x7f800000, v19
	v_mov_b32_e32 v19, 0x8000
	s_and_saveexec_b32 s25, vcc_lo
	s_cbranch_execz .LBB6_1303
; %bb.1296:                             ;   in Loop: Header=BB6_142 Depth=2
	v_mov_b32_e32 v19, 0
	s_mov_b32 s26, exec_lo
	v_cmpx_ne_u32_e32 0, v74
	s_cbranch_execz .LBB6_1302
; %bb.1297:                             ;   in Loop: Header=BB6_142 Depth=2
	v_bfe_u32 v19, v74, 23, 8
	s_delay_alu instid0(VALU_DEP_1) | instskip(SKIP_1) | instid1(VALU_DEP_2)
	v_sub_nc_u32_e32 v88, 0x78, v19
	v_cmp_gt_u32_e32 vcc_lo, 0x79, v19
	v_dual_cndmask_b32 v88, 0, v88 :: v_dual_and_b32 v77, 0x7fffff, v74
	s_delay_alu instid0(VALU_DEP_1) | instskip(SKIP_2) | instid1(VALU_DEP_4)
	v_or_b32_e32 v89, 0x800000, v77
	v_cmp_eq_u32_e32 vcc_lo, 0, v19
	v_add_nc_u32_e32 v19, 0xffffff89, v19
	v_cndmask_b32_e64 v88, v88, 0x77, vcc_lo
	s_delay_alu instid0(VALU_DEP_2) | instskip(SKIP_1) | instid1(VALU_DEP_3)
	v_cndmask_b32_e64 v19, v19, 0xffffff8a, vcc_lo
	v_cndmask_b32_e32 v77, v89, v77, vcc_lo
	v_lshl_add_u32 v89, 0x100000, v88, -1
	v_lshlrev_b32_e64 v92, v88, 0x80000
	s_delay_alu instid0(VALU_DEP_3) | instskip(SKIP_1) | instid1(VALU_DEP_4)
	v_lshrrev_b32_e32 v90, v88, v77
	v_add_nc_u32_e32 v88, v88, v19
	v_and_b32_e32 v77, v89, v77
	s_delay_alu instid0(VALU_DEP_3) | instskip(NEXT) | instid1(VALU_DEP_2)
	v_bfe_u32 v91, v90, 20, 1
	v_cmp_eq_u32_e64 s11, v77, v92
	s_delay_alu instid0(VALU_DEP_2) | instskip(NEXT) | instid1(VALU_DEP_1)
	v_add_nc_u32_e32 v89, -1, v91
	v_cndmask_b32_e64 v77, 0, v89, s11
	v_lshrrev_b32_e32 v89, 23, v90
	s_mov_b32 s11, exec_lo
	s_delay_alu instid0(VALU_DEP_2) | instskip(NEXT) | instid1(VALU_DEP_2)
	v_add_nc_u32_e32 v77, v77, v90
	v_xor_b32_e32 v89, 1, v89
	s_delay_alu instid0(VALU_DEP_2) | instskip(NEXT) | instid1(VALU_DEP_1)
	v_and_b32_e32 v19, 0xfffff, v77
	v_add_nc_u32_e32 v77, v19, v90
                                        ; implicit-def: $vgpr19
	s_delay_alu instid0(VALU_DEP_3)
	v_cmpx_ne_u32_e64 v88, v89
	s_xor_b32 s11, exec_lo, s11
; %bb.1298:                             ;   in Loop: Header=BB6_142 Depth=2
	s_delay_alu instid0(VALU_DEP_2) | instskip(SKIP_2) | instid1(VALU_DEP_2)
	v_cmp_lt_u32_e32 vcc_lo, 0xffffff, v77
	v_sub_nc_u32_e32 v19, v88, v89
	v_cndmask_b32_e64 v88, 0, 1, vcc_lo
	v_add_co_ci_u32_e32 v19, vcc_lo, 0, v19, vcc_lo
	s_delay_alu instid0(VALU_DEP_2)
	v_lshrrev_b32_e32 v77, v88, v77
; %bb.1299:                             ;   in Loop: Header=BB6_142 Depth=2
	s_and_not1_saveexec_b32 s11, s11
; %bb.1300:                             ;   in Loop: Header=BB6_142 Depth=2
	s_delay_alu instid0(VALU_DEP_1)
	v_bfe_u32 v19, v77, 23, 1
; %bb.1301:                             ;   in Loop: Header=BB6_142 Depth=2
	s_or_b32 exec_lo, exec_lo, s11
	v_lshrrev_b32_e32 v77, 20, v77
	s_delay_alu instid0(VALU_DEP_2) | instskip(SKIP_2) | instid1(VALU_DEP_2)
	v_cmp_gt_i32_e32 vcc_lo, 16, v19
	v_min_i32_e32 v88, 15, v19
	v_lshrrev_b32_e32 v74, 24, v74
	v_dual_cndmask_b32 v77, 7, v77 :: v_dual_lshlrev_b32 v88, 3, v88
	s_delay_alu instid0(VALU_DEP_2) | instskip(NEXT) | instid1(VALU_DEP_2)
	v_and_b32_e32 v74, 0x80, v74
	v_or_b32_e32 v19, v19, v77
	v_and_b32_e32 v89, 7, v77
	s_delay_alu instid0(VALU_DEP_2) | instskip(SKIP_1) | instid1(VALU_DEP_1)
	v_cmp_ne_u32_e32 vcc_lo, 0, v19
	v_and_b32_e32 v88, 0xf8, v88
	v_or3_b32 v74, v74, v88, v89
	s_delay_alu instid0(VALU_DEP_1) | instskip(NEXT) | instid1(VALU_DEP_1)
	v_lshlrev_b32_e32 v74, 8, v74
	v_cndmask_b32_e32 v19, 0, v74, vcc_lo
.LBB6_1302:                             ;   in Loop: Header=BB6_142 Depth=2
	s_or_b32 exec_lo, exec_lo, s26
.LBB6_1303:                             ;   in Loop: Header=BB6_142 Depth=2
	s_delay_alu instid0(SALU_CYCLE_1) | instskip(SKIP_3) | instid1(VALU_DEP_1)
	s_or_b32 exec_lo, exec_lo, s25
	v_and_b32_e32 v77, 0xff, v60
	s_mov_b32 s11, 0
	s_mov_b32 s26, exec_lo
                                        ; implicit-def: $sgpr25
	v_cmpx_lt_i16_e32 0x7f, v77
	s_xor_b32 s26, exec_lo, s26
	s_cbranch_execnz .LBB6_2389
; %bb.1304:                             ;   in Loop: Header=BB6_142 Depth=2
	s_or_saveexec_b32 s26, s26
	v_mov_b32_e32 v74, s25
	s_xor_b32 exec_lo, exec_lo, s26
	s_cbranch_execnz .LBB6_2392
.LBB6_1305:                             ;   in Loop: Header=BB6_142 Depth=2
	s_or_b32 exec_lo, exec_lo, s26
	s_and_saveexec_b32 s25, s11
	s_cbranch_execz .LBB6_1307
.LBB6_1306:                             ;   in Loop: Header=BB6_142 Depth=2
	v_bfe_u32 v89, v60, 3, 4
	s_delay_alu instid0(VALU_DEP_1) | instskip(SKIP_1) | instid1(VALU_DEP_1)
	v_cmp_eq_u32_e32 vcc_lo, 0, v89
	v_and_b32_e32 v74, 7, v60
	v_clz_i32_u32_e32 v77, v74
	s_delay_alu instid0(VALU_DEP_1) | instskip(NEXT) | instid1(VALU_DEP_1)
	v_min_u32_e32 v77, 32, v77
	v_subrev_nc_u32_e32 v88, 28, v77
	v_sub_nc_u32_e32 v77, 29, v77
	s_delay_alu instid0(VALU_DEP_1) | instskip(SKIP_1) | instid1(VALU_DEP_2)
	v_dual_cndmask_b32 v77, v89, v77 :: v_dual_lshlrev_b32 v88, v88, v60
	v_lshlrev_b32_e32 v60, 24, v60
	v_and_b32_e32 v88, 7, v88
	s_delay_alu instid0(VALU_DEP_3) | instskip(NEXT) | instid1(VALU_DEP_3)
	v_lshl_add_u32 v77, v77, 23, 0x3b800000
	v_and_b32_e32 v60, 0x80000000, v60
	s_delay_alu instid0(VALU_DEP_3) | instskip(NEXT) | instid1(VALU_DEP_1)
	v_cndmask_b32_e32 v74, v74, v88, vcc_lo
	v_lshlrev_b32_e32 v74, 20, v74
	s_delay_alu instid0(VALU_DEP_1)
	v_or3_b32 v74, v60, v77, v74
.LBB6_1307:                             ;   in Loop: Header=BB6_142 Depth=2
	s_or_b32 exec_lo, exec_lo, s25
	v_and_b32_e32 v77, 0xff, v20
	s_mov_b32 s11, 0
	s_mov_b32 s26, exec_lo
                                        ; implicit-def: $sgpr25
	s_delay_alu instid0(VALU_DEP_1)
	v_cmpx_lt_i16_e32 0x7f, v77
	s_xor_b32 s26, exec_lo, s26
	s_cbranch_execnz .LBB6_2393
; %bb.1308:                             ;   in Loop: Header=BB6_142 Depth=2
	s_or_saveexec_b32 s26, s26
	v_mov_b32_e32 v60, s25
	s_xor_b32 exec_lo, exec_lo, s26
	s_cbranch_execnz .LBB6_2396
.LBB6_1309:                             ;   in Loop: Header=BB6_142 Depth=2
	s_or_b32 exec_lo, exec_lo, s26
	s_and_saveexec_b32 s25, s11
	s_cbranch_execz .LBB6_1311
.LBB6_1310:                             ;   in Loop: Header=BB6_142 Depth=2
	v_bfe_u32 v89, v20, 3, 4
	v_lshlrev_b32_e32 v90, 24, v20
	s_delay_alu instid0(VALU_DEP_2) | instskip(SKIP_1) | instid1(VALU_DEP_1)
	v_cmp_eq_u32_e32 vcc_lo, 0, v89
	v_and_b32_e32 v60, 7, v20
	v_clz_i32_u32_e32 v77, v60
	s_delay_alu instid0(VALU_DEP_1) | instskip(NEXT) | instid1(VALU_DEP_1)
	v_min_u32_e32 v77, 32, v77
	v_subrev_nc_u32_e32 v88, 28, v77
	v_sub_nc_u32_e32 v77, 29, v77
	s_delay_alu instid0(VALU_DEP_1) | instskip(NEXT) | instid1(VALU_DEP_1)
	v_dual_cndmask_b32 v77, v89, v77 :: v_dual_lshlrev_b32 v88, v88, v20
	v_and_b32_e32 v88, 7, v88
	s_delay_alu instid0(VALU_DEP_2) | instskip(NEXT) | instid1(VALU_DEP_2)
	v_lshl_add_u32 v77, v77, 23, 0x3b800000
	v_cndmask_b32_e32 v60, v60, v88, vcc_lo
	v_and_b32_e32 v88, 0x80000000, v90
	s_delay_alu instid0(VALU_DEP_2) | instskip(NEXT) | instid1(VALU_DEP_1)
	v_lshlrev_b32_e32 v60, 20, v60
	v_or3_b32 v60, v88, v77, v60
.LBB6_1311:                             ;   in Loop: Header=BB6_142 Depth=2
	s_or_b32 exec_lo, exec_lo, s25
	s_delay_alu instid0(VALU_DEP_1) | instskip(NEXT) | instid1(VALU_DEP_1)
	v_add_f32_e32 v74, v74, v60
	v_and_b32_e32 v60, 0x7f800000, v74
	s_delay_alu instid0(VALU_DEP_1)
	v_cmp_ne_u32_e32 vcc_lo, 0x7f800000, v60
	v_mov_b32_e32 v60, 0x80
	s_and_saveexec_b32 s25, vcc_lo
	s_cbranch_execz .LBB6_1319
; %bb.1312:                             ;   in Loop: Header=BB6_142 Depth=2
	v_mov_b32_e32 v60, 0
	s_mov_b32 s26, exec_lo
	v_cmpx_ne_u32_e32 0, v74
	s_cbranch_execz .LBB6_1318
; %bb.1313:                             ;   in Loop: Header=BB6_142 Depth=2
	v_bfe_u32 v60, v74, 23, 8
	s_delay_alu instid0(VALU_DEP_1) | instskip(SKIP_1) | instid1(VALU_DEP_2)
	v_sub_nc_u32_e32 v88, 0x78, v60
	v_cmp_gt_u32_e32 vcc_lo, 0x79, v60
	v_dual_cndmask_b32 v88, 0, v88 :: v_dual_and_b32 v77, 0x7fffff, v74
	s_delay_alu instid0(VALU_DEP_1) | instskip(SKIP_2) | instid1(VALU_DEP_4)
	v_or_b32_e32 v89, 0x800000, v77
	v_cmp_eq_u32_e32 vcc_lo, 0, v60
	v_add_nc_u32_e32 v60, 0xffffff89, v60
	v_cndmask_b32_e64 v88, v88, 0x77, vcc_lo
	s_delay_alu instid0(VALU_DEP_4) | instskip(NEXT) | instid1(VALU_DEP_3)
	v_cndmask_b32_e32 v77, v89, v77, vcc_lo
	v_cndmask_b32_e64 v60, v60, 0xffffff8a, vcc_lo
	s_delay_alu instid0(VALU_DEP_3) | instskip(NEXT) | instid1(VALU_DEP_3)
	v_lshl_add_u32 v89, 0x100000, v88, -1
	v_lshrrev_b32_e32 v90, v88, v77
	v_lshlrev_b32_e64 v92, v88, 0x80000
	s_delay_alu instid0(VALU_DEP_4) | instskip(NEXT) | instid1(VALU_DEP_4)
	v_add_nc_u32_e32 v88, v88, v60
	v_and_b32_e32 v77, v89, v77
	s_delay_alu instid0(VALU_DEP_4) | instskip(NEXT) | instid1(VALU_DEP_2)
	v_bfe_u32 v91, v90, 20, 1
	v_cmp_eq_u32_e64 s11, v77, v92
	s_delay_alu instid0(VALU_DEP_2) | instskip(NEXT) | instid1(VALU_DEP_1)
	v_add_nc_u32_e32 v89, -1, v91
	v_cndmask_b32_e64 v77, 0, v89, s11
	v_lshrrev_b32_e32 v89, 23, v90
	s_mov_b32 s11, exec_lo
	s_delay_alu instid0(VALU_DEP_2) | instskip(NEXT) | instid1(VALU_DEP_2)
	v_add_nc_u32_e32 v77, v77, v90
	v_xor_b32_e32 v89, 1, v89
	s_delay_alu instid0(VALU_DEP_2) | instskip(NEXT) | instid1(VALU_DEP_1)
	v_and_b32_e32 v60, 0xfffff, v77
	v_add_nc_u32_e32 v77, v60, v90
                                        ; implicit-def: $vgpr60
	s_delay_alu instid0(VALU_DEP_3)
	v_cmpx_ne_u32_e64 v88, v89
	s_xor_b32 s11, exec_lo, s11
; %bb.1314:                             ;   in Loop: Header=BB6_142 Depth=2
	s_delay_alu instid0(VALU_DEP_2) | instskip(SKIP_2) | instid1(VALU_DEP_2)
	v_cmp_lt_u32_e32 vcc_lo, 0xffffff, v77
	v_sub_nc_u32_e32 v60, v88, v89
	v_cndmask_b32_e64 v88, 0, 1, vcc_lo
	v_add_co_ci_u32_e32 v60, vcc_lo, 0, v60, vcc_lo
	s_delay_alu instid0(VALU_DEP_2)
	v_lshrrev_b32_e32 v77, v88, v77
; %bb.1315:                             ;   in Loop: Header=BB6_142 Depth=2
	s_and_not1_saveexec_b32 s11, s11
; %bb.1316:                             ;   in Loop: Header=BB6_142 Depth=2
	s_delay_alu instid0(VALU_DEP_1)
	v_bfe_u32 v60, v77, 23, 1
; %bb.1317:                             ;   in Loop: Header=BB6_142 Depth=2
	s_or_b32 exec_lo, exec_lo, s11
	v_lshrrev_b32_e32 v77, 20, v77
	s_delay_alu instid0(VALU_DEP_2) | instskip(SKIP_2) | instid1(VALU_DEP_2)
	v_cmp_gt_i32_e32 vcc_lo, 16, v60
	v_lshrrev_b32_e32 v74, 24, v74
	v_min_i32_e32 v88, 15, v60
	v_dual_cndmask_b32 v77, 7, v77 :: v_dual_and_b32 v74, 0x80, v74
	s_delay_alu instid0(VALU_DEP_2) | instskip(NEXT) | instid1(VALU_DEP_2)
	v_lshlrev_b32_e32 v88, 3, v88
	v_or_b32_e32 v60, v60, v77
	s_delay_alu instid0(VALU_DEP_1) | instskip(SKIP_1) | instid1(VALU_DEP_1)
	v_cmp_ne_u32_e32 vcc_lo, 0, v60
	v_and_b32_e32 v89, 7, v77
	v_or3_b32 v74, v88, v74, v89
	s_delay_alu instid0(VALU_DEP_1)
	v_cndmask_b32_e32 v60, 0, v74, vcc_lo
.LBB6_1318:                             ;   in Loop: Header=BB6_142 Depth=2
	s_or_b32 exec_lo, exec_lo, s26
.LBB6_1319:                             ;   in Loop: Header=BB6_142 Depth=2
	s_delay_alu instid0(SALU_CYCLE_1) | instskip(SKIP_3) | instid1(VALU_DEP_1)
	s_or_b32 exec_lo, exec_lo, s25
	v_and_b32_e32 v77, 0xff, v58
	s_mov_b32 s11, 0
	s_mov_b32 s26, exec_lo
                                        ; implicit-def: $sgpr25
	v_cmpx_lt_i16_e32 0x7f, v77
	s_xor_b32 s26, exec_lo, s26
	s_cbranch_execnz .LBB6_2397
; %bb.1320:                             ;   in Loop: Header=BB6_142 Depth=2
	s_or_saveexec_b32 s26, s26
	v_mov_b32_e32 v74, s25
	s_xor_b32 exec_lo, exec_lo, s26
	s_cbranch_execnz .LBB6_2400
.LBB6_1321:                             ;   in Loop: Header=BB6_142 Depth=2
	s_or_b32 exec_lo, exec_lo, s26
	s_and_saveexec_b32 s25, s11
	s_cbranch_execz .LBB6_1323
.LBB6_1322:                             ;   in Loop: Header=BB6_142 Depth=2
	v_bfe_u32 v89, v58, 3, 4
	s_delay_alu instid0(VALU_DEP_1) | instskip(SKIP_1) | instid1(VALU_DEP_1)
	v_cmp_eq_u32_e32 vcc_lo, 0, v89
	v_and_b32_e32 v74, 7, v58
	v_clz_i32_u32_e32 v77, v74
	s_delay_alu instid0(VALU_DEP_1) | instskip(NEXT) | instid1(VALU_DEP_1)
	v_min_u32_e32 v77, 32, v77
	v_subrev_nc_u32_e32 v88, 28, v77
	v_sub_nc_u32_e32 v77, 29, v77
	s_delay_alu instid0(VALU_DEP_1) | instskip(SKIP_1) | instid1(VALU_DEP_2)
	v_dual_cndmask_b32 v77, v89, v77 :: v_dual_lshlrev_b32 v88, v88, v58
	v_lshlrev_b32_e32 v58, 24, v58
	v_and_b32_e32 v88, 7, v88
	s_delay_alu instid0(VALU_DEP_3) | instskip(NEXT) | instid1(VALU_DEP_3)
	v_lshl_add_u32 v77, v77, 23, 0x3b800000
	v_and_b32_e32 v58, 0x80000000, v58
	s_delay_alu instid0(VALU_DEP_3) | instskip(NEXT) | instid1(VALU_DEP_1)
	v_cndmask_b32_e32 v74, v74, v88, vcc_lo
	v_lshlrev_b32_e32 v74, 20, v74
	s_delay_alu instid0(VALU_DEP_1)
	v_or3_b32 v74, v58, v77, v74
.LBB6_1323:                             ;   in Loop: Header=BB6_142 Depth=2
	s_or_b32 exec_lo, exec_lo, s25
	v_lshrrev_b16 v58, 8, v20
	s_mov_b32 s11, 0
	s_mov_b32 s26, exec_lo
                                        ; implicit-def: $sgpr25
	s_delay_alu instid0(VALU_DEP_1)
	v_cmpx_lt_i16_e32 0x7f, v58
	s_xor_b32 s26, exec_lo, s26
	s_cbranch_execnz .LBB6_2401
; %bb.1324:                             ;   in Loop: Header=BB6_142 Depth=2
	s_or_saveexec_b32 s26, s26
	v_mov_b32_e32 v77, s25
	s_xor_b32 exec_lo, exec_lo, s26
	s_cbranch_execnz .LBB6_2404
.LBB6_1325:                             ;   in Loop: Header=BB6_142 Depth=2
	s_or_b32 exec_lo, exec_lo, s26
	s_and_saveexec_b32 s25, s11
	s_cbranch_execz .LBB6_1327
.LBB6_1326:                             ;   in Loop: Header=BB6_142 Depth=2
	v_and_b32_e32 v77, 0xffff, v58
	v_lshlrev_b32_e32 v58, 24, v58
	s_delay_alu instid0(VALU_DEP_2) | instskip(NEXT) | instid1(VALU_DEP_2)
	v_and_b32_e32 v88, 7, v77
	v_and_b32_e32 v58, 0x80000000, v58
	s_delay_alu instid0(VALU_DEP_2) | instskip(NEXT) | instid1(VALU_DEP_1)
	v_clz_i32_u32_e32 v89, v88
	v_min_u32_e32 v89, 32, v89
	s_delay_alu instid0(VALU_DEP_1) | instskip(SKIP_1) | instid1(VALU_DEP_2)
	v_subrev_nc_u32_e32 v90, 28, v89
	v_sub_nc_u32_e32 v89, 29, v89
	v_lshlrev_b32_e32 v90, v90, v77
	v_bfe_u32 v77, v77, 3, 4
	s_delay_alu instid0(VALU_DEP_1) | instskip(NEXT) | instid1(VALU_DEP_3)
	v_cmp_eq_u32_e32 vcc_lo, 0, v77
	v_dual_cndmask_b32 v77, v77, v89 :: v_dual_and_b32 v90, 7, v90
	s_delay_alu instid0(VALU_DEP_1) | instskip(NEXT) | instid1(VALU_DEP_2)
	v_cndmask_b32_e32 v88, v88, v90, vcc_lo
	v_lshl_add_u32 v77, v77, 23, 0x3b800000
	s_delay_alu instid0(VALU_DEP_2) | instskip(NEXT) | instid1(VALU_DEP_1)
	v_lshlrev_b32_e32 v88, 20, v88
	v_or3_b32 v77, v58, v77, v88
.LBB6_1327:                             ;   in Loop: Header=BB6_142 Depth=2
	s_or_b32 exec_lo, exec_lo, s25
	s_delay_alu instid0(VALU_DEP_1) | instskip(NEXT) | instid1(VALU_DEP_1)
	v_add_f32_e32 v74, v74, v77
	v_and_b32_e32 v58, 0x7f800000, v74
	s_delay_alu instid0(VALU_DEP_1)
	v_cmp_ne_u32_e32 vcc_lo, 0x7f800000, v58
	v_mov_b32_e32 v58, 0x80
	s_and_saveexec_b32 s25, vcc_lo
	s_cbranch_execz .LBB6_1335
; %bb.1328:                             ;   in Loop: Header=BB6_142 Depth=2
	v_mov_b32_e32 v58, 0
	s_mov_b32 s26, exec_lo
	v_cmpx_ne_u32_e32 0, v74
	s_cbranch_execz .LBB6_1334
; %bb.1329:                             ;   in Loop: Header=BB6_142 Depth=2
	v_bfe_u32 v58, v74, 23, 8
	s_delay_alu instid0(VALU_DEP_1) | instskip(SKIP_1) | instid1(VALU_DEP_2)
	v_sub_nc_u32_e32 v88, 0x78, v58
	v_cmp_gt_u32_e32 vcc_lo, 0x79, v58
	v_dual_cndmask_b32 v88, 0, v88 :: v_dual_and_b32 v77, 0x7fffff, v74
	s_delay_alu instid0(VALU_DEP_1) | instskip(SKIP_2) | instid1(VALU_DEP_4)
	v_or_b32_e32 v89, 0x800000, v77
	v_cmp_eq_u32_e32 vcc_lo, 0, v58
	v_add_nc_u32_e32 v58, 0xffffff89, v58
	v_cndmask_b32_e64 v88, v88, 0x77, vcc_lo
	s_delay_alu instid0(VALU_DEP_4) | instskip(NEXT) | instid1(VALU_DEP_3)
	v_cndmask_b32_e32 v77, v89, v77, vcc_lo
	v_cndmask_b32_e64 v58, v58, 0xffffff8a, vcc_lo
	s_delay_alu instid0(VALU_DEP_3) | instskip(NEXT) | instid1(VALU_DEP_3)
	v_lshl_add_u32 v89, 0x100000, v88, -1
	v_lshrrev_b32_e32 v90, v88, v77
	v_lshlrev_b32_e64 v92, v88, 0x80000
	s_delay_alu instid0(VALU_DEP_4) | instskip(NEXT) | instid1(VALU_DEP_4)
	v_add_nc_u32_e32 v88, v88, v58
	v_and_b32_e32 v77, v89, v77
	s_delay_alu instid0(VALU_DEP_4) | instskip(NEXT) | instid1(VALU_DEP_2)
	v_bfe_u32 v91, v90, 20, 1
	v_cmp_eq_u32_e64 s11, v77, v92
	s_delay_alu instid0(VALU_DEP_2) | instskip(NEXT) | instid1(VALU_DEP_1)
	v_add_nc_u32_e32 v89, -1, v91
	v_cndmask_b32_e64 v77, 0, v89, s11
	v_lshrrev_b32_e32 v89, 23, v90
	s_mov_b32 s11, exec_lo
	s_delay_alu instid0(VALU_DEP_2) | instskip(NEXT) | instid1(VALU_DEP_2)
	v_add_nc_u32_e32 v77, v77, v90
	v_xor_b32_e32 v89, 1, v89
	s_delay_alu instid0(VALU_DEP_2) | instskip(NEXT) | instid1(VALU_DEP_1)
	v_and_b32_e32 v58, 0xfffff, v77
	v_add_nc_u32_e32 v77, v58, v90
                                        ; implicit-def: $vgpr58
	s_delay_alu instid0(VALU_DEP_3)
	v_cmpx_ne_u32_e64 v88, v89
	s_xor_b32 s11, exec_lo, s11
; %bb.1330:                             ;   in Loop: Header=BB6_142 Depth=2
	s_delay_alu instid0(VALU_DEP_2) | instskip(SKIP_2) | instid1(VALU_DEP_2)
	v_cmp_lt_u32_e32 vcc_lo, 0xffffff, v77
	v_sub_nc_u32_e32 v58, v88, v89
	v_cndmask_b32_e64 v88, 0, 1, vcc_lo
	v_add_co_ci_u32_e32 v58, vcc_lo, 0, v58, vcc_lo
	s_delay_alu instid0(VALU_DEP_2)
	v_lshrrev_b32_e32 v77, v88, v77
; %bb.1331:                             ;   in Loop: Header=BB6_142 Depth=2
	s_and_not1_saveexec_b32 s11, s11
; %bb.1332:                             ;   in Loop: Header=BB6_142 Depth=2
	s_delay_alu instid0(VALU_DEP_1)
	v_bfe_u32 v58, v77, 23, 1
; %bb.1333:                             ;   in Loop: Header=BB6_142 Depth=2
	s_or_b32 exec_lo, exec_lo, s11
	v_lshrrev_b32_e32 v77, 20, v77
	s_delay_alu instid0(VALU_DEP_2) | instskip(SKIP_2) | instid1(VALU_DEP_2)
	v_cmp_gt_i32_e32 vcc_lo, 16, v58
	v_lshrrev_b32_e32 v74, 24, v74
	v_min_i32_e32 v88, 15, v58
	v_dual_cndmask_b32 v77, 7, v77 :: v_dual_and_b32 v74, 0x80, v74
	s_delay_alu instid0(VALU_DEP_2) | instskip(NEXT) | instid1(VALU_DEP_2)
	v_lshlrev_b32_e32 v88, 3, v88
	v_or_b32_e32 v58, v58, v77
	s_delay_alu instid0(VALU_DEP_1) | instskip(SKIP_1) | instid1(VALU_DEP_1)
	v_cmp_ne_u32_e32 vcc_lo, 0, v58
	v_and_b32_e32 v89, 7, v77
	v_or3_b32 v74, v88, v74, v89
	s_delay_alu instid0(VALU_DEP_1)
	v_cndmask_b32_e32 v58, 0, v74, vcc_lo
.LBB6_1334:                             ;   in Loop: Header=BB6_142 Depth=2
	s_or_b32 exec_lo, exec_lo, s26
.LBB6_1335:                             ;   in Loop: Header=BB6_142 Depth=2
	s_delay_alu instid0(SALU_CYCLE_1) | instskip(SKIP_3) | instid1(VALU_DEP_1)
	s_or_b32 exec_lo, exec_lo, s25
	v_and_b32_e32 v77, 0xff, v57
	s_mov_b32 s11, 0
	s_mov_b32 s26, exec_lo
                                        ; implicit-def: $sgpr25
	v_cmpx_lt_i16_e32 0x7f, v77
	s_xor_b32 s26, exec_lo, s26
	s_cbranch_execnz .LBB6_2405
; %bb.1336:                             ;   in Loop: Header=BB6_142 Depth=2
	s_or_saveexec_b32 s26, s26
	v_mov_b32_e32 v74, s25
	s_xor_b32 exec_lo, exec_lo, s26
	s_cbranch_execnz .LBB6_2408
.LBB6_1337:                             ;   in Loop: Header=BB6_142 Depth=2
	s_or_b32 exec_lo, exec_lo, s26
	s_and_saveexec_b32 s25, s11
	s_cbranch_execz .LBB6_1339
.LBB6_1338:                             ;   in Loop: Header=BB6_142 Depth=2
	v_and_b32_e32 v74, 7, v57
	v_bfe_u32 v89, v57, 3, 4
	s_delay_alu instid0(VALU_DEP_2) | instskip(NEXT) | instid1(VALU_DEP_2)
	v_clz_i32_u32_e32 v77, v74
	v_cmp_eq_u32_e32 vcc_lo, 0, v89
	s_delay_alu instid0(VALU_DEP_2) | instskip(NEXT) | instid1(VALU_DEP_1)
	v_min_u32_e32 v77, 32, v77
	v_subrev_nc_u32_e32 v88, 28, v77
	v_sub_nc_u32_e32 v77, 29, v77
	s_delay_alu instid0(VALU_DEP_2) | instskip(NEXT) | instid1(VALU_DEP_1)
	v_lshlrev_b32_e32 v88, v88, v57
	v_dual_cndmask_b32 v77, v89, v77 :: v_dual_and_b32 v88, 7, v88
	v_lshlrev_b32_e32 v57, 24, v57
	s_delay_alu instid0(VALU_DEP_2) | instskip(NEXT) | instid1(VALU_DEP_2)
	v_lshl_add_u32 v77, v77, 23, 0x3b800000
	v_dual_cndmask_b32 v74, v74, v88 :: v_dual_and_b32 v57, 0x80000000, v57
	s_delay_alu instid0(VALU_DEP_1) | instskip(NEXT) | instid1(VALU_DEP_1)
	v_lshlrev_b32_e32 v74, 20, v74
	v_or3_b32 v74, v57, v77, v74
.LBB6_1339:                             ;   in Loop: Header=BB6_142 Depth=2
	s_or_b32 exec_lo, exec_lo, s25
	v_lshrrev_b32_e32 v57, 16, v20
	s_mov_b32 s11, 0
	s_mov_b32 s26, exec_lo
                                        ; implicit-def: $sgpr25
	s_delay_alu instid0(VALU_DEP_1) | instskip(NEXT) | instid1(VALU_DEP_1)
	v_and_b32_e32 v88, 0xff, v57
	v_cmpx_lt_i16_e32 0x7f, v88
	s_xor_b32 s26, exec_lo, s26
	s_cbranch_execnz .LBB6_2409
; %bb.1340:                             ;   in Loop: Header=BB6_142 Depth=2
	s_or_saveexec_b32 s26, s26
	v_mov_b32_e32 v77, s25
	s_xor_b32 exec_lo, exec_lo, s26
	s_cbranch_execnz .LBB6_2412
.LBB6_1341:                             ;   in Loop: Header=BB6_142 Depth=2
	s_or_b32 exec_lo, exec_lo, s26
	s_and_saveexec_b32 s25, s11
	s_cbranch_execz .LBB6_1343
.LBB6_1342:                             ;   in Loop: Header=BB6_142 Depth=2
	v_bfe_u32 v77, v20, 16, 3
	s_delay_alu instid0(VALU_DEP_1) | instskip(NEXT) | instid1(VALU_DEP_1)
	v_clz_i32_u32_e32 v88, v77
	v_min_u32_e32 v88, 32, v88
	s_delay_alu instid0(VALU_DEP_1) | instskip(SKIP_1) | instid1(VALU_DEP_2)
	v_subrev_nc_u32_e32 v89, 28, v88
	v_sub_nc_u32_e32 v88, 29, v88
	v_lshlrev_b32_e32 v57, v89, v57
	v_bfe_u32 v89, v20, 19, 4
	s_delay_alu instid0(VALU_DEP_1) | instskip(NEXT) | instid1(VALU_DEP_3)
	v_cmp_eq_u32_e32 vcc_lo, 0, v89
	v_dual_cndmask_b32 v88, v89, v88 :: v_dual_and_b32 v57, 7, v57
	s_delay_alu instid0(VALU_DEP_1) | instskip(NEXT) | instid1(VALU_DEP_2)
	v_dual_cndmask_b32 v57, v77, v57 :: v_dual_lshlrev_b32 v90, 8, v20
	v_lshl_add_u32 v88, v88, 23, 0x3b800000
	s_delay_alu instid0(VALU_DEP_2) | instskip(NEXT) | instid1(VALU_DEP_3)
	v_and_b32_e32 v77, 0x80000000, v90
	v_lshlrev_b32_e32 v57, 20, v57
	s_delay_alu instid0(VALU_DEP_1)
	v_or3_b32 v77, v77, v88, v57
.LBB6_1343:                             ;   in Loop: Header=BB6_142 Depth=2
	s_or_b32 exec_lo, exec_lo, s25
	s_delay_alu instid0(VALU_DEP_1) | instskip(NEXT) | instid1(VALU_DEP_1)
	v_add_f32_e32 v74, v74, v77
	v_and_b32_e32 v57, 0x7f800000, v74
	s_delay_alu instid0(VALU_DEP_1)
	v_cmp_ne_u32_e32 vcc_lo, 0x7f800000, v57
	v_mov_b32_e32 v57, 0x80
	s_and_saveexec_b32 s25, vcc_lo
	s_cbranch_execz .LBB6_1351
; %bb.1344:                             ;   in Loop: Header=BB6_142 Depth=2
	v_mov_b32_e32 v57, 0
	s_mov_b32 s26, exec_lo
	v_cmpx_ne_u32_e32 0, v74
	s_cbranch_execz .LBB6_1350
; %bb.1345:                             ;   in Loop: Header=BB6_142 Depth=2
	v_bfe_u32 v57, v74, 23, 8
	s_delay_alu instid0(VALU_DEP_1) | instskip(SKIP_1) | instid1(VALU_DEP_2)
	v_sub_nc_u32_e32 v88, 0x78, v57
	v_cmp_gt_u32_e32 vcc_lo, 0x79, v57
	v_dual_cndmask_b32 v88, 0, v88 :: v_dual_and_b32 v77, 0x7fffff, v74
	s_delay_alu instid0(VALU_DEP_1) | instskip(SKIP_2) | instid1(VALU_DEP_4)
	v_or_b32_e32 v89, 0x800000, v77
	v_cmp_eq_u32_e32 vcc_lo, 0, v57
	v_add_nc_u32_e32 v57, 0xffffff89, v57
	v_cndmask_b32_e64 v88, v88, 0x77, vcc_lo
	s_delay_alu instid0(VALU_DEP_4) | instskip(NEXT) | instid1(VALU_DEP_3)
	v_cndmask_b32_e32 v77, v89, v77, vcc_lo
	v_cndmask_b32_e64 v57, v57, 0xffffff8a, vcc_lo
	s_delay_alu instid0(VALU_DEP_3) | instskip(NEXT) | instid1(VALU_DEP_3)
	v_lshl_add_u32 v89, 0x100000, v88, -1
	v_lshrrev_b32_e32 v90, v88, v77
	v_lshlrev_b32_e64 v92, v88, 0x80000
	s_delay_alu instid0(VALU_DEP_4) | instskip(NEXT) | instid1(VALU_DEP_4)
	v_add_nc_u32_e32 v88, v88, v57
	v_and_b32_e32 v77, v89, v77
	s_delay_alu instid0(VALU_DEP_4) | instskip(NEXT) | instid1(VALU_DEP_2)
	v_bfe_u32 v91, v90, 20, 1
	v_cmp_eq_u32_e64 s11, v77, v92
	s_delay_alu instid0(VALU_DEP_2) | instskip(NEXT) | instid1(VALU_DEP_1)
	v_add_nc_u32_e32 v89, -1, v91
	v_cndmask_b32_e64 v77, 0, v89, s11
	v_lshrrev_b32_e32 v89, 23, v90
	s_mov_b32 s11, exec_lo
	s_delay_alu instid0(VALU_DEP_2) | instskip(NEXT) | instid1(VALU_DEP_2)
	v_add_nc_u32_e32 v77, v77, v90
	v_xor_b32_e32 v89, 1, v89
	s_delay_alu instid0(VALU_DEP_2) | instskip(NEXT) | instid1(VALU_DEP_1)
	v_and_b32_e32 v57, 0xfffff, v77
	v_add_nc_u32_e32 v77, v57, v90
                                        ; implicit-def: $vgpr57
	s_delay_alu instid0(VALU_DEP_3)
	v_cmpx_ne_u32_e64 v88, v89
	s_xor_b32 s11, exec_lo, s11
; %bb.1346:                             ;   in Loop: Header=BB6_142 Depth=2
	s_delay_alu instid0(VALU_DEP_2) | instskip(SKIP_2) | instid1(VALU_DEP_2)
	v_cmp_lt_u32_e32 vcc_lo, 0xffffff, v77
	v_sub_nc_u32_e32 v57, v88, v89
	v_cndmask_b32_e64 v88, 0, 1, vcc_lo
	v_add_co_ci_u32_e32 v57, vcc_lo, 0, v57, vcc_lo
	s_delay_alu instid0(VALU_DEP_2)
	v_lshrrev_b32_e32 v77, v88, v77
; %bb.1347:                             ;   in Loop: Header=BB6_142 Depth=2
	s_and_not1_saveexec_b32 s11, s11
; %bb.1348:                             ;   in Loop: Header=BB6_142 Depth=2
	s_delay_alu instid0(VALU_DEP_1)
	v_bfe_u32 v57, v77, 23, 1
; %bb.1349:                             ;   in Loop: Header=BB6_142 Depth=2
	s_or_b32 exec_lo, exec_lo, s11
	v_lshrrev_b32_e32 v77, 20, v77
	s_delay_alu instid0(VALU_DEP_2) | instskip(SKIP_2) | instid1(VALU_DEP_2)
	v_cmp_gt_i32_e32 vcc_lo, 16, v57
	v_lshrrev_b32_e32 v74, 24, v74
	v_min_i32_e32 v88, 15, v57
	v_dual_cndmask_b32 v77, 7, v77 :: v_dual_and_b32 v74, 0x80, v74
	s_delay_alu instid0(VALU_DEP_1) | instskip(SKIP_1) | instid1(VALU_DEP_2)
	v_or_b32_e32 v57, v57, v77
	v_and_b32_e32 v89, 7, v77
	v_cmp_ne_u32_e32 vcc_lo, 0, v57
	v_lshlrev_b32_e32 v88, 3, v88
	s_delay_alu instid0(VALU_DEP_1) | instskip(NEXT) | instid1(VALU_DEP_1)
	v_or3_b32 v74, v88, v74, v89
	v_cndmask_b32_e32 v57, 0, v74, vcc_lo
.LBB6_1350:                             ;   in Loop: Header=BB6_142 Depth=2
	s_or_b32 exec_lo, exec_lo, s26
.LBB6_1351:                             ;   in Loop: Header=BB6_142 Depth=2
	s_delay_alu instid0(SALU_CYCLE_1) | instskip(SKIP_3) | instid1(VALU_DEP_1)
	s_or_b32 exec_lo, exec_lo, s25
	v_and_b32_e32 v77, 0xff, v47
	s_mov_b32 s11, 0
	s_mov_b32 s26, exec_lo
                                        ; implicit-def: $sgpr25
	v_cmpx_lt_i16_e32 0x7f, v77
	s_xor_b32 s26, exec_lo, s26
	s_cbranch_execnz .LBB6_2413
; %bb.1352:                             ;   in Loop: Header=BB6_142 Depth=2
	s_or_saveexec_b32 s26, s26
	v_mov_b32_e32 v74, s25
	s_xor_b32 exec_lo, exec_lo, s26
	s_cbranch_execnz .LBB6_2416
.LBB6_1353:                             ;   in Loop: Header=BB6_142 Depth=2
	s_or_b32 exec_lo, exec_lo, s26
	s_and_saveexec_b32 s25, s11
	s_cbranch_execz .LBB6_1355
.LBB6_1354:                             ;   in Loop: Header=BB6_142 Depth=2
	v_lshlrev_b32_e32 v47, 8, v47
	s_delay_alu instid0(VALU_DEP_1) | instskip(SKIP_1) | instid1(VALU_DEP_2)
	v_and_b32_e32 v74, 0xff00, v47
	v_bfe_u32 v47, v47, 11, 4
	v_bfe_u32 v88, v74, 8, 3
	s_delay_alu instid0(VALU_DEP_2) | instskip(NEXT) | instid1(VALU_DEP_2)
	v_cmp_eq_u32_e32 vcc_lo, 0, v47
	v_clz_i32_u32_e32 v89, v88
	s_delay_alu instid0(VALU_DEP_1) | instskip(NEXT) | instid1(VALU_DEP_1)
	v_min_u32_e32 v89, 32, v89
	v_subrev_nc_u32_e32 v90, 28, v89
	v_sub_nc_u32_e32 v89, 29, v89
	s_delay_alu instid0(VALU_DEP_2) | instskip(NEXT) | instid1(VALU_DEP_2)
	v_lshlrev_b32_e32 v77, v90, v77
	v_cndmask_b32_e32 v47, v47, v89, vcc_lo
	s_delay_alu instid0(VALU_DEP_2) | instskip(SKIP_1) | instid1(VALU_DEP_3)
	v_and_b32_e32 v77, 7, v77
	v_lshlrev_b32_e32 v74, 16, v74
	v_lshl_add_u32 v47, v47, 23, 0x3b800000
	s_delay_alu instid0(VALU_DEP_2) | instskip(NEXT) | instid1(VALU_DEP_1)
	v_dual_cndmask_b32 v77, v88, v77 :: v_dual_and_b32 v74, 0x80000000, v74
	v_lshlrev_b32_e32 v77, 20, v77
	s_delay_alu instid0(VALU_DEP_1)
	v_or3_b32 v74, v74, v47, v77
.LBB6_1355:                             ;   in Loop: Header=BB6_142 Depth=2
	s_or_b32 exec_lo, exec_lo, s25
	v_lshrrev_b32_e32 v47, 24, v20
	s_mov_b32 s11, 0
	s_mov_b32 s26, exec_lo
                                        ; implicit-def: $sgpr25
	s_delay_alu instid0(VALU_DEP_1)
	v_cmpx_lt_i16_e32 0x7f, v47
	s_xor_b32 s26, exec_lo, s26
	s_cbranch_execnz .LBB6_2417
; %bb.1356:                             ;   in Loop: Header=BB6_142 Depth=2
	s_or_saveexec_b32 s26, s26
	v_mov_b32_e32 v77, s25
	s_xor_b32 exec_lo, exec_lo, s26
	s_cbranch_execnz .LBB6_2420
.LBB6_1357:                             ;   in Loop: Header=BB6_142 Depth=2
	s_or_b32 exec_lo, exec_lo, s26
	s_and_saveexec_b32 s25, s11
	s_cbranch_execz .LBB6_1359
.LBB6_1358:                             ;   in Loop: Header=BB6_142 Depth=2
	v_bfe_u32 v77, v20, 24, 3
	s_delay_alu instid0(VALU_DEP_1) | instskip(NEXT) | instid1(VALU_DEP_1)
	v_clz_i32_u32_e32 v88, v77
	v_min_u32_e32 v88, 32, v88
	s_delay_alu instid0(VALU_DEP_1) | instskip(SKIP_1) | instid1(VALU_DEP_2)
	v_subrev_nc_u32_e32 v89, 28, v88
	v_sub_nc_u32_e32 v88, 29, v88
	v_lshlrev_b32_e32 v47, v89, v47
	v_bfe_u32 v89, v20, 27, 4
	v_and_b32_e32 v20, 0x80000000, v20
	s_delay_alu instid0(VALU_DEP_2) | instskip(NEXT) | instid1(VALU_DEP_4)
	v_cmp_eq_u32_e32 vcc_lo, 0, v89
	v_dual_cndmask_b32 v88, v89, v88 :: v_dual_and_b32 v47, 7, v47
	s_delay_alu instid0(VALU_DEP_1) | instskip(NEXT) | instid1(VALU_DEP_2)
	v_cndmask_b32_e32 v47, v77, v47, vcc_lo
	v_lshl_add_u32 v77, v88, 23, 0x3b800000
	s_delay_alu instid0(VALU_DEP_2) | instskip(NEXT) | instid1(VALU_DEP_1)
	v_lshlrev_b32_e32 v47, 20, v47
	v_or3_b32 v77, v20, v77, v47
.LBB6_1359:                             ;   in Loop: Header=BB6_142 Depth=2
	s_or_b32 exec_lo, exec_lo, s25
	s_delay_alu instid0(VALU_DEP_1) | instskip(NEXT) | instid1(VALU_DEP_1)
	v_add_f32_e32 v47, v74, v77
	v_and_b32_e32 v20, 0x7f800000, v47
	s_delay_alu instid0(VALU_DEP_1)
	v_cmp_ne_u32_e32 vcc_lo, 0x7f800000, v20
	v_mov_b32_e32 v20, 0x80
	s_and_saveexec_b32 s25, vcc_lo
	s_cbranch_execz .LBB6_1367
; %bb.1360:                             ;   in Loop: Header=BB6_142 Depth=2
	v_mov_b32_e32 v20, 0
	s_mov_b32 s26, exec_lo
	v_cmpx_ne_u32_e32 0, v47
	s_cbranch_execz .LBB6_1366
; %bb.1361:                             ;   in Loop: Header=BB6_142 Depth=2
	v_bfe_u32 v20, v47, 23, 8
	s_delay_alu instid0(VALU_DEP_1) | instskip(SKIP_1) | instid1(VALU_DEP_2)
	v_sub_nc_u32_e32 v77, 0x78, v20
	v_cmp_gt_u32_e32 vcc_lo, 0x79, v20
	v_dual_cndmask_b32 v77, 0, v77 :: v_dual_and_b32 v74, 0x7fffff, v47
	s_delay_alu instid0(VALU_DEP_1) | instskip(SKIP_2) | instid1(VALU_DEP_4)
	v_or_b32_e32 v88, 0x800000, v74
	v_cmp_eq_u32_e32 vcc_lo, 0, v20
	v_add_nc_u32_e32 v20, 0xffffff89, v20
	v_cndmask_b32_e64 v77, v77, 0x77, vcc_lo
	s_delay_alu instid0(VALU_DEP_2) | instskip(SKIP_1) | instid1(VALU_DEP_3)
	v_cndmask_b32_e64 v20, v20, 0xffffff8a, vcc_lo
	v_cndmask_b32_e32 v74, v88, v74, vcc_lo
	v_lshl_add_u32 v88, 0x100000, v77, -1
	v_lshlrev_b32_e64 v91, v77, 0x80000
	s_delay_alu instid0(VALU_DEP_3) | instskip(SKIP_1) | instid1(VALU_DEP_4)
	v_lshrrev_b32_e32 v89, v77, v74
	v_add_nc_u32_e32 v77, v77, v20
	v_and_b32_e32 v74, v88, v74
	s_delay_alu instid0(VALU_DEP_3) | instskip(NEXT) | instid1(VALU_DEP_2)
	v_bfe_u32 v90, v89, 20, 1
	v_cmp_eq_u32_e64 s11, v74, v91
	s_delay_alu instid0(VALU_DEP_2) | instskip(NEXT) | instid1(VALU_DEP_1)
	v_add_nc_u32_e32 v88, -1, v90
	v_cndmask_b32_e64 v74, 0, v88, s11
	v_lshrrev_b32_e32 v88, 23, v89
	s_mov_b32 s11, exec_lo
	s_delay_alu instid0(VALU_DEP_2) | instskip(NEXT) | instid1(VALU_DEP_2)
	v_add_nc_u32_e32 v74, v74, v89
	v_xor_b32_e32 v88, 1, v88
	s_delay_alu instid0(VALU_DEP_2) | instskip(NEXT) | instid1(VALU_DEP_1)
	v_and_b32_e32 v20, 0xfffff, v74
	v_add_nc_u32_e32 v74, v20, v89
                                        ; implicit-def: $vgpr20
	s_delay_alu instid0(VALU_DEP_3)
	v_cmpx_ne_u32_e64 v77, v88
	s_xor_b32 s11, exec_lo, s11
; %bb.1362:                             ;   in Loop: Header=BB6_142 Depth=2
	s_delay_alu instid0(VALU_DEP_2) | instskip(SKIP_2) | instid1(VALU_DEP_2)
	v_cmp_lt_u32_e32 vcc_lo, 0xffffff, v74
	v_sub_nc_u32_e32 v20, v77, v88
	v_cndmask_b32_e64 v77, 0, 1, vcc_lo
	v_add_co_ci_u32_e32 v20, vcc_lo, 0, v20, vcc_lo
	s_delay_alu instid0(VALU_DEP_2)
	v_lshrrev_b32_e32 v74, v77, v74
; %bb.1363:                             ;   in Loop: Header=BB6_142 Depth=2
	s_and_not1_saveexec_b32 s11, s11
; %bb.1364:                             ;   in Loop: Header=BB6_142 Depth=2
	s_delay_alu instid0(VALU_DEP_1)
	v_bfe_u32 v20, v74, 23, 1
; %bb.1365:                             ;   in Loop: Header=BB6_142 Depth=2
	s_or_b32 exec_lo, exec_lo, s11
	v_lshrrev_b32_e32 v74, 20, v74
	s_delay_alu instid0(VALU_DEP_2) | instskip(SKIP_2) | instid1(VALU_DEP_2)
	v_cmp_gt_i32_e32 vcc_lo, 16, v20
	v_lshrrev_b32_e32 v47, 24, v47
	v_min_i32_e32 v77, 15, v20
	v_dual_cndmask_b32 v74, 7, v74 :: v_dual_and_b32 v47, 0x80, v47
	s_delay_alu instid0(VALU_DEP_1) | instskip(SKIP_1) | instid1(VALU_DEP_2)
	v_or_b32_e32 v20, v20, v74
	v_and_b32_e32 v88, 7, v74
	v_cmp_ne_u32_e32 vcc_lo, 0, v20
	v_lshlrev_b32_e32 v77, 3, v77
	s_delay_alu instid0(VALU_DEP_1) | instskip(NEXT) | instid1(VALU_DEP_1)
	v_or3_b32 v47, v77, v47, v88
	v_cndmask_b32_e32 v20, 0, v47, vcc_lo
.LBB6_1366:                             ;   in Loop: Header=BB6_142 Depth=2
	s_or_b32 exec_lo, exec_lo, s26
.LBB6_1367:                             ;   in Loop: Header=BB6_142 Depth=2
	s_delay_alu instid0(SALU_CYCLE_1) | instskip(SKIP_3) | instid1(VALU_DEP_1)
	s_or_b32 exec_lo, exec_lo, s25
	v_or_b32_e32 v59, v59, v46
	s_mov_b32 s11, 0
	s_mov_b32 s26, exec_lo
                                        ; implicit-def: $sgpr25
	v_and_b32_e32 v47, 0xff, v59
	s_delay_alu instid0(VALU_DEP_1)
	v_cmpx_lt_i16_e32 0x7f, v47
	s_xor_b32 s26, exec_lo, s26
	s_cbranch_execnz .LBB6_2421
; %bb.1368:                             ;   in Loop: Header=BB6_142 Depth=2
	s_or_saveexec_b32 s26, s26
	v_mov_b32_e32 v46, s25
	s_xor_b32 exec_lo, exec_lo, s26
	s_cbranch_execnz .LBB6_2424
.LBB6_1369:                             ;   in Loop: Header=BB6_142 Depth=2
	s_or_b32 exec_lo, exec_lo, s26
	s_and_saveexec_b32 s25, s11
	s_cbranch_execz .LBB6_1371
.LBB6_1370:                             ;   in Loop: Header=BB6_142 Depth=2
	v_and_b32_e32 v46, 7, v59
	v_bfe_u32 v77, v59, 3, 4
	v_lshlrev_b32_e32 v88, 24, v59
	s_delay_alu instid0(VALU_DEP_3) | instskip(NEXT) | instid1(VALU_DEP_3)
	v_clz_i32_u32_e32 v47, v46
	v_cmp_eq_u32_e32 vcc_lo, 0, v77
	s_delay_alu instid0(VALU_DEP_2) | instskip(NEXT) | instid1(VALU_DEP_1)
	v_min_u32_e32 v47, 32, v47
	v_subrev_nc_u32_e32 v74, 28, v47
	v_sub_nc_u32_e32 v47, 29, v47
	s_delay_alu instid0(VALU_DEP_2) | instskip(NEXT) | instid1(VALU_DEP_1)
	v_lshlrev_b32_e32 v74, v74, v59
	v_dual_cndmask_b32 v47, v77, v47 :: v_dual_and_b32 v74, 7, v74
	s_delay_alu instid0(VALU_DEP_1) | instskip(NEXT) | instid1(VALU_DEP_2)
	v_lshl_add_u32 v47, v47, 23, 0x3b800000
	v_cndmask_b32_e32 v46, v46, v74, vcc_lo
	v_and_b32_e32 v74, 0x80000000, v88
	s_delay_alu instid0(VALU_DEP_2) | instskip(NEXT) | instid1(VALU_DEP_1)
	v_lshlrev_b32_e32 v46, 20, v46
	v_or3_b32 v46, v74, v47, v46
.LBB6_1371:                             ;   in Loop: Header=BB6_142 Depth=2
	s_or_b32 exec_lo, exec_lo, s25
	v_and_b32_e32 v74, 0xff, v21
	s_mov_b32 s11, 0
	s_mov_b32 s26, exec_lo
                                        ; implicit-def: $sgpr25
	s_delay_alu instid0(VALU_DEP_1)
	v_cmpx_lt_i16_e32 0x7f, v74
	s_xor_b32 s26, exec_lo, s26
	s_cbranch_execnz .LBB6_2425
; %bb.1372:                             ;   in Loop: Header=BB6_142 Depth=2
	s_or_saveexec_b32 s26, s26
	v_mov_b32_e32 v47, s25
	s_xor_b32 exec_lo, exec_lo, s26
	s_cbranch_execnz .LBB6_2428
.LBB6_1373:                             ;   in Loop: Header=BB6_142 Depth=2
	s_or_b32 exec_lo, exec_lo, s26
	s_and_saveexec_b32 s25, s11
	s_cbranch_execz .LBB6_1375
.LBB6_1374:                             ;   in Loop: Header=BB6_142 Depth=2
	v_bfe_u32 v88, v21, 3, 4
	v_lshlrev_b32_e32 v89, 24, v21
	s_delay_alu instid0(VALU_DEP_2) | instskip(SKIP_1) | instid1(VALU_DEP_1)
	v_cmp_eq_u32_e32 vcc_lo, 0, v88
	v_and_b32_e32 v47, 7, v21
	v_clz_i32_u32_e32 v74, v47
	s_delay_alu instid0(VALU_DEP_1) | instskip(NEXT) | instid1(VALU_DEP_1)
	v_min_u32_e32 v74, 32, v74
	v_subrev_nc_u32_e32 v77, 28, v74
	v_sub_nc_u32_e32 v74, 29, v74
	s_delay_alu instid0(VALU_DEP_1) | instskip(NEXT) | instid1(VALU_DEP_1)
	v_dual_cndmask_b32 v74, v88, v74 :: v_dual_lshlrev_b32 v77, v77, v21
	v_and_b32_e32 v77, 7, v77
	s_delay_alu instid0(VALU_DEP_2) | instskip(NEXT) | instid1(VALU_DEP_2)
	v_lshl_add_u32 v74, v74, 23, 0x3b800000
	v_cndmask_b32_e32 v47, v47, v77, vcc_lo
	v_and_b32_e32 v77, 0x80000000, v89
	s_delay_alu instid0(VALU_DEP_2) | instskip(NEXT) | instid1(VALU_DEP_1)
	v_lshlrev_b32_e32 v47, 20, v47
	v_or3_b32 v47, v77, v74, v47
.LBB6_1375:                             ;   in Loop: Header=BB6_142 Depth=2
	s_or_b32 exec_lo, exec_lo, s25
	s_delay_alu instid0(VALU_DEP_1) | instskip(NEXT) | instid1(VALU_DEP_1)
	v_add_f32_e32 v47, v46, v47
	v_and_b32_e32 v46, 0x7f800000, v47
	s_delay_alu instid0(VALU_DEP_1)
	v_cmp_ne_u32_e32 vcc_lo, 0x7f800000, v46
	v_mov_b32_e32 v46, 0x80
	s_and_saveexec_b32 s25, vcc_lo
	s_cbranch_execz .LBB6_1383
; %bb.1376:                             ;   in Loop: Header=BB6_142 Depth=2
	v_mov_b32_e32 v46, 0
	s_mov_b32 s26, exec_lo
	v_cmpx_ne_u32_e32 0, v47
	s_cbranch_execz .LBB6_1382
; %bb.1377:                             ;   in Loop: Header=BB6_142 Depth=2
	v_bfe_u32 v46, v47, 23, 8
	s_delay_alu instid0(VALU_DEP_1) | instskip(SKIP_1) | instid1(VALU_DEP_2)
	v_sub_nc_u32_e32 v77, 0x78, v46
	v_cmp_gt_u32_e32 vcc_lo, 0x79, v46
	v_dual_cndmask_b32 v77, 0, v77 :: v_dual_and_b32 v74, 0x7fffff, v47
	s_delay_alu instid0(VALU_DEP_1) | instskip(SKIP_2) | instid1(VALU_DEP_4)
	v_or_b32_e32 v88, 0x800000, v74
	v_cmp_eq_u32_e32 vcc_lo, 0, v46
	v_add_nc_u32_e32 v46, 0xffffff89, v46
	v_cndmask_b32_e64 v77, v77, 0x77, vcc_lo
	s_delay_alu instid0(VALU_DEP_4) | instskip(NEXT) | instid1(VALU_DEP_3)
	v_cndmask_b32_e32 v74, v88, v74, vcc_lo
	v_cndmask_b32_e64 v46, v46, 0xffffff8a, vcc_lo
	s_delay_alu instid0(VALU_DEP_3) | instskip(NEXT) | instid1(VALU_DEP_3)
	v_lshl_add_u32 v88, 0x100000, v77, -1
	v_lshrrev_b32_e32 v89, v77, v74
	v_lshlrev_b32_e64 v91, v77, 0x80000
	s_delay_alu instid0(VALU_DEP_4) | instskip(NEXT) | instid1(VALU_DEP_4)
	v_add_nc_u32_e32 v77, v77, v46
	v_and_b32_e32 v74, v88, v74
	s_delay_alu instid0(VALU_DEP_4) | instskip(NEXT) | instid1(VALU_DEP_2)
	v_bfe_u32 v90, v89, 20, 1
	v_cmp_eq_u32_e64 s11, v74, v91
	s_delay_alu instid0(VALU_DEP_2) | instskip(NEXT) | instid1(VALU_DEP_1)
	v_add_nc_u32_e32 v88, -1, v90
	v_cndmask_b32_e64 v74, 0, v88, s11
	v_lshrrev_b32_e32 v88, 23, v89
	s_mov_b32 s11, exec_lo
	s_delay_alu instid0(VALU_DEP_2) | instskip(NEXT) | instid1(VALU_DEP_2)
	v_add_nc_u32_e32 v74, v74, v89
	v_xor_b32_e32 v88, 1, v88
	s_delay_alu instid0(VALU_DEP_2) | instskip(NEXT) | instid1(VALU_DEP_1)
	v_and_b32_e32 v46, 0xfffff, v74
	v_add_nc_u32_e32 v74, v46, v89
                                        ; implicit-def: $vgpr46
	s_delay_alu instid0(VALU_DEP_3)
	v_cmpx_ne_u32_e64 v77, v88
	s_xor_b32 s11, exec_lo, s11
; %bb.1378:                             ;   in Loop: Header=BB6_142 Depth=2
	s_delay_alu instid0(VALU_DEP_2) | instskip(SKIP_2) | instid1(VALU_DEP_2)
	v_cmp_lt_u32_e32 vcc_lo, 0xffffff, v74
	v_sub_nc_u32_e32 v46, v77, v88
	v_cndmask_b32_e64 v77, 0, 1, vcc_lo
	v_add_co_ci_u32_e32 v46, vcc_lo, 0, v46, vcc_lo
	s_delay_alu instid0(VALU_DEP_2)
	v_lshrrev_b32_e32 v74, v77, v74
; %bb.1379:                             ;   in Loop: Header=BB6_142 Depth=2
	s_and_not1_saveexec_b32 s11, s11
; %bb.1380:                             ;   in Loop: Header=BB6_142 Depth=2
	s_delay_alu instid0(VALU_DEP_1)
	v_bfe_u32 v46, v74, 23, 1
; %bb.1381:                             ;   in Loop: Header=BB6_142 Depth=2
	s_or_b32 exec_lo, exec_lo, s11
	v_lshrrev_b32_e32 v74, 20, v74
	s_delay_alu instid0(VALU_DEP_2) | instskip(SKIP_2) | instid1(VALU_DEP_2)
	v_cmp_gt_i32_e32 vcc_lo, 16, v46
	v_lshrrev_b32_e32 v47, 24, v47
	v_min_i32_e32 v77, 15, v46
	v_dual_cndmask_b32 v74, 7, v74 :: v_dual_and_b32 v47, 0x80, v47
	s_delay_alu instid0(VALU_DEP_1) | instskip(SKIP_1) | instid1(VALU_DEP_2)
	v_or_b32_e32 v46, v46, v74
	v_and_b32_e32 v88, 7, v74
	v_cmp_ne_u32_e32 vcc_lo, 0, v46
	v_lshlrev_b32_e32 v77, 3, v77
	s_delay_alu instid0(VALU_DEP_1) | instskip(NEXT) | instid1(VALU_DEP_1)
	v_or3_b32 v47, v77, v47, v88
	v_cndmask_b32_e32 v46, 0, v47, vcc_lo
.LBB6_1382:                             ;   in Loop: Header=BB6_142 Depth=2
	s_or_b32 exec_lo, exec_lo, s26
.LBB6_1383:                             ;   in Loop: Header=BB6_142 Depth=2
	s_delay_alu instid0(SALU_CYCLE_1) | instskip(SKIP_3) | instid1(VALU_DEP_1)
	s_or_b32 exec_lo, exec_lo, s25
	v_lshrrev_b16 v74, 8, v59
	s_mov_b32 s11, 0
	s_mov_b32 s26, exec_lo
                                        ; implicit-def: $sgpr25
	v_cmpx_lt_i16_e32 0x7f, v74
	s_xor_b32 s26, exec_lo, s26
	s_cbranch_execnz .LBB6_2429
; %bb.1384:                             ;   in Loop: Header=BB6_142 Depth=2
	s_or_saveexec_b32 s26, s26
	v_mov_b32_e32 v47, s25
	s_xor_b32 exec_lo, exec_lo, s26
	s_cbranch_execnz .LBB6_2432
.LBB6_1385:                             ;   in Loop: Header=BB6_142 Depth=2
	s_or_b32 exec_lo, exec_lo, s26
	s_and_saveexec_b32 s25, s11
	s_cbranch_execz .LBB6_1387
.LBB6_1386:                             ;   in Loop: Header=BB6_142 Depth=2
	v_and_b32_e32 v47, 0xffff, v74
	s_delay_alu instid0(VALU_DEP_1) | instskip(NEXT) | instid1(VALU_DEP_1)
	v_and_b32_e32 v77, 7, v47
	v_clz_i32_u32_e32 v88, v77
	s_delay_alu instid0(VALU_DEP_1) | instskip(NEXT) | instid1(VALU_DEP_1)
	v_min_u32_e32 v88, 32, v88
	v_subrev_nc_u32_e32 v89, 28, v88
	v_sub_nc_u32_e32 v88, 29, v88
	s_delay_alu instid0(VALU_DEP_2) | instskip(SKIP_1) | instid1(VALU_DEP_2)
	v_lshlrev_b32_e32 v89, v89, v47
	v_bfe_u32 v47, v47, 3, 4
	v_and_b32_e32 v89, 7, v89
	s_delay_alu instid0(VALU_DEP_2) | instskip(SKIP_1) | instid1(VALU_DEP_1)
	v_cmp_eq_u32_e32 vcc_lo, 0, v47
	v_dual_cndmask_b32 v47, v47, v88 :: v_dual_lshlrev_b32 v74, 24, v74
	v_dual_cndmask_b32 v77, v77, v89 :: v_dual_and_b32 v74, 0x80000000, v74
	s_delay_alu instid0(VALU_DEP_2) | instskip(NEXT) | instid1(VALU_DEP_2)
	v_lshl_add_u32 v47, v47, 23, 0x3b800000
	v_lshlrev_b32_e32 v77, 20, v77
	s_delay_alu instid0(VALU_DEP_1)
	v_or3_b32 v47, v74, v47, v77
.LBB6_1387:                             ;   in Loop: Header=BB6_142 Depth=2
	s_or_b32 exec_lo, exec_lo, s25
	v_lshrrev_b16 v74, 8, v21
	s_mov_b32 s11, 0
	s_mov_b32 s26, exec_lo
                                        ; implicit-def: $sgpr25
	s_delay_alu instid0(VALU_DEP_1)
	v_cmpx_lt_i16_e32 0x7f, v74
	s_xor_b32 s26, exec_lo, s26
	s_cbranch_execnz .LBB6_2433
; %bb.1388:                             ;   in Loop: Header=BB6_142 Depth=2
	s_or_saveexec_b32 s26, s26
	v_mov_b32_e32 v77, s25
	s_xor_b32 exec_lo, exec_lo, s26
	s_cbranch_execnz .LBB6_2436
.LBB6_1389:                             ;   in Loop: Header=BB6_142 Depth=2
	s_or_b32 exec_lo, exec_lo, s26
	s_and_saveexec_b32 s25, s11
	s_cbranch_execz .LBB6_1391
.LBB6_1390:                             ;   in Loop: Header=BB6_142 Depth=2
	v_and_b32_e32 v77, 0xffff, v74
	v_lshlrev_b32_e32 v74, 24, v74
	s_delay_alu instid0(VALU_DEP_2) | instskip(NEXT) | instid1(VALU_DEP_2)
	v_and_b32_e32 v88, 7, v77
	v_and_b32_e32 v74, 0x80000000, v74
	s_delay_alu instid0(VALU_DEP_2) | instskip(NEXT) | instid1(VALU_DEP_1)
	v_clz_i32_u32_e32 v89, v88
	v_min_u32_e32 v89, 32, v89
	s_delay_alu instid0(VALU_DEP_1) | instskip(SKIP_1) | instid1(VALU_DEP_2)
	v_subrev_nc_u32_e32 v90, 28, v89
	v_sub_nc_u32_e32 v89, 29, v89
	v_lshlrev_b32_e32 v90, v90, v77
	v_bfe_u32 v77, v77, 3, 4
	s_delay_alu instid0(VALU_DEP_1) | instskip(NEXT) | instid1(VALU_DEP_3)
	v_cmp_eq_u32_e32 vcc_lo, 0, v77
	v_dual_cndmask_b32 v77, v77, v89 :: v_dual_and_b32 v90, 7, v90
	s_delay_alu instid0(VALU_DEP_1) | instskip(NEXT) | instid1(VALU_DEP_2)
	v_cndmask_b32_e32 v88, v88, v90, vcc_lo
	v_lshl_add_u32 v77, v77, 23, 0x3b800000
	s_delay_alu instid0(VALU_DEP_2) | instskip(NEXT) | instid1(VALU_DEP_1)
	v_lshlrev_b32_e32 v88, 20, v88
	v_or3_b32 v77, v74, v77, v88
.LBB6_1391:                             ;   in Loop: Header=BB6_142 Depth=2
	s_or_b32 exec_lo, exec_lo, s25
	s_delay_alu instid0(VALU_DEP_1) | instskip(NEXT) | instid1(VALU_DEP_1)
	v_add_f32_e32 v74, v47, v77
	v_and_b32_e32 v47, 0x7f800000, v74
	s_delay_alu instid0(VALU_DEP_1)
	v_cmp_ne_u32_e32 vcc_lo, 0x7f800000, v47
	v_mov_b32_e32 v47, 0x8000
	s_and_saveexec_b32 s25, vcc_lo
	s_cbranch_execz .LBB6_1399
; %bb.1392:                             ;   in Loop: Header=BB6_142 Depth=2
	v_mov_b32_e32 v47, 0
	s_mov_b32 s26, exec_lo
	v_cmpx_ne_u32_e32 0, v74
	s_cbranch_execz .LBB6_1398
; %bb.1393:                             ;   in Loop: Header=BB6_142 Depth=2
	v_bfe_u32 v47, v74, 23, 8
	s_delay_alu instid0(VALU_DEP_1) | instskip(SKIP_1) | instid1(VALU_DEP_2)
	v_sub_nc_u32_e32 v88, 0x78, v47
	v_cmp_gt_u32_e32 vcc_lo, 0x79, v47
	v_dual_cndmask_b32 v88, 0, v88 :: v_dual_and_b32 v77, 0x7fffff, v74
	s_delay_alu instid0(VALU_DEP_1) | instskip(SKIP_2) | instid1(VALU_DEP_4)
	v_or_b32_e32 v89, 0x800000, v77
	v_cmp_eq_u32_e32 vcc_lo, 0, v47
	v_add_nc_u32_e32 v47, 0xffffff89, v47
	v_cndmask_b32_e64 v88, v88, 0x77, vcc_lo
	s_delay_alu instid0(VALU_DEP_2) | instskip(SKIP_1) | instid1(VALU_DEP_3)
	v_cndmask_b32_e64 v47, v47, 0xffffff8a, vcc_lo
	v_cndmask_b32_e32 v77, v89, v77, vcc_lo
	v_lshl_add_u32 v89, 0x100000, v88, -1
	v_lshlrev_b32_e64 v92, v88, 0x80000
	s_delay_alu instid0(VALU_DEP_3) | instskip(SKIP_1) | instid1(VALU_DEP_4)
	v_lshrrev_b32_e32 v90, v88, v77
	v_add_nc_u32_e32 v88, v88, v47
	v_and_b32_e32 v77, v89, v77
	s_delay_alu instid0(VALU_DEP_3) | instskip(NEXT) | instid1(VALU_DEP_2)
	v_bfe_u32 v91, v90, 20, 1
	v_cmp_eq_u32_e64 s11, v77, v92
	s_delay_alu instid0(VALU_DEP_2) | instskip(NEXT) | instid1(VALU_DEP_1)
	v_add_nc_u32_e32 v89, -1, v91
	v_cndmask_b32_e64 v77, 0, v89, s11
	v_lshrrev_b32_e32 v89, 23, v90
	s_mov_b32 s11, exec_lo
	s_delay_alu instid0(VALU_DEP_2) | instskip(NEXT) | instid1(VALU_DEP_2)
	v_add_nc_u32_e32 v77, v77, v90
	v_xor_b32_e32 v89, 1, v89
	s_delay_alu instid0(VALU_DEP_2) | instskip(NEXT) | instid1(VALU_DEP_1)
	v_and_b32_e32 v47, 0xfffff, v77
	v_add_nc_u32_e32 v77, v47, v90
                                        ; implicit-def: $vgpr47
	s_delay_alu instid0(VALU_DEP_3)
	v_cmpx_ne_u32_e64 v88, v89
	s_xor_b32 s11, exec_lo, s11
; %bb.1394:                             ;   in Loop: Header=BB6_142 Depth=2
	s_delay_alu instid0(VALU_DEP_2) | instskip(SKIP_2) | instid1(VALU_DEP_2)
	v_cmp_lt_u32_e32 vcc_lo, 0xffffff, v77
	v_sub_nc_u32_e32 v47, v88, v89
	v_cndmask_b32_e64 v88, 0, 1, vcc_lo
	v_add_co_ci_u32_e32 v47, vcc_lo, 0, v47, vcc_lo
	s_delay_alu instid0(VALU_DEP_2)
	v_lshrrev_b32_e32 v77, v88, v77
; %bb.1395:                             ;   in Loop: Header=BB6_142 Depth=2
	s_and_not1_saveexec_b32 s11, s11
; %bb.1396:                             ;   in Loop: Header=BB6_142 Depth=2
	s_delay_alu instid0(VALU_DEP_1)
	v_bfe_u32 v47, v77, 23, 1
; %bb.1397:                             ;   in Loop: Header=BB6_142 Depth=2
	s_or_b32 exec_lo, exec_lo, s11
	v_lshrrev_b32_e32 v77, 20, v77
	s_delay_alu instid0(VALU_DEP_2) | instskip(SKIP_2) | instid1(VALU_DEP_2)
	v_cmp_gt_i32_e32 vcc_lo, 16, v47
	v_min_i32_e32 v88, 15, v47
	v_lshrrev_b32_e32 v74, 24, v74
	v_dual_cndmask_b32 v77, 7, v77 :: v_dual_lshlrev_b32 v88, 3, v88
	s_delay_alu instid0(VALU_DEP_2) | instskip(NEXT) | instid1(VALU_DEP_2)
	v_and_b32_e32 v74, 0x80, v74
	v_or_b32_e32 v47, v47, v77
	v_and_b32_e32 v89, 7, v77
	s_delay_alu instid0(VALU_DEP_2) | instskip(SKIP_1) | instid1(VALU_DEP_1)
	v_cmp_ne_u32_e32 vcc_lo, 0, v47
	v_and_b32_e32 v88, 0xf8, v88
	v_or3_b32 v74, v74, v88, v89
	s_delay_alu instid0(VALU_DEP_1) | instskip(NEXT) | instid1(VALU_DEP_1)
	v_lshlrev_b32_e32 v74, 8, v74
	v_cndmask_b32_e32 v47, 0, v74, vcc_lo
.LBB6_1398:                             ;   in Loop: Header=BB6_142 Depth=2
	s_or_b32 exec_lo, exec_lo, s26
.LBB6_1399:                             ;   in Loop: Header=BB6_142 Depth=2
	s_delay_alu instid0(SALU_CYCLE_1) | instskip(SKIP_3) | instid1(VALU_DEP_1)
	s_or_b32 exec_lo, exec_lo, s25
	v_or_b32_e32 v56, v56, v45
	s_mov_b32 s11, 0
	s_mov_b32 s26, exec_lo
                                        ; implicit-def: $sgpr25
	v_and_b32_e32 v74, 0xff, v56
	s_delay_alu instid0(VALU_DEP_1)
	v_cmpx_lt_i16_e32 0x7f, v74
	s_xor_b32 s26, exec_lo, s26
	s_cbranch_execnz .LBB6_2437
; %bb.1400:                             ;   in Loop: Header=BB6_142 Depth=2
	s_or_saveexec_b32 s26, s26
	v_mov_b32_e32 v45, s25
	s_xor_b32 exec_lo, exec_lo, s26
	s_cbranch_execnz .LBB6_2440
.LBB6_1401:                             ;   in Loop: Header=BB6_142 Depth=2
	s_or_b32 exec_lo, exec_lo, s26
	v_lshl_or_b32 v56, v56, 16, v59
	s_and_saveexec_b32 s25, s11
	s_cbranch_execz .LBB6_1403
.LBB6_1402:                             ;   in Loop: Header=BB6_142 Depth=2
	s_delay_alu instid0(VALU_DEP_1) | instskip(SKIP_1) | instid1(VALU_DEP_2)
	v_bfe_u32 v45, v56, 16, 3
	v_lshrrev_b32_e32 v74, 16, v56
	v_clz_i32_u32_e32 v59, v45
	s_delay_alu instid0(VALU_DEP_1) | instskip(NEXT) | instid1(VALU_DEP_1)
	v_min_u32_e32 v59, 32, v59
	v_subrev_nc_u32_e32 v77, 28, v59
	v_sub_nc_u32_e32 v59, 29, v59
	s_delay_alu instid0(VALU_DEP_2) | instskip(SKIP_1) | instid1(VALU_DEP_1)
	v_lshlrev_b32_e32 v74, v77, v74
	v_bfe_u32 v77, v56, 19, 4
	v_cmp_eq_u32_e32 vcc_lo, 0, v77
	s_delay_alu instid0(VALU_DEP_3) | instskip(NEXT) | instid1(VALU_DEP_1)
	v_dual_cndmask_b32 v59, v77, v59 :: v_dual_and_b32 v74, 7, v74
	v_dual_cndmask_b32 v45, v45, v74 :: v_dual_lshlrev_b32 v88, 8, v56
	s_delay_alu instid0(VALU_DEP_2) | instskip(NEXT) | instid1(VALU_DEP_2)
	v_lshl_add_u32 v59, v59, 23, 0x3b800000
	v_and_b32_e32 v74, 0x80000000, v88
	s_delay_alu instid0(VALU_DEP_3) | instskip(NEXT) | instid1(VALU_DEP_1)
	v_lshlrev_b32_e32 v45, 20, v45
	v_or3_b32 v45, v74, v59, v45
.LBB6_1403:                             ;   in Loop: Header=BB6_142 Depth=2
	s_or_b32 exec_lo, exec_lo, s25
	v_lshrrev_b32_e32 v59, 16, v21
	s_mov_b32 s11, 0
	s_mov_b32 s26, exec_lo
                                        ; implicit-def: $sgpr25
	s_delay_alu instid0(VALU_DEP_1) | instskip(NEXT) | instid1(VALU_DEP_1)
	v_and_b32_e32 v77, 0xff, v59
	v_cmpx_lt_i16_e32 0x7f, v77
	s_xor_b32 s26, exec_lo, s26
	s_cbranch_execnz .LBB6_2441
; %bb.1404:                             ;   in Loop: Header=BB6_142 Depth=2
	s_or_saveexec_b32 s26, s26
	v_mov_b32_e32 v74, s25
	s_xor_b32 exec_lo, exec_lo, s26
	s_cbranch_execnz .LBB6_2444
.LBB6_1405:                             ;   in Loop: Header=BB6_142 Depth=2
	s_or_b32 exec_lo, exec_lo, s26
	s_and_saveexec_b32 s25, s11
	s_cbranch_execz .LBB6_1407
.LBB6_1406:                             ;   in Loop: Header=BB6_142 Depth=2
	v_bfe_u32 v74, v21, 16, 3
	v_lshlrev_b32_e32 v89, 8, v21
	s_delay_alu instid0(VALU_DEP_2) | instskip(NEXT) | instid1(VALU_DEP_1)
	v_clz_i32_u32_e32 v77, v74
	v_min_u32_e32 v77, 32, v77
	s_delay_alu instid0(VALU_DEP_1) | instskip(SKIP_1) | instid1(VALU_DEP_2)
	v_subrev_nc_u32_e32 v88, 28, v77
	v_sub_nc_u32_e32 v77, 29, v77
	v_lshlrev_b32_e32 v59, v88, v59
	v_bfe_u32 v88, v21, 19, 4
	s_delay_alu instid0(VALU_DEP_2) | instskip(NEXT) | instid1(VALU_DEP_2)
	v_and_b32_e32 v59, 7, v59
	v_cmp_eq_u32_e32 vcc_lo, 0, v88
	v_cndmask_b32_e32 v77, v88, v77, vcc_lo
	s_delay_alu instid0(VALU_DEP_3) | instskip(NEXT) | instid1(VALU_DEP_2)
	v_dual_cndmask_b32 v59, v74, v59 :: v_dual_and_b32 v74, 0x80000000, v89
	v_lshl_add_u32 v77, v77, 23, 0x3b800000
	s_delay_alu instid0(VALU_DEP_2) | instskip(NEXT) | instid1(VALU_DEP_1)
	v_lshlrev_b32_e32 v59, 20, v59
	v_or3_b32 v74, v74, v77, v59
.LBB6_1407:                             ;   in Loop: Header=BB6_142 Depth=2
	s_or_b32 exec_lo, exec_lo, s25
	s_delay_alu instid0(VALU_DEP_1) | instskip(NEXT) | instid1(VALU_DEP_1)
	v_add_f32_e32 v59, v45, v74
	v_and_b32_e32 v45, 0x7f800000, v59
	s_delay_alu instid0(VALU_DEP_1)
	v_cmp_ne_u32_e32 vcc_lo, 0x7f800000, v45
	v_mov_b32_e32 v45, 0x80
	s_and_saveexec_b32 s25, vcc_lo
	s_cbranch_execz .LBB6_1415
; %bb.1408:                             ;   in Loop: Header=BB6_142 Depth=2
	v_mov_b32_e32 v45, 0
	s_mov_b32 s26, exec_lo
	v_cmpx_ne_u32_e32 0, v59
	s_cbranch_execz .LBB6_1414
; %bb.1409:                             ;   in Loop: Header=BB6_142 Depth=2
	v_bfe_u32 v45, v59, 23, 8
	s_delay_alu instid0(VALU_DEP_1) | instskip(SKIP_1) | instid1(VALU_DEP_2)
	v_sub_nc_u32_e32 v77, 0x78, v45
	v_cmp_gt_u32_e32 vcc_lo, 0x79, v45
	v_dual_cndmask_b32 v77, 0, v77 :: v_dual_and_b32 v74, 0x7fffff, v59
	s_delay_alu instid0(VALU_DEP_1) | instskip(SKIP_2) | instid1(VALU_DEP_4)
	v_or_b32_e32 v88, 0x800000, v74
	v_cmp_eq_u32_e32 vcc_lo, 0, v45
	v_add_nc_u32_e32 v45, 0xffffff89, v45
	v_cndmask_b32_e64 v77, v77, 0x77, vcc_lo
	s_delay_alu instid0(VALU_DEP_4) | instskip(NEXT) | instid1(VALU_DEP_3)
	v_cndmask_b32_e32 v74, v88, v74, vcc_lo
	v_cndmask_b32_e64 v45, v45, 0xffffff8a, vcc_lo
	s_delay_alu instid0(VALU_DEP_3) | instskip(NEXT) | instid1(VALU_DEP_3)
	v_lshl_add_u32 v88, 0x100000, v77, -1
	v_lshrrev_b32_e32 v89, v77, v74
	v_lshlrev_b32_e64 v91, v77, 0x80000
	s_delay_alu instid0(VALU_DEP_4) | instskip(NEXT) | instid1(VALU_DEP_4)
	v_add_nc_u32_e32 v77, v77, v45
	v_and_b32_e32 v74, v88, v74
	s_delay_alu instid0(VALU_DEP_4) | instskip(NEXT) | instid1(VALU_DEP_2)
	v_bfe_u32 v90, v89, 20, 1
	v_cmp_eq_u32_e64 s11, v74, v91
	s_delay_alu instid0(VALU_DEP_2) | instskip(NEXT) | instid1(VALU_DEP_1)
	v_add_nc_u32_e32 v88, -1, v90
	v_cndmask_b32_e64 v74, 0, v88, s11
	v_lshrrev_b32_e32 v88, 23, v89
	s_mov_b32 s11, exec_lo
	s_delay_alu instid0(VALU_DEP_2) | instskip(NEXT) | instid1(VALU_DEP_2)
	v_add_nc_u32_e32 v74, v74, v89
	v_xor_b32_e32 v88, 1, v88
	s_delay_alu instid0(VALU_DEP_2) | instskip(NEXT) | instid1(VALU_DEP_1)
	v_and_b32_e32 v45, 0xfffff, v74
	v_add_nc_u32_e32 v74, v45, v89
                                        ; implicit-def: $vgpr45
	s_delay_alu instid0(VALU_DEP_3)
	v_cmpx_ne_u32_e64 v77, v88
	s_xor_b32 s11, exec_lo, s11
; %bb.1410:                             ;   in Loop: Header=BB6_142 Depth=2
	s_delay_alu instid0(VALU_DEP_2) | instskip(SKIP_2) | instid1(VALU_DEP_2)
	v_cmp_lt_u32_e32 vcc_lo, 0xffffff, v74
	v_sub_nc_u32_e32 v45, v77, v88
	v_cndmask_b32_e64 v77, 0, 1, vcc_lo
	v_add_co_ci_u32_e32 v45, vcc_lo, 0, v45, vcc_lo
	s_delay_alu instid0(VALU_DEP_2)
	v_lshrrev_b32_e32 v74, v77, v74
; %bb.1411:                             ;   in Loop: Header=BB6_142 Depth=2
	s_and_not1_saveexec_b32 s11, s11
; %bb.1412:                             ;   in Loop: Header=BB6_142 Depth=2
	s_delay_alu instid0(VALU_DEP_1)
	v_bfe_u32 v45, v74, 23, 1
; %bb.1413:                             ;   in Loop: Header=BB6_142 Depth=2
	s_or_b32 exec_lo, exec_lo, s11
	v_lshrrev_b32_e32 v74, 20, v74
	s_delay_alu instid0(VALU_DEP_2) | instskip(SKIP_2) | instid1(VALU_DEP_2)
	v_cmp_gt_i32_e32 vcc_lo, 16, v45
	v_min_i32_e32 v77, 15, v45
	v_lshrrev_b32_e32 v59, 24, v59
	v_dual_cndmask_b32 v74, 7, v74 :: v_dual_lshlrev_b32 v77, 3, v77
	s_delay_alu instid0(VALU_DEP_2) | instskip(NEXT) | instid1(VALU_DEP_2)
	v_and_b32_e32 v59, 0x80, v59
	v_or_b32_e32 v45, v45, v74
	s_delay_alu instid0(VALU_DEP_3) | instskip(NEXT) | instid1(VALU_DEP_2)
	v_and_b32_e32 v77, 0xf8, v77
	v_cmp_ne_u32_e32 vcc_lo, 0, v45
	v_and_b32_e32 v88, 7, v74
	s_delay_alu instid0(VALU_DEP_1) | instskip(NEXT) | instid1(VALU_DEP_1)
	v_or3_b32 v59, v77, v59, v88
	v_cndmask_b32_e32 v45, 0, v59, vcc_lo
.LBB6_1414:                             ;   in Loop: Header=BB6_142 Depth=2
	s_or_b32 exec_lo, exec_lo, s26
.LBB6_1415:                             ;   in Loop: Header=BB6_142 Depth=2
	s_delay_alu instid0(SALU_CYCLE_1) | instskip(SKIP_3) | instid1(VALU_DEP_1)
	s_or_b32 exec_lo, exec_lo, s25
	v_lshrrev_b32_e32 v74, 24, v56
	s_mov_b32 s11, 0
	s_mov_b32 s26, exec_lo
                                        ; implicit-def: $sgpr25
	v_cmpx_lt_i16_e32 0x7f, v74
	s_xor_b32 s26, exec_lo, s26
	s_cbranch_execnz .LBB6_2445
; %bb.1416:                             ;   in Loop: Header=BB6_142 Depth=2
	s_or_saveexec_b32 s26, s26
	v_mov_b32_e32 v59, s25
	s_xor_b32 exec_lo, exec_lo, s26
	s_cbranch_execnz .LBB6_2448
.LBB6_1417:                             ;   in Loop: Header=BB6_142 Depth=2
	s_or_b32 exec_lo, exec_lo, s26
	s_and_saveexec_b32 s25, s11
	s_cbranch_execz .LBB6_1419
.LBB6_1418:                             ;   in Loop: Header=BB6_142 Depth=2
	v_bfe_u32 v59, v56, 24, 3
	s_delay_alu instid0(VALU_DEP_1) | instskip(NEXT) | instid1(VALU_DEP_1)
	v_clz_i32_u32_e32 v77, v59
	v_min_u32_e32 v77, 32, v77
	s_delay_alu instid0(VALU_DEP_1) | instskip(SKIP_1) | instid1(VALU_DEP_2)
	v_subrev_nc_u32_e32 v88, 28, v77
	v_sub_nc_u32_e32 v77, 29, v77
	v_lshlrev_b32_e32 v74, v88, v74
	v_bfe_u32 v88, v56, 27, 4
	v_and_b32_e32 v56, 0x80000000, v56
	s_delay_alu instid0(VALU_DEP_2) | instskip(NEXT) | instid1(VALU_DEP_4)
	v_cmp_eq_u32_e32 vcc_lo, 0, v88
	v_dual_cndmask_b32 v77, v88, v77 :: v_dual_and_b32 v74, 7, v74
	s_delay_alu instid0(VALU_DEP_1) | instskip(NEXT) | instid1(VALU_DEP_2)
	v_cndmask_b32_e32 v59, v59, v74, vcc_lo
	v_lshl_add_u32 v74, v77, 23, 0x3b800000
	s_delay_alu instid0(VALU_DEP_2) | instskip(NEXT) | instid1(VALU_DEP_1)
	v_lshlrev_b32_e32 v59, 20, v59
	v_or3_b32 v59, v56, v74, v59
.LBB6_1419:                             ;   in Loop: Header=BB6_142 Depth=2
	s_or_b32 exec_lo, exec_lo, s25
	v_lshrrev_b32_e32 v56, 24, v21
	s_mov_b32 s11, 0
	s_mov_b32 s26, exec_lo
                                        ; implicit-def: $sgpr25
	s_delay_alu instid0(VALU_DEP_1)
	v_cmpx_lt_i16_e32 0x7f, v56
	s_xor_b32 s26, exec_lo, s26
	s_cbranch_execnz .LBB6_2449
; %bb.1420:                             ;   in Loop: Header=BB6_142 Depth=2
	s_or_saveexec_b32 s26, s26
	v_mov_b32_e32 v74, s25
	s_xor_b32 exec_lo, exec_lo, s26
	s_cbranch_execnz .LBB6_2452
.LBB6_1421:                             ;   in Loop: Header=BB6_142 Depth=2
	s_or_b32 exec_lo, exec_lo, s26
	s_and_saveexec_b32 s25, s11
	s_cbranch_execz .LBB6_1423
.LBB6_1422:                             ;   in Loop: Header=BB6_142 Depth=2
	v_bfe_u32 v74, v21, 24, 3
	s_delay_alu instid0(VALU_DEP_1) | instskip(NEXT) | instid1(VALU_DEP_1)
	v_clz_i32_u32_e32 v77, v74
	v_min_u32_e32 v77, 32, v77
	s_delay_alu instid0(VALU_DEP_1) | instskip(SKIP_1) | instid1(VALU_DEP_2)
	v_subrev_nc_u32_e32 v88, 28, v77
	v_sub_nc_u32_e32 v77, 29, v77
	v_lshlrev_b32_e32 v56, v88, v56
	v_bfe_u32 v88, v21, 27, 4
	v_and_b32_e32 v21, 0x80000000, v21
	s_delay_alu instid0(VALU_DEP_2) | instskip(NEXT) | instid1(VALU_DEP_4)
	v_cmp_eq_u32_e32 vcc_lo, 0, v88
	v_dual_cndmask_b32 v77, v88, v77 :: v_dual_and_b32 v56, 7, v56
	s_delay_alu instid0(VALU_DEP_1) | instskip(NEXT) | instid1(VALU_DEP_2)
	v_cndmask_b32_e32 v56, v74, v56, vcc_lo
	v_lshl_add_u32 v74, v77, 23, 0x3b800000
	s_delay_alu instid0(VALU_DEP_2) | instskip(NEXT) | instid1(VALU_DEP_1)
	v_lshlrev_b32_e32 v56, 20, v56
	v_or3_b32 v74, v21, v74, v56
.LBB6_1423:                             ;   in Loop: Header=BB6_142 Depth=2
	s_or_b32 exec_lo, exec_lo, s25
	s_delay_alu instid0(VALU_DEP_1) | instskip(NEXT) | instid1(VALU_DEP_1)
	v_add_f32_e32 v56, v59, v74
	v_and_b32_e32 v21, 0x7f800000, v56
	s_delay_alu instid0(VALU_DEP_1)
	v_cmp_ne_u32_e32 vcc_lo, 0x7f800000, v21
	v_mov_b32_e32 v21, 0x8000
	s_and_saveexec_b32 s25, vcc_lo
	s_cbranch_execz .LBB6_1431
; %bb.1424:                             ;   in Loop: Header=BB6_142 Depth=2
	v_mov_b32_e32 v21, 0
	s_mov_b32 s26, exec_lo
	v_cmpx_ne_u32_e32 0, v56
	s_cbranch_execz .LBB6_1430
; %bb.1425:                             ;   in Loop: Header=BB6_142 Depth=2
	v_bfe_u32 v21, v56, 23, 8
	s_delay_alu instid0(VALU_DEP_1) | instskip(SKIP_1) | instid1(VALU_DEP_2)
	v_sub_nc_u32_e32 v74, 0x78, v21
	v_cmp_gt_u32_e32 vcc_lo, 0x79, v21
	v_dual_cndmask_b32 v74, 0, v74 :: v_dual_and_b32 v59, 0x7fffff, v56
	s_delay_alu instid0(VALU_DEP_1) | instskip(SKIP_2) | instid1(VALU_DEP_4)
	v_or_b32_e32 v77, 0x800000, v59
	v_cmp_eq_u32_e32 vcc_lo, 0, v21
	v_add_nc_u32_e32 v21, 0xffffff89, v21
	v_cndmask_b32_e64 v74, v74, 0x77, vcc_lo
	s_delay_alu instid0(VALU_DEP_2) | instskip(SKIP_1) | instid1(VALU_DEP_3)
	v_cndmask_b32_e64 v21, v21, 0xffffff8a, vcc_lo
	v_cndmask_b32_e32 v59, v77, v59, vcc_lo
	v_lshl_add_u32 v77, 0x100000, v74, -1
	v_lshlrev_b32_e64 v90, v74, 0x80000
	s_delay_alu instid0(VALU_DEP_3) | instskip(SKIP_1) | instid1(VALU_DEP_4)
	v_lshrrev_b32_e32 v88, v74, v59
	v_add_nc_u32_e32 v74, v74, v21
	v_and_b32_e32 v59, v77, v59
	s_delay_alu instid0(VALU_DEP_3) | instskip(NEXT) | instid1(VALU_DEP_2)
	v_bfe_u32 v89, v88, 20, 1
	v_cmp_eq_u32_e64 s11, v59, v90
	s_delay_alu instid0(VALU_DEP_2) | instskip(NEXT) | instid1(VALU_DEP_1)
	v_add_nc_u32_e32 v77, -1, v89
	v_cndmask_b32_e64 v59, 0, v77, s11
	v_lshrrev_b32_e32 v77, 23, v88
	s_mov_b32 s11, exec_lo
	s_delay_alu instid0(VALU_DEP_2) | instskip(NEXT) | instid1(VALU_DEP_2)
	v_add_nc_u32_e32 v59, v59, v88
	v_xor_b32_e32 v77, 1, v77
	s_delay_alu instid0(VALU_DEP_2) | instskip(NEXT) | instid1(VALU_DEP_1)
	v_and_b32_e32 v21, 0xfffff, v59
	v_add_nc_u32_e32 v59, v21, v88
                                        ; implicit-def: $vgpr21
	s_delay_alu instid0(VALU_DEP_3)
	v_cmpx_ne_u32_e64 v74, v77
	s_xor_b32 s11, exec_lo, s11
; %bb.1426:                             ;   in Loop: Header=BB6_142 Depth=2
	s_delay_alu instid0(VALU_DEP_2) | instskip(SKIP_2) | instid1(VALU_DEP_2)
	v_cmp_lt_u32_e32 vcc_lo, 0xffffff, v59
	v_sub_nc_u32_e32 v21, v74, v77
	v_cndmask_b32_e64 v74, 0, 1, vcc_lo
	v_add_co_ci_u32_e32 v21, vcc_lo, 0, v21, vcc_lo
	s_delay_alu instid0(VALU_DEP_2)
	v_lshrrev_b32_e32 v59, v74, v59
; %bb.1427:                             ;   in Loop: Header=BB6_142 Depth=2
	s_and_not1_saveexec_b32 s11, s11
; %bb.1428:                             ;   in Loop: Header=BB6_142 Depth=2
	s_delay_alu instid0(VALU_DEP_1)
	v_bfe_u32 v21, v59, 23, 1
; %bb.1429:                             ;   in Loop: Header=BB6_142 Depth=2
	s_or_b32 exec_lo, exec_lo, s11
	v_lshrrev_b32_e32 v59, 20, v59
	s_delay_alu instid0(VALU_DEP_2) | instskip(SKIP_2) | instid1(VALU_DEP_2)
	v_cmp_gt_i32_e32 vcc_lo, 16, v21
	v_min_i32_e32 v74, 15, v21
	v_lshrrev_b32_e32 v56, 24, v56
	v_dual_cndmask_b32 v59, 7, v59 :: v_dual_lshlrev_b32 v74, 3, v74
	s_delay_alu instid0(VALU_DEP_2) | instskip(NEXT) | instid1(VALU_DEP_2)
	v_and_b32_e32 v56, 0x80, v56
	v_or_b32_e32 v21, v21, v59
	v_and_b32_e32 v77, 7, v59
	s_delay_alu instid0(VALU_DEP_2) | instskip(SKIP_1) | instid1(VALU_DEP_1)
	v_cmp_ne_u32_e32 vcc_lo, 0, v21
	v_and_b32_e32 v74, 0xf8, v74
	v_or3_b32 v56, v56, v74, v77
	s_delay_alu instid0(VALU_DEP_1) | instskip(NEXT) | instid1(VALU_DEP_1)
	v_lshlrev_b32_e32 v56, 8, v56
	v_cndmask_b32_e32 v21, 0, v56, vcc_lo
.LBB6_1430:                             ;   in Loop: Header=BB6_142 Depth=2
	s_or_b32 exec_lo, exec_lo, s26
.LBB6_1431:                             ;   in Loop: Header=BB6_142 Depth=2
	s_delay_alu instid0(SALU_CYCLE_1) | instskip(SKIP_3) | instid1(VALU_DEP_1)
	s_or_b32 exec_lo, exec_lo, s25
	v_and_b32_e32 v59, 0xff, v43
	s_mov_b32 s11, 0
	s_mov_b32 s26, exec_lo
                                        ; implicit-def: $sgpr25
	v_cmpx_lt_i16_e32 0x7f, v59
	s_xor_b32 s26, exec_lo, s26
	s_cbranch_execnz .LBB6_2453
; %bb.1432:                             ;   in Loop: Header=BB6_142 Depth=2
	s_or_saveexec_b32 s26, s26
	v_mov_b32_e32 v56, s25
	s_xor_b32 exec_lo, exec_lo, s26
	s_cbranch_execnz .LBB6_2456
.LBB6_1433:                             ;   in Loop: Header=BB6_142 Depth=2
	s_or_b32 exec_lo, exec_lo, s26
	s_and_saveexec_b32 s25, s11
	s_cbranch_execz .LBB6_1435
.LBB6_1434:                             ;   in Loop: Header=BB6_142 Depth=2
	v_and_b32_e32 v56, 7, v43
	v_bfe_u32 v77, v43, 3, 4
	s_delay_alu instid0(VALU_DEP_2) | instskip(NEXT) | instid1(VALU_DEP_2)
	v_clz_i32_u32_e32 v59, v56
	v_cmp_eq_u32_e32 vcc_lo, 0, v77
	s_delay_alu instid0(VALU_DEP_2) | instskip(NEXT) | instid1(VALU_DEP_1)
	v_min_u32_e32 v59, 32, v59
	v_subrev_nc_u32_e32 v74, 28, v59
	v_sub_nc_u32_e32 v59, 29, v59
	s_delay_alu instid0(VALU_DEP_2) | instskip(NEXT) | instid1(VALU_DEP_1)
	v_lshlrev_b32_e32 v74, v74, v43
	v_dual_cndmask_b32 v59, v77, v59 :: v_dual_and_b32 v74, 7, v74
	v_lshlrev_b32_e32 v43, 24, v43
	s_delay_alu instid0(VALU_DEP_2) | instskip(NEXT) | instid1(VALU_DEP_2)
	v_lshl_add_u32 v59, v59, 23, 0x3b800000
	v_dual_cndmask_b32 v56, v56, v74 :: v_dual_and_b32 v43, 0x80000000, v43
	s_delay_alu instid0(VALU_DEP_1) | instskip(NEXT) | instid1(VALU_DEP_1)
	v_lshlrev_b32_e32 v56, 20, v56
	v_or3_b32 v56, v43, v59, v56
.LBB6_1435:                             ;   in Loop: Header=BB6_142 Depth=2
	s_or_b32 exec_lo, exec_lo, s25
	s_waitcnt vmcnt(1)
	v_and_b32_e32 v59, 0xff, v14
	s_mov_b32 s11, 0
	s_mov_b32 s26, exec_lo
                                        ; implicit-def: $sgpr25
	s_delay_alu instid0(VALU_DEP_1)
	v_cmpx_lt_i16_e32 0x7f, v59
	s_xor_b32 s26, exec_lo, s26
	s_cbranch_execnz .LBB6_2457
; %bb.1436:                             ;   in Loop: Header=BB6_142 Depth=2
	s_or_saveexec_b32 s26, s26
	v_mov_b32_e32 v43, s25
	s_xor_b32 exec_lo, exec_lo, s26
	s_cbranch_execnz .LBB6_2460
.LBB6_1437:                             ;   in Loop: Header=BB6_142 Depth=2
	s_or_b32 exec_lo, exec_lo, s26
	s_and_saveexec_b32 s25, s11
	s_cbranch_execz .LBB6_1439
.LBB6_1438:                             ;   in Loop: Header=BB6_142 Depth=2
	v_and_b32_e32 v43, 7, v14
	v_bfe_u32 v77, v14, 3, 4
	v_lshlrev_b32_e32 v88, 24, v14
	s_delay_alu instid0(VALU_DEP_3) | instskip(NEXT) | instid1(VALU_DEP_3)
	v_clz_i32_u32_e32 v59, v43
	v_cmp_eq_u32_e32 vcc_lo, 0, v77
	s_delay_alu instid0(VALU_DEP_2) | instskip(NEXT) | instid1(VALU_DEP_1)
	v_min_u32_e32 v59, 32, v59
	v_subrev_nc_u32_e32 v74, 28, v59
	v_sub_nc_u32_e32 v59, 29, v59
	s_delay_alu instid0(VALU_DEP_1) | instskip(NEXT) | instid1(VALU_DEP_1)
	v_dual_cndmask_b32 v59, v77, v59 :: v_dual_lshlrev_b32 v74, v74, v14
	v_and_b32_e32 v74, 7, v74
	s_delay_alu instid0(VALU_DEP_2) | instskip(NEXT) | instid1(VALU_DEP_2)
	v_lshl_add_u32 v59, v59, 23, 0x3b800000
	v_dual_cndmask_b32 v43, v43, v74 :: v_dual_and_b32 v74, 0x80000000, v88
	s_delay_alu instid0(VALU_DEP_1) | instskip(NEXT) | instid1(VALU_DEP_1)
	v_lshlrev_b32_e32 v43, 20, v43
	v_or3_b32 v43, v74, v59, v43
.LBB6_1439:                             ;   in Loop: Header=BB6_142 Depth=2
	s_or_b32 exec_lo, exec_lo, s25
	s_delay_alu instid0(VALU_DEP_1) | instskip(NEXT) | instid1(VALU_DEP_1)
	v_add_f32_e32 v56, v56, v43
	v_and_b32_e32 v43, 0x7f800000, v56
	s_delay_alu instid0(VALU_DEP_1)
	v_cmp_ne_u32_e32 vcc_lo, 0x7f800000, v43
	v_mov_b32_e32 v43, 0x80
	s_and_saveexec_b32 s25, vcc_lo
	s_cbranch_execz .LBB6_1447
; %bb.1440:                             ;   in Loop: Header=BB6_142 Depth=2
	v_mov_b32_e32 v43, 0
	s_mov_b32 s26, exec_lo
	v_cmpx_ne_u32_e32 0, v56
	s_cbranch_execz .LBB6_1446
; %bb.1441:                             ;   in Loop: Header=BB6_142 Depth=2
	v_bfe_u32 v43, v56, 23, 8
	s_delay_alu instid0(VALU_DEP_1) | instskip(SKIP_1) | instid1(VALU_DEP_2)
	v_sub_nc_u32_e32 v74, 0x78, v43
	v_cmp_gt_u32_e32 vcc_lo, 0x79, v43
	v_dual_cndmask_b32 v74, 0, v74 :: v_dual_and_b32 v59, 0x7fffff, v56
	s_delay_alu instid0(VALU_DEP_1) | instskip(SKIP_2) | instid1(VALU_DEP_4)
	v_or_b32_e32 v77, 0x800000, v59
	v_cmp_eq_u32_e32 vcc_lo, 0, v43
	v_add_nc_u32_e32 v43, 0xffffff89, v43
	v_cndmask_b32_e64 v74, v74, 0x77, vcc_lo
	s_delay_alu instid0(VALU_DEP_4) | instskip(NEXT) | instid1(VALU_DEP_3)
	v_cndmask_b32_e32 v59, v77, v59, vcc_lo
	v_cndmask_b32_e64 v43, v43, 0xffffff8a, vcc_lo
	s_delay_alu instid0(VALU_DEP_3) | instskip(NEXT) | instid1(VALU_DEP_3)
	v_lshl_add_u32 v77, 0x100000, v74, -1
	v_lshrrev_b32_e32 v88, v74, v59
	v_lshlrev_b32_e64 v90, v74, 0x80000
	s_delay_alu instid0(VALU_DEP_4) | instskip(NEXT) | instid1(VALU_DEP_4)
	v_add_nc_u32_e32 v74, v74, v43
	v_and_b32_e32 v59, v77, v59
	s_delay_alu instid0(VALU_DEP_4) | instskip(NEXT) | instid1(VALU_DEP_2)
	v_bfe_u32 v89, v88, 20, 1
	v_cmp_eq_u32_e64 s11, v59, v90
	s_delay_alu instid0(VALU_DEP_2) | instskip(NEXT) | instid1(VALU_DEP_1)
	v_add_nc_u32_e32 v77, -1, v89
	v_cndmask_b32_e64 v59, 0, v77, s11
	v_lshrrev_b32_e32 v77, 23, v88
	s_mov_b32 s11, exec_lo
	s_delay_alu instid0(VALU_DEP_2) | instskip(NEXT) | instid1(VALU_DEP_2)
	v_add_nc_u32_e32 v59, v59, v88
	v_xor_b32_e32 v77, 1, v77
	s_delay_alu instid0(VALU_DEP_2) | instskip(NEXT) | instid1(VALU_DEP_1)
	v_and_b32_e32 v43, 0xfffff, v59
	v_add_nc_u32_e32 v59, v43, v88
                                        ; implicit-def: $vgpr43
	s_delay_alu instid0(VALU_DEP_3)
	v_cmpx_ne_u32_e64 v74, v77
	s_xor_b32 s11, exec_lo, s11
; %bb.1442:                             ;   in Loop: Header=BB6_142 Depth=2
	s_delay_alu instid0(VALU_DEP_2) | instskip(SKIP_2) | instid1(VALU_DEP_2)
	v_cmp_lt_u32_e32 vcc_lo, 0xffffff, v59
	v_sub_nc_u32_e32 v43, v74, v77
	v_cndmask_b32_e64 v74, 0, 1, vcc_lo
	v_add_co_ci_u32_e32 v43, vcc_lo, 0, v43, vcc_lo
	s_delay_alu instid0(VALU_DEP_2)
	v_lshrrev_b32_e32 v59, v74, v59
; %bb.1443:                             ;   in Loop: Header=BB6_142 Depth=2
	s_and_not1_saveexec_b32 s11, s11
; %bb.1444:                             ;   in Loop: Header=BB6_142 Depth=2
	s_delay_alu instid0(VALU_DEP_1)
	v_bfe_u32 v43, v59, 23, 1
; %bb.1445:                             ;   in Loop: Header=BB6_142 Depth=2
	s_or_b32 exec_lo, exec_lo, s11
	v_lshrrev_b32_e32 v59, 20, v59
	s_delay_alu instid0(VALU_DEP_2) | instskip(SKIP_2) | instid1(VALU_DEP_2)
	v_cmp_gt_i32_e32 vcc_lo, 16, v43
	v_lshrrev_b32_e32 v56, 24, v56
	v_min_i32_e32 v74, 15, v43
	v_dual_cndmask_b32 v59, 7, v59 :: v_dual_and_b32 v56, 0x80, v56
	s_delay_alu instid0(VALU_DEP_1) | instskip(SKIP_1) | instid1(VALU_DEP_2)
	v_or_b32_e32 v43, v43, v59
	v_and_b32_e32 v77, 7, v59
	v_cmp_ne_u32_e32 vcc_lo, 0, v43
	v_lshlrev_b32_e32 v74, 3, v74
	s_delay_alu instid0(VALU_DEP_1) | instskip(NEXT) | instid1(VALU_DEP_1)
	v_or3_b32 v56, v74, v56, v77
	v_cndmask_b32_e32 v43, 0, v56, vcc_lo
.LBB6_1446:                             ;   in Loop: Header=BB6_142 Depth=2
	s_or_b32 exec_lo, exec_lo, s26
.LBB6_1447:                             ;   in Loop: Header=BB6_142 Depth=2
	s_delay_alu instid0(SALU_CYCLE_1) | instskip(SKIP_3) | instid1(VALU_DEP_1)
	s_or_b32 exec_lo, exec_lo, s25
	v_and_b32_e32 v59, 0xff, v41
	s_mov_b32 s11, 0
	s_mov_b32 s26, exec_lo
                                        ; implicit-def: $sgpr25
	v_cmpx_lt_i16_e32 0x7f, v59
	s_xor_b32 s26, exec_lo, s26
	s_cbranch_execnz .LBB6_2461
; %bb.1448:                             ;   in Loop: Header=BB6_142 Depth=2
	s_or_saveexec_b32 s26, s26
	v_mov_b32_e32 v56, s25
	s_xor_b32 exec_lo, exec_lo, s26
	s_cbranch_execnz .LBB6_2464
.LBB6_1449:                             ;   in Loop: Header=BB6_142 Depth=2
	s_or_b32 exec_lo, exec_lo, s26
	s_and_saveexec_b32 s25, s11
	s_cbranch_execz .LBB6_1451
.LBB6_1450:                             ;   in Loop: Header=BB6_142 Depth=2
	v_bfe_u32 v77, v41, 3, 4
	s_delay_alu instid0(VALU_DEP_1) | instskip(SKIP_1) | instid1(VALU_DEP_1)
	v_cmp_eq_u32_e32 vcc_lo, 0, v77
	v_and_b32_e32 v56, 7, v41
	v_clz_i32_u32_e32 v59, v56
	s_delay_alu instid0(VALU_DEP_1) | instskip(NEXT) | instid1(VALU_DEP_1)
	v_min_u32_e32 v59, 32, v59
	v_subrev_nc_u32_e32 v74, 28, v59
	v_sub_nc_u32_e32 v59, 29, v59
	s_delay_alu instid0(VALU_DEP_1) | instskip(NEXT) | instid1(VALU_DEP_1)
	v_dual_cndmask_b32 v59, v77, v59 :: v_dual_lshlrev_b32 v74, v74, v41
	v_and_b32_e32 v74, 7, v74
	v_lshlrev_b32_e32 v41, 24, v41
	s_delay_alu instid0(VALU_DEP_3) | instskip(NEXT) | instid1(VALU_DEP_2)
	v_lshl_add_u32 v59, v59, 23, 0x3b800000
	v_dual_cndmask_b32 v56, v56, v74 :: v_dual_and_b32 v41, 0x80000000, v41
	s_delay_alu instid0(VALU_DEP_1) | instskip(NEXT) | instid1(VALU_DEP_1)
	v_lshlrev_b32_e32 v56, 20, v56
	v_or3_b32 v56, v41, v59, v56
.LBB6_1451:                             ;   in Loop: Header=BB6_142 Depth=2
	s_or_b32 exec_lo, exec_lo, s25
	v_lshrrev_b16 v41, 8, v14
	s_mov_b32 s11, 0
	s_mov_b32 s26, exec_lo
                                        ; implicit-def: $sgpr25
	s_delay_alu instid0(VALU_DEP_1)
	v_cmpx_lt_i16_e32 0x7f, v41
	s_xor_b32 s26, exec_lo, s26
	s_cbranch_execnz .LBB6_2465
; %bb.1452:                             ;   in Loop: Header=BB6_142 Depth=2
	s_or_saveexec_b32 s26, s26
	v_mov_b32_e32 v59, s25
	s_xor_b32 exec_lo, exec_lo, s26
	s_cbranch_execnz .LBB6_2468
.LBB6_1453:                             ;   in Loop: Header=BB6_142 Depth=2
	s_or_b32 exec_lo, exec_lo, s26
	s_and_saveexec_b32 s25, s11
	s_cbranch_execz .LBB6_1455
.LBB6_1454:                             ;   in Loop: Header=BB6_142 Depth=2
	v_and_b32_e32 v59, 0xffff, v41
	v_lshlrev_b32_e32 v41, 24, v41
	s_delay_alu instid0(VALU_DEP_2) | instskip(NEXT) | instid1(VALU_DEP_2)
	v_and_b32_e32 v74, 7, v59
	v_and_b32_e32 v41, 0x80000000, v41
	s_delay_alu instid0(VALU_DEP_2) | instskip(NEXT) | instid1(VALU_DEP_1)
	v_clz_i32_u32_e32 v77, v74
	v_min_u32_e32 v77, 32, v77
	s_delay_alu instid0(VALU_DEP_1) | instskip(SKIP_1) | instid1(VALU_DEP_2)
	v_subrev_nc_u32_e32 v88, 28, v77
	v_sub_nc_u32_e32 v77, 29, v77
	v_lshlrev_b32_e32 v88, v88, v59
	v_bfe_u32 v59, v59, 3, 4
	s_delay_alu instid0(VALU_DEP_2) | instskip(NEXT) | instid1(VALU_DEP_2)
	v_and_b32_e32 v88, 7, v88
	v_cmp_eq_u32_e32 vcc_lo, 0, v59
	s_delay_alu instid0(VALU_DEP_2) | instskip(NEXT) | instid1(VALU_DEP_1)
	v_dual_cndmask_b32 v59, v59, v77 :: v_dual_cndmask_b32 v74, v74, v88
	v_lshl_add_u32 v59, v59, 23, 0x3b800000
	s_delay_alu instid0(VALU_DEP_2) | instskip(NEXT) | instid1(VALU_DEP_1)
	v_lshlrev_b32_e32 v74, 20, v74
	v_or3_b32 v59, v41, v59, v74
.LBB6_1455:                             ;   in Loop: Header=BB6_142 Depth=2
	s_or_b32 exec_lo, exec_lo, s25
	s_delay_alu instid0(VALU_DEP_1) | instskip(NEXT) | instid1(VALU_DEP_1)
	v_add_f32_e32 v56, v56, v59
	v_and_b32_e32 v41, 0x7f800000, v56
	s_delay_alu instid0(VALU_DEP_1)
	v_cmp_ne_u32_e32 vcc_lo, 0x7f800000, v41
	v_mov_b32_e32 v41, 0x80
	s_and_saveexec_b32 s25, vcc_lo
	s_cbranch_execz .LBB6_1463
; %bb.1456:                             ;   in Loop: Header=BB6_142 Depth=2
	v_mov_b32_e32 v41, 0
	s_mov_b32 s26, exec_lo
	v_cmpx_ne_u32_e32 0, v56
	s_cbranch_execz .LBB6_1462
; %bb.1457:                             ;   in Loop: Header=BB6_142 Depth=2
	v_bfe_u32 v41, v56, 23, 8
	s_delay_alu instid0(VALU_DEP_1) | instskip(SKIP_1) | instid1(VALU_DEP_2)
	v_sub_nc_u32_e32 v74, 0x78, v41
	v_cmp_gt_u32_e32 vcc_lo, 0x79, v41
	v_dual_cndmask_b32 v74, 0, v74 :: v_dual_and_b32 v59, 0x7fffff, v56
	s_delay_alu instid0(VALU_DEP_1) | instskip(SKIP_2) | instid1(VALU_DEP_4)
	v_or_b32_e32 v77, 0x800000, v59
	v_cmp_eq_u32_e32 vcc_lo, 0, v41
	v_add_nc_u32_e32 v41, 0xffffff89, v41
	v_cndmask_b32_e64 v74, v74, 0x77, vcc_lo
	s_delay_alu instid0(VALU_DEP_2) | instskip(SKIP_1) | instid1(VALU_DEP_3)
	v_cndmask_b32_e64 v41, v41, 0xffffff8a, vcc_lo
	v_cndmask_b32_e32 v59, v77, v59, vcc_lo
	v_lshl_add_u32 v77, 0x100000, v74, -1
	v_lshlrev_b32_e64 v90, v74, 0x80000
	s_delay_alu instid0(VALU_DEP_3) | instskip(SKIP_1) | instid1(VALU_DEP_4)
	v_lshrrev_b32_e32 v88, v74, v59
	v_add_nc_u32_e32 v74, v74, v41
	v_and_b32_e32 v59, v77, v59
	s_delay_alu instid0(VALU_DEP_3) | instskip(NEXT) | instid1(VALU_DEP_2)
	v_bfe_u32 v89, v88, 20, 1
	v_cmp_eq_u32_e64 s11, v59, v90
	s_delay_alu instid0(VALU_DEP_2) | instskip(NEXT) | instid1(VALU_DEP_1)
	v_add_nc_u32_e32 v77, -1, v89
	v_cndmask_b32_e64 v59, 0, v77, s11
	v_lshrrev_b32_e32 v77, 23, v88
	s_mov_b32 s11, exec_lo
	s_delay_alu instid0(VALU_DEP_2) | instskip(NEXT) | instid1(VALU_DEP_2)
	v_add_nc_u32_e32 v59, v59, v88
	v_xor_b32_e32 v77, 1, v77
	s_delay_alu instid0(VALU_DEP_2) | instskip(NEXT) | instid1(VALU_DEP_1)
	v_and_b32_e32 v41, 0xfffff, v59
	v_add_nc_u32_e32 v59, v41, v88
                                        ; implicit-def: $vgpr41
	s_delay_alu instid0(VALU_DEP_3)
	v_cmpx_ne_u32_e64 v74, v77
	s_xor_b32 s11, exec_lo, s11
; %bb.1458:                             ;   in Loop: Header=BB6_142 Depth=2
	s_delay_alu instid0(VALU_DEP_2) | instskip(SKIP_2) | instid1(VALU_DEP_2)
	v_cmp_lt_u32_e32 vcc_lo, 0xffffff, v59
	v_sub_nc_u32_e32 v41, v74, v77
	v_cndmask_b32_e64 v74, 0, 1, vcc_lo
	v_add_co_ci_u32_e32 v41, vcc_lo, 0, v41, vcc_lo
	s_delay_alu instid0(VALU_DEP_2)
	v_lshrrev_b32_e32 v59, v74, v59
; %bb.1459:                             ;   in Loop: Header=BB6_142 Depth=2
	s_and_not1_saveexec_b32 s11, s11
; %bb.1460:                             ;   in Loop: Header=BB6_142 Depth=2
	s_delay_alu instid0(VALU_DEP_1)
	v_bfe_u32 v41, v59, 23, 1
; %bb.1461:                             ;   in Loop: Header=BB6_142 Depth=2
	s_or_b32 exec_lo, exec_lo, s11
	v_lshrrev_b32_e32 v59, 20, v59
	s_delay_alu instid0(VALU_DEP_2) | instskip(SKIP_2) | instid1(VALU_DEP_2)
	v_cmp_gt_i32_e32 vcc_lo, 16, v41
	v_lshrrev_b32_e32 v56, 24, v56
	v_min_i32_e32 v74, 15, v41
	v_dual_cndmask_b32 v59, 7, v59 :: v_dual_and_b32 v56, 0x80, v56
	s_delay_alu instid0(VALU_DEP_1) | instskip(SKIP_1) | instid1(VALU_DEP_2)
	v_or_b32_e32 v41, v41, v59
	v_and_b32_e32 v77, 7, v59
	v_cmp_ne_u32_e32 vcc_lo, 0, v41
	v_lshlrev_b32_e32 v74, 3, v74
	s_delay_alu instid0(VALU_DEP_1) | instskip(NEXT) | instid1(VALU_DEP_1)
	v_or3_b32 v56, v74, v56, v77
	v_cndmask_b32_e32 v41, 0, v56, vcc_lo
.LBB6_1462:                             ;   in Loop: Header=BB6_142 Depth=2
	s_or_b32 exec_lo, exec_lo, s26
.LBB6_1463:                             ;   in Loop: Header=BB6_142 Depth=2
	s_delay_alu instid0(SALU_CYCLE_1) | instskip(SKIP_3) | instid1(VALU_DEP_1)
	s_or_b32 exec_lo, exec_lo, s25
	v_and_b32_e32 v59, 0xff, v183
	s_mov_b32 s11, 0
	s_mov_b32 s26, exec_lo
                                        ; implicit-def: $sgpr25
	v_cmpx_lt_i16_e32 0x7f, v59
	s_xor_b32 s26, exec_lo, s26
	s_cbranch_execnz .LBB6_2469
; %bb.1464:                             ;   in Loop: Header=BB6_142 Depth=2
	s_or_saveexec_b32 s26, s26
	v_mov_b32_e32 v56, s25
	s_xor_b32 exec_lo, exec_lo, s26
	s_cbranch_execnz .LBB6_2472
.LBB6_1465:                             ;   in Loop: Header=BB6_142 Depth=2
	s_or_b32 exec_lo, exec_lo, s26
	s_and_saveexec_b32 s25, s11
	s_cbranch_execz .LBB6_1467
.LBB6_1466:                             ;   in Loop: Header=BB6_142 Depth=2
	v_and_b32_e32 v56, 7, v183
	v_bfe_u32 v77, v183, 3, 4
	s_delay_alu instid0(VALU_DEP_2) | instskip(NEXT) | instid1(VALU_DEP_2)
	v_clz_i32_u32_e32 v59, v56
	v_cmp_eq_u32_e32 vcc_lo, 0, v77
	s_delay_alu instid0(VALU_DEP_2) | instskip(NEXT) | instid1(VALU_DEP_1)
	v_min_u32_e32 v59, 32, v59
	v_subrev_nc_u32_e32 v74, 28, v59
	v_sub_nc_u32_e32 v59, 29, v59
	s_delay_alu instid0(VALU_DEP_2) | instskip(NEXT) | instid1(VALU_DEP_1)
	v_lshlrev_b32_e32 v74, v74, v183
	v_dual_cndmask_b32 v59, v77, v59 :: v_dual_and_b32 v74, 7, v74
	v_lshlrev_b32_e32 v183, 24, v183
	s_delay_alu instid0(VALU_DEP_2) | instskip(NEXT) | instid1(VALU_DEP_2)
	v_lshl_add_u32 v59, v59, 23, 0x3b800000
	v_dual_cndmask_b32 v56, v56, v74 :: v_dual_and_b32 v183, 0x80000000, v183
	s_delay_alu instid0(VALU_DEP_1) | instskip(NEXT) | instid1(VALU_DEP_1)
	v_lshlrev_b32_e32 v56, 20, v56
	v_or3_b32 v56, v183, v59, v56
.LBB6_1467:                             ;   in Loop: Header=BB6_142 Depth=2
	s_or_b32 exec_lo, exec_lo, s25
	v_lshrrev_b32_e32 v183, 16, v14
	s_mov_b32 s11, 0
	s_mov_b32 s26, exec_lo
                                        ; implicit-def: $sgpr25
	s_delay_alu instid0(VALU_DEP_1) | instskip(NEXT) | instid1(VALU_DEP_1)
	v_and_b32_e32 v74, 0xff, v183
	v_cmpx_lt_i16_e32 0x7f, v74
	s_xor_b32 s26, exec_lo, s26
	s_cbranch_execnz .LBB6_2473
; %bb.1468:                             ;   in Loop: Header=BB6_142 Depth=2
	s_or_saveexec_b32 s26, s26
	v_mov_b32_e32 v59, s25
	s_xor_b32 exec_lo, exec_lo, s26
	s_cbranch_execnz .LBB6_2476
.LBB6_1469:                             ;   in Loop: Header=BB6_142 Depth=2
	s_or_b32 exec_lo, exec_lo, s26
	s_and_saveexec_b32 s25, s11
	s_cbranch_execz .LBB6_1471
.LBB6_1470:                             ;   in Loop: Header=BB6_142 Depth=2
	v_bfe_u32 v59, v14, 16, 3
	s_delay_alu instid0(VALU_DEP_1) | instskip(NEXT) | instid1(VALU_DEP_1)
	v_clz_i32_u32_e32 v74, v59
	v_min_u32_e32 v74, 32, v74
	s_delay_alu instid0(VALU_DEP_1) | instskip(SKIP_1) | instid1(VALU_DEP_2)
	v_subrev_nc_u32_e32 v77, 28, v74
	v_sub_nc_u32_e32 v74, 29, v74
	v_lshlrev_b32_e32 v183, v77, v183
	v_bfe_u32 v77, v14, 19, 4
	s_delay_alu instid0(VALU_DEP_1) | instskip(NEXT) | instid1(VALU_DEP_3)
	v_cmp_eq_u32_e32 vcc_lo, 0, v77
	v_dual_cndmask_b32 v74, v77, v74 :: v_dual_and_b32 v183, 7, v183
	s_delay_alu instid0(VALU_DEP_1) | instskip(NEXT) | instid1(VALU_DEP_2)
	v_dual_cndmask_b32 v183, v59, v183 :: v_dual_lshlrev_b32 v88, 8, v14
	v_lshl_add_u32 v74, v74, 23, 0x3b800000
	s_delay_alu instid0(VALU_DEP_2) | instskip(NEXT) | instid1(VALU_DEP_3)
	v_and_b32_e32 v59, 0x80000000, v88
	v_lshlrev_b32_e32 v183, 20, v183
	s_delay_alu instid0(VALU_DEP_1)
	v_or3_b32 v59, v59, v74, v183
.LBB6_1471:                             ;   in Loop: Header=BB6_142 Depth=2
	s_or_b32 exec_lo, exec_lo, s25
	s_delay_alu instid0(VALU_DEP_1) | instskip(NEXT) | instid1(VALU_DEP_1)
	v_add_f32_e32 v56, v56, v59
	v_and_b32_e32 v183, 0x7f800000, v56
	s_delay_alu instid0(VALU_DEP_1)
	v_cmp_ne_u32_e32 vcc_lo, 0x7f800000, v183
	v_mov_b32_e32 v183, 0x80
	s_and_saveexec_b32 s25, vcc_lo
	s_cbranch_execz .LBB6_1479
; %bb.1472:                             ;   in Loop: Header=BB6_142 Depth=2
	v_mov_b32_e32 v183, 0
	s_mov_b32 s26, exec_lo
	v_cmpx_ne_u32_e32 0, v56
	s_cbranch_execz .LBB6_1478
; %bb.1473:                             ;   in Loop: Header=BB6_142 Depth=2
	v_bfe_u32 v183, v56, 23, 8
	s_delay_alu instid0(VALU_DEP_1) | instskip(SKIP_1) | instid1(VALU_DEP_2)
	v_sub_nc_u32_e32 v74, 0x78, v183
	v_cmp_gt_u32_e32 vcc_lo, 0x79, v183
	v_dual_cndmask_b32 v74, 0, v74 :: v_dual_and_b32 v59, 0x7fffff, v56
	s_delay_alu instid0(VALU_DEP_1) | instskip(SKIP_2) | instid1(VALU_DEP_4)
	v_or_b32_e32 v77, 0x800000, v59
	v_cmp_eq_u32_e32 vcc_lo, 0, v183
	v_add_nc_u32_e32 v183, 0xffffff89, v183
	v_cndmask_b32_e64 v74, v74, 0x77, vcc_lo
	s_delay_alu instid0(VALU_DEP_4) | instskip(NEXT) | instid1(VALU_DEP_3)
	v_cndmask_b32_e32 v59, v77, v59, vcc_lo
	v_cndmask_b32_e64 v183, v183, 0xffffff8a, vcc_lo
	s_delay_alu instid0(VALU_DEP_3) | instskip(NEXT) | instid1(VALU_DEP_3)
	v_lshl_add_u32 v77, 0x100000, v74, -1
	v_lshrrev_b32_e32 v88, v74, v59
	v_lshlrev_b32_e64 v90, v74, 0x80000
	s_delay_alu instid0(VALU_DEP_4) | instskip(NEXT) | instid1(VALU_DEP_4)
	v_add_nc_u32_e32 v74, v74, v183
	v_and_b32_e32 v59, v77, v59
	s_delay_alu instid0(VALU_DEP_4) | instskip(NEXT) | instid1(VALU_DEP_2)
	v_bfe_u32 v89, v88, 20, 1
	v_cmp_eq_u32_e64 s11, v59, v90
	s_delay_alu instid0(VALU_DEP_2) | instskip(NEXT) | instid1(VALU_DEP_1)
	v_add_nc_u32_e32 v77, -1, v89
	v_cndmask_b32_e64 v59, 0, v77, s11
	v_lshrrev_b32_e32 v77, 23, v88
	s_mov_b32 s11, exec_lo
	s_delay_alu instid0(VALU_DEP_2) | instskip(NEXT) | instid1(VALU_DEP_2)
	v_add_nc_u32_e32 v59, v59, v88
	v_xor_b32_e32 v77, 1, v77
	s_delay_alu instid0(VALU_DEP_2) | instskip(NEXT) | instid1(VALU_DEP_1)
	v_and_b32_e32 v183, 0xfffff, v59
	v_add_nc_u32_e32 v59, v183, v88
                                        ; implicit-def: $vgpr183
	s_delay_alu instid0(VALU_DEP_3)
	v_cmpx_ne_u32_e64 v74, v77
	s_xor_b32 s11, exec_lo, s11
; %bb.1474:                             ;   in Loop: Header=BB6_142 Depth=2
	s_delay_alu instid0(VALU_DEP_2) | instskip(SKIP_2) | instid1(VALU_DEP_2)
	v_cmp_lt_u32_e32 vcc_lo, 0xffffff, v59
	v_sub_nc_u32_e32 v183, v74, v77
	v_cndmask_b32_e64 v74, 0, 1, vcc_lo
	v_add_co_ci_u32_e32 v183, vcc_lo, 0, v183, vcc_lo
	s_delay_alu instid0(VALU_DEP_2)
	v_lshrrev_b32_e32 v59, v74, v59
; %bb.1475:                             ;   in Loop: Header=BB6_142 Depth=2
	s_and_not1_saveexec_b32 s11, s11
; %bb.1476:                             ;   in Loop: Header=BB6_142 Depth=2
	s_delay_alu instid0(VALU_DEP_1)
	v_bfe_u32 v183, v59, 23, 1
; %bb.1477:                             ;   in Loop: Header=BB6_142 Depth=2
	s_or_b32 exec_lo, exec_lo, s11
	v_lshrrev_b32_e32 v59, 20, v59
	s_delay_alu instid0(VALU_DEP_2) | instskip(SKIP_2) | instid1(VALU_DEP_2)
	v_cmp_gt_i32_e32 vcc_lo, 16, v183
	v_lshrrev_b32_e32 v56, 24, v56
	v_min_i32_e32 v74, 15, v183
	v_dual_cndmask_b32 v59, 7, v59 :: v_dual_and_b32 v56, 0x80, v56
	s_delay_alu instid0(VALU_DEP_1) | instskip(SKIP_1) | instid1(VALU_DEP_2)
	v_or_b32_e32 v183, v183, v59
	v_and_b32_e32 v77, 7, v59
	v_cmp_ne_u32_e32 vcc_lo, 0, v183
	v_lshlrev_b32_e32 v74, 3, v74
	s_delay_alu instid0(VALU_DEP_1) | instskip(NEXT) | instid1(VALU_DEP_1)
	v_or3_b32 v56, v74, v56, v77
	v_cndmask_b32_e32 v183, 0, v56, vcc_lo
.LBB6_1478:                             ;   in Loop: Header=BB6_142 Depth=2
	s_or_b32 exec_lo, exec_lo, s26
.LBB6_1479:                             ;   in Loop: Header=BB6_142 Depth=2
	s_delay_alu instid0(SALU_CYCLE_1) | instskip(SKIP_3) | instid1(VALU_DEP_1)
	s_or_b32 exec_lo, exec_lo, s25
	v_and_b32_e32 v59, 0xff, v181
	s_mov_b32 s11, 0
	s_mov_b32 s26, exec_lo
                                        ; implicit-def: $sgpr25
	v_cmpx_lt_i16_e32 0x7f, v59
	s_xor_b32 s26, exec_lo, s26
	s_cbranch_execnz .LBB6_2477
; %bb.1480:                             ;   in Loop: Header=BB6_142 Depth=2
	s_or_saveexec_b32 s26, s26
	v_mov_b32_e32 v56, s25
	s_xor_b32 exec_lo, exec_lo, s26
	s_cbranch_execnz .LBB6_2480
.LBB6_1481:                             ;   in Loop: Header=BB6_142 Depth=2
	s_or_b32 exec_lo, exec_lo, s26
	s_and_saveexec_b32 s25, s11
	s_cbranch_execz .LBB6_1483
.LBB6_1482:                             ;   in Loop: Header=BB6_142 Depth=2
	v_lshlrev_b32_e32 v181, 8, v181
	s_delay_alu instid0(VALU_DEP_1) | instskip(SKIP_1) | instid1(VALU_DEP_2)
	v_and_b32_e32 v56, 0xff00, v181
	v_bfe_u32 v181, v181, 11, 4
	v_bfe_u32 v74, v56, 8, 3
	s_delay_alu instid0(VALU_DEP_2) | instskip(NEXT) | instid1(VALU_DEP_2)
	v_cmp_eq_u32_e32 vcc_lo, 0, v181
	v_clz_i32_u32_e32 v77, v74
	s_delay_alu instid0(VALU_DEP_1) | instskip(NEXT) | instid1(VALU_DEP_1)
	v_min_u32_e32 v77, 32, v77
	v_subrev_nc_u32_e32 v88, 28, v77
	v_sub_nc_u32_e32 v77, 29, v77
	s_delay_alu instid0(VALU_DEP_2) | instskip(NEXT) | instid1(VALU_DEP_2)
	v_lshlrev_b32_e32 v59, v88, v59
	v_cndmask_b32_e32 v181, v181, v77, vcc_lo
	s_delay_alu instid0(VALU_DEP_2) | instskip(NEXT) | instid1(VALU_DEP_2)
	v_and_b32_e32 v59, 7, v59
	v_lshl_add_u32 v181, v181, 23, 0x3b800000
	s_delay_alu instid0(VALU_DEP_2) | instskip(NEXT) | instid1(VALU_DEP_1)
	v_dual_cndmask_b32 v59, v74, v59 :: v_dual_lshlrev_b32 v56, 16, v56
	v_lshlrev_b32_e32 v59, 20, v59
	s_delay_alu instid0(VALU_DEP_2) | instskip(NEXT) | instid1(VALU_DEP_1)
	v_and_b32_e32 v56, 0x80000000, v56
	v_or3_b32 v56, v56, v181, v59
.LBB6_1483:                             ;   in Loop: Header=BB6_142 Depth=2
	s_or_b32 exec_lo, exec_lo, s25
	v_lshrrev_b32_e32 v181, 24, v14
	s_mov_b32 s11, 0
	s_mov_b32 s26, exec_lo
                                        ; implicit-def: $sgpr25
	s_delay_alu instid0(VALU_DEP_1)
	v_cmpx_lt_i16_e64 0x7f, v181
	s_xor_b32 s26, exec_lo, s26
	s_cbranch_execnz .LBB6_2481
; %bb.1484:                             ;   in Loop: Header=BB6_142 Depth=2
	s_or_saveexec_b32 s26, s26
	v_mov_b32_e32 v59, s25
	s_xor_b32 exec_lo, exec_lo, s26
	s_cbranch_execnz .LBB6_2484
.LBB6_1485:                             ;   in Loop: Header=BB6_142 Depth=2
	s_or_b32 exec_lo, exec_lo, s26
	s_and_saveexec_b32 s25, s11
	s_cbranch_execz .LBB6_1487
.LBB6_1486:                             ;   in Loop: Header=BB6_142 Depth=2
	v_bfe_u32 v59, v14, 24, 3
	s_delay_alu instid0(VALU_DEP_1) | instskip(NEXT) | instid1(VALU_DEP_1)
	v_clz_i32_u32_e32 v74, v59
	v_min_u32_e32 v74, 32, v74
	s_delay_alu instid0(VALU_DEP_1) | instskip(SKIP_1) | instid1(VALU_DEP_2)
	v_subrev_nc_u32_e32 v77, 28, v74
	v_sub_nc_u32_e32 v74, 29, v74
	v_lshlrev_b32_e32 v181, v77, v181
	v_bfe_u32 v77, v14, 27, 4
	v_and_b32_e32 v14, 0x80000000, v14
	s_delay_alu instid0(VALU_DEP_2) | instskip(NEXT) | instid1(VALU_DEP_4)
	v_cmp_eq_u32_e32 vcc_lo, 0, v77
	v_dual_cndmask_b32 v74, v77, v74 :: v_dual_and_b32 v181, 7, v181
	s_delay_alu instid0(VALU_DEP_1) | instskip(NEXT) | instid1(VALU_DEP_2)
	v_cndmask_b32_e32 v181, v59, v181, vcc_lo
	v_lshl_add_u32 v59, v74, 23, 0x3b800000
	s_delay_alu instid0(VALU_DEP_2) | instskip(NEXT) | instid1(VALU_DEP_1)
	v_lshlrev_b32_e32 v181, 20, v181
	v_or3_b32 v59, v14, v59, v181
.LBB6_1487:                             ;   in Loop: Header=BB6_142 Depth=2
	s_or_b32 exec_lo, exec_lo, s25
	s_delay_alu instid0(VALU_DEP_1) | instskip(NEXT) | instid1(VALU_DEP_1)
	v_add_f32_e32 v181, v56, v59
	v_and_b32_e32 v14, 0x7f800000, v181
	s_delay_alu instid0(VALU_DEP_1)
	v_cmp_ne_u32_e32 vcc_lo, 0x7f800000, v14
	v_mov_b32_e32 v14, 0x80
	s_and_saveexec_b32 s25, vcc_lo
	s_cbranch_execz .LBB6_1495
; %bb.1488:                             ;   in Loop: Header=BB6_142 Depth=2
	v_mov_b32_e32 v14, 0
	s_mov_b32 s26, exec_lo
	v_cmpx_ne_u32_e32 0, v181
	s_cbranch_execz .LBB6_1494
; %bb.1489:                             ;   in Loop: Header=BB6_142 Depth=2
	v_bfe_u32 v14, v181, 23, 8
	s_delay_alu instid0(VALU_DEP_1) | instskip(SKIP_1) | instid1(VALU_DEP_2)
	v_sub_nc_u32_e32 v59, 0x78, v14
	v_cmp_gt_u32_e32 vcc_lo, 0x79, v14
	v_dual_cndmask_b32 v59, 0, v59 :: v_dual_and_b32 v56, 0x7fffff, v181
	s_delay_alu instid0(VALU_DEP_1) | instskip(SKIP_2) | instid1(VALU_DEP_4)
	v_or_b32_e32 v74, 0x800000, v56
	v_cmp_eq_u32_e32 vcc_lo, 0, v14
	v_add_nc_u32_e32 v14, 0xffffff89, v14
	v_cndmask_b32_e64 v59, v59, 0x77, vcc_lo
	s_delay_alu instid0(VALU_DEP_2) | instskip(SKIP_1) | instid1(VALU_DEP_3)
	v_cndmask_b32_e64 v14, v14, 0xffffff8a, vcc_lo
	v_cndmask_b32_e32 v56, v74, v56, vcc_lo
	v_lshl_add_u32 v74, 0x100000, v59, -1
	v_lshlrev_b32_e64 v89, v59, 0x80000
	s_delay_alu instid0(VALU_DEP_3) | instskip(SKIP_1) | instid1(VALU_DEP_4)
	v_lshrrev_b32_e32 v77, v59, v56
	v_add_nc_u32_e32 v59, v59, v14
	v_and_b32_e32 v56, v74, v56
	s_delay_alu instid0(VALU_DEP_3) | instskip(NEXT) | instid1(VALU_DEP_2)
	v_bfe_u32 v88, v77, 20, 1
	v_cmp_eq_u32_e64 s11, v56, v89
	s_delay_alu instid0(VALU_DEP_2) | instskip(NEXT) | instid1(VALU_DEP_1)
	v_add_nc_u32_e32 v74, -1, v88
	v_cndmask_b32_e64 v56, 0, v74, s11
	v_lshrrev_b32_e32 v74, 23, v77
	s_mov_b32 s11, exec_lo
	s_delay_alu instid0(VALU_DEP_2) | instskip(NEXT) | instid1(VALU_DEP_2)
	v_add_nc_u32_e32 v56, v56, v77
	v_xor_b32_e32 v74, 1, v74
	s_delay_alu instid0(VALU_DEP_2) | instskip(NEXT) | instid1(VALU_DEP_1)
	v_and_b32_e32 v14, 0xfffff, v56
	v_add_nc_u32_e32 v56, v14, v77
                                        ; implicit-def: $vgpr14
	s_delay_alu instid0(VALU_DEP_3)
	v_cmpx_ne_u32_e64 v59, v74
	s_xor_b32 s11, exec_lo, s11
; %bb.1490:                             ;   in Loop: Header=BB6_142 Depth=2
	s_delay_alu instid0(VALU_DEP_2) | instskip(SKIP_2) | instid1(VALU_DEP_2)
	v_cmp_lt_u32_e32 vcc_lo, 0xffffff, v56
	v_sub_nc_u32_e32 v14, v59, v74
	v_cndmask_b32_e64 v59, 0, 1, vcc_lo
	v_add_co_ci_u32_e32 v14, vcc_lo, 0, v14, vcc_lo
	s_delay_alu instid0(VALU_DEP_2)
	v_lshrrev_b32_e32 v56, v59, v56
; %bb.1491:                             ;   in Loop: Header=BB6_142 Depth=2
	s_and_not1_saveexec_b32 s11, s11
; %bb.1492:                             ;   in Loop: Header=BB6_142 Depth=2
	s_delay_alu instid0(VALU_DEP_1)
	v_bfe_u32 v14, v56, 23, 1
; %bb.1493:                             ;   in Loop: Header=BB6_142 Depth=2
	s_or_b32 exec_lo, exec_lo, s11
	v_lshrrev_b32_e32 v56, 20, v56
	s_delay_alu instid0(VALU_DEP_2) | instskip(SKIP_2) | instid1(VALU_DEP_2)
	v_cmp_gt_i32_e32 vcc_lo, 16, v14
	v_lshrrev_b32_e32 v181, 24, v181
	v_min_i32_e32 v59, 15, v14
	v_dual_cndmask_b32 v56, 7, v56 :: v_dual_and_b32 v181, 0x80, v181
	s_delay_alu instid0(VALU_DEP_1) | instskip(SKIP_1) | instid1(VALU_DEP_2)
	v_or_b32_e32 v14, v14, v56
	v_and_b32_e32 v74, 7, v56
	v_cmp_ne_u32_e32 vcc_lo, 0, v14
	v_lshlrev_b32_e32 v59, 3, v59
	s_delay_alu instid0(VALU_DEP_1) | instskip(NEXT) | instid1(VALU_DEP_1)
	v_or3_b32 v181, v59, v181, v74
	v_cndmask_b32_e32 v14, 0, v181, vcc_lo
.LBB6_1494:                             ;   in Loop: Header=BB6_142 Depth=2
	s_or_b32 exec_lo, exec_lo, s26
.LBB6_1495:                             ;   in Loop: Header=BB6_142 Depth=2
	s_delay_alu instid0(SALU_CYCLE_1) | instskip(SKIP_3) | instid1(VALU_DEP_1)
	s_or_b32 exec_lo, exec_lo, s25
	v_or_b32_e32 v42, v42, v180
	s_mov_b32 s11, 0
	s_mov_b32 s26, exec_lo
                                        ; implicit-def: $sgpr25
	v_and_b32_e32 v181, 0xff, v42
	s_delay_alu instid0(VALU_DEP_1)
	v_cmpx_lt_i16_e64 0x7f, v181
	s_xor_b32 s26, exec_lo, s26
	s_cbranch_execnz .LBB6_2485
; %bb.1496:                             ;   in Loop: Header=BB6_142 Depth=2
	s_or_saveexec_b32 s26, s26
	v_mov_b32_e32 v180, s25
	s_xor_b32 exec_lo, exec_lo, s26
	s_cbranch_execnz .LBB6_2488
.LBB6_1497:                             ;   in Loop: Header=BB6_142 Depth=2
	s_or_b32 exec_lo, exec_lo, s26
	s_and_saveexec_b32 s25, s11
	s_cbranch_execz .LBB6_1499
.LBB6_1498:                             ;   in Loop: Header=BB6_142 Depth=2
	v_bfe_u32 v59, v42, 3, 4
	v_lshlrev_b32_e32 v74, 24, v42
	s_delay_alu instid0(VALU_DEP_2) | instskip(SKIP_1) | instid1(VALU_DEP_1)
	v_cmp_eq_u32_e32 vcc_lo, 0, v59
	v_and_b32_e32 v180, 7, v42
	v_clz_i32_u32_e32 v181, v180
	s_delay_alu instid0(VALU_DEP_1) | instskip(NEXT) | instid1(VALU_DEP_1)
	v_min_u32_e32 v181, 32, v181
	v_subrev_nc_u32_e32 v56, 28, v181
	v_sub_nc_u32_e32 v181, 29, v181
	s_delay_alu instid0(VALU_DEP_1) | instskip(NEXT) | instid1(VALU_DEP_1)
	v_dual_cndmask_b32 v181, v59, v181 :: v_dual_lshlrev_b32 v56, v56, v42
	v_and_b32_e32 v56, 7, v56
	s_delay_alu instid0(VALU_DEP_2) | instskip(NEXT) | instid1(VALU_DEP_2)
	v_lshl_add_u32 v181, v181, 23, 0x3b800000
	v_cndmask_b32_e32 v180, v180, v56, vcc_lo
	v_and_b32_e32 v56, 0x80000000, v74
	s_delay_alu instid0(VALU_DEP_2) | instskip(NEXT) | instid1(VALU_DEP_1)
	v_lshlrev_b32_e32 v180, 20, v180
	v_or3_b32 v180, v56, v181, v180
.LBB6_1499:                             ;   in Loop: Header=BB6_142 Depth=2
	s_or_b32 exec_lo, exec_lo, s25
	v_and_b32_e32 v56, 0xff, v15
	s_mov_b32 s11, 0
	s_mov_b32 s26, exec_lo
                                        ; implicit-def: $sgpr25
	s_delay_alu instid0(VALU_DEP_1)
	v_cmpx_lt_i16_e32 0x7f, v56
	s_xor_b32 s26, exec_lo, s26
	s_cbranch_execnz .LBB6_2489
; %bb.1500:                             ;   in Loop: Header=BB6_142 Depth=2
	s_or_saveexec_b32 s26, s26
	v_mov_b32_e32 v181, s25
	s_xor_b32 exec_lo, exec_lo, s26
	s_cbranch_execnz .LBB6_2492
.LBB6_1501:                             ;   in Loop: Header=BB6_142 Depth=2
	s_or_b32 exec_lo, exec_lo, s26
	s_and_saveexec_b32 s25, s11
	s_cbranch_execz .LBB6_1503
.LBB6_1502:                             ;   in Loop: Header=BB6_142 Depth=2
	v_bfe_u32 v74, v15, 3, 4
	v_lshlrev_b32_e32 v77, 24, v15
	s_delay_alu instid0(VALU_DEP_2) | instskip(SKIP_1) | instid1(VALU_DEP_1)
	v_cmp_eq_u32_e32 vcc_lo, 0, v74
	v_and_b32_e32 v181, 7, v15
	v_clz_i32_u32_e32 v56, v181
	s_delay_alu instid0(VALU_DEP_1) | instskip(NEXT) | instid1(VALU_DEP_1)
	v_min_u32_e32 v56, 32, v56
	v_subrev_nc_u32_e32 v59, 28, v56
	v_sub_nc_u32_e32 v56, 29, v56
	s_delay_alu instid0(VALU_DEP_1) | instskip(NEXT) | instid1(VALU_DEP_1)
	v_dual_cndmask_b32 v56, v74, v56 :: v_dual_lshlrev_b32 v59, v59, v15
	v_and_b32_e32 v59, 7, v59
	s_delay_alu instid0(VALU_DEP_2) | instskip(NEXT) | instid1(VALU_DEP_2)
	v_lshl_add_u32 v56, v56, 23, 0x3b800000
	v_cndmask_b32_e32 v181, v181, v59, vcc_lo
	v_and_b32_e32 v59, 0x80000000, v77
	s_delay_alu instid0(VALU_DEP_2) | instskip(NEXT) | instid1(VALU_DEP_1)
	v_lshlrev_b32_e32 v181, 20, v181
	v_or3_b32 v181, v59, v56, v181
.LBB6_1503:                             ;   in Loop: Header=BB6_142 Depth=2
	s_or_b32 exec_lo, exec_lo, s25
	s_delay_alu instid0(VALU_DEP_1) | instskip(NEXT) | instid1(VALU_DEP_1)
	v_add_f32_e32 v181, v180, v181
	v_and_b32_e32 v180, 0x7f800000, v181
	s_delay_alu instid0(VALU_DEP_1)
	v_cmp_ne_u32_e32 vcc_lo, 0x7f800000, v180
	v_mov_b32_e32 v180, 0x80
	s_and_saveexec_b32 s25, vcc_lo
	s_cbranch_execz .LBB6_1511
; %bb.1504:                             ;   in Loop: Header=BB6_142 Depth=2
	v_mov_b32_e32 v180, 0
	s_mov_b32 s26, exec_lo
	v_cmpx_ne_u32_e32 0, v181
	s_cbranch_execz .LBB6_1510
; %bb.1505:                             ;   in Loop: Header=BB6_142 Depth=2
	v_bfe_u32 v180, v181, 23, 8
	s_delay_alu instid0(VALU_DEP_1) | instskip(SKIP_1) | instid1(VALU_DEP_2)
	v_sub_nc_u32_e32 v59, 0x78, v180
	v_cmp_gt_u32_e32 vcc_lo, 0x79, v180
	v_dual_cndmask_b32 v59, 0, v59 :: v_dual_and_b32 v56, 0x7fffff, v181
	s_delay_alu instid0(VALU_DEP_1) | instskip(SKIP_2) | instid1(VALU_DEP_4)
	v_or_b32_e32 v74, 0x800000, v56
	v_cmp_eq_u32_e32 vcc_lo, 0, v180
	v_add_nc_u32_e32 v180, 0xffffff89, v180
	v_cndmask_b32_e64 v59, v59, 0x77, vcc_lo
	s_delay_alu instid0(VALU_DEP_4) | instskip(NEXT) | instid1(VALU_DEP_3)
	v_cndmask_b32_e32 v56, v74, v56, vcc_lo
	v_cndmask_b32_e64 v180, v180, 0xffffff8a, vcc_lo
	s_delay_alu instid0(VALU_DEP_3) | instskip(NEXT) | instid1(VALU_DEP_3)
	v_lshl_add_u32 v74, 0x100000, v59, -1
	v_lshrrev_b32_e32 v77, v59, v56
	v_lshlrev_b32_e64 v89, v59, 0x80000
	s_delay_alu instid0(VALU_DEP_4) | instskip(NEXT) | instid1(VALU_DEP_4)
	v_add_nc_u32_e32 v59, v59, v180
	v_and_b32_e32 v56, v74, v56
	s_delay_alu instid0(VALU_DEP_4) | instskip(NEXT) | instid1(VALU_DEP_2)
	v_bfe_u32 v88, v77, 20, 1
	v_cmp_eq_u32_e64 s11, v56, v89
	s_delay_alu instid0(VALU_DEP_2) | instskip(NEXT) | instid1(VALU_DEP_1)
	v_add_nc_u32_e32 v74, -1, v88
	v_cndmask_b32_e64 v56, 0, v74, s11
	v_lshrrev_b32_e32 v74, 23, v77
	s_mov_b32 s11, exec_lo
	s_delay_alu instid0(VALU_DEP_2) | instskip(NEXT) | instid1(VALU_DEP_2)
	v_add_nc_u32_e32 v56, v56, v77
	v_xor_b32_e32 v74, 1, v74
	s_delay_alu instid0(VALU_DEP_2) | instskip(NEXT) | instid1(VALU_DEP_1)
	v_and_b32_e32 v180, 0xfffff, v56
	v_add_nc_u32_e32 v56, v180, v77
                                        ; implicit-def: $vgpr180
	s_delay_alu instid0(VALU_DEP_3)
	v_cmpx_ne_u32_e64 v59, v74
	s_xor_b32 s11, exec_lo, s11
; %bb.1506:                             ;   in Loop: Header=BB6_142 Depth=2
	s_delay_alu instid0(VALU_DEP_2) | instskip(SKIP_2) | instid1(VALU_DEP_2)
	v_cmp_lt_u32_e32 vcc_lo, 0xffffff, v56
	v_sub_nc_u32_e32 v180, v59, v74
	v_cndmask_b32_e64 v59, 0, 1, vcc_lo
	v_add_co_ci_u32_e32 v180, vcc_lo, 0, v180, vcc_lo
	s_delay_alu instid0(VALU_DEP_2)
	v_lshrrev_b32_e32 v56, v59, v56
; %bb.1507:                             ;   in Loop: Header=BB6_142 Depth=2
	s_and_not1_saveexec_b32 s11, s11
; %bb.1508:                             ;   in Loop: Header=BB6_142 Depth=2
	s_delay_alu instid0(VALU_DEP_1)
	v_bfe_u32 v180, v56, 23, 1
; %bb.1509:                             ;   in Loop: Header=BB6_142 Depth=2
	s_or_b32 exec_lo, exec_lo, s11
	v_lshrrev_b32_e32 v56, 20, v56
	s_delay_alu instid0(VALU_DEP_2) | instskip(SKIP_2) | instid1(VALU_DEP_2)
	v_cmp_gt_i32_e32 vcc_lo, 16, v180
	v_lshrrev_b32_e32 v181, 24, v181
	v_min_i32_e32 v59, 15, v180
	v_dual_cndmask_b32 v56, 7, v56 :: v_dual_and_b32 v181, 0x80, v181
	s_delay_alu instid0(VALU_DEP_1) | instskip(SKIP_1) | instid1(VALU_DEP_2)
	v_or_b32_e32 v180, v180, v56
	v_and_b32_e32 v74, 7, v56
	v_cmp_ne_u32_e32 vcc_lo, 0, v180
	v_lshlrev_b32_e32 v59, 3, v59
	s_delay_alu instid0(VALU_DEP_1) | instskip(NEXT) | instid1(VALU_DEP_1)
	v_or3_b32 v181, v59, v181, v74
	v_cndmask_b32_e32 v180, 0, v181, vcc_lo
.LBB6_1510:                             ;   in Loop: Header=BB6_142 Depth=2
	s_or_b32 exec_lo, exec_lo, s26
.LBB6_1511:                             ;   in Loop: Header=BB6_142 Depth=2
	s_delay_alu instid0(SALU_CYCLE_1) | instskip(SKIP_3) | instid1(VALU_DEP_1)
	s_or_b32 exec_lo, exec_lo, s25
	v_lshrrev_b16 v56, 8, v42
	s_mov_b32 s11, 0
	s_mov_b32 s26, exec_lo
                                        ; implicit-def: $sgpr25
	v_cmpx_lt_i16_e32 0x7f, v56
	s_xor_b32 s26, exec_lo, s26
	s_cbranch_execnz .LBB6_2493
; %bb.1512:                             ;   in Loop: Header=BB6_142 Depth=2
	s_or_saveexec_b32 s26, s26
	v_mov_b32_e32 v181, s25
	s_xor_b32 exec_lo, exec_lo, s26
	s_cbranch_execnz .LBB6_2496
.LBB6_1513:                             ;   in Loop: Header=BB6_142 Depth=2
	s_or_b32 exec_lo, exec_lo, s26
	s_and_saveexec_b32 s25, s11
	s_cbranch_execz .LBB6_1515
.LBB6_1514:                             ;   in Loop: Header=BB6_142 Depth=2
	v_and_b32_e32 v181, 0xffff, v56
	s_delay_alu instid0(VALU_DEP_1) | instskip(NEXT) | instid1(VALU_DEP_1)
	v_and_b32_e32 v59, 7, v181
	v_clz_i32_u32_e32 v74, v59
	s_delay_alu instid0(VALU_DEP_1) | instskip(NEXT) | instid1(VALU_DEP_1)
	v_min_u32_e32 v74, 32, v74
	v_subrev_nc_u32_e32 v77, 28, v74
	v_sub_nc_u32_e32 v74, 29, v74
	s_delay_alu instid0(VALU_DEP_2) | instskip(SKIP_1) | instid1(VALU_DEP_2)
	v_lshlrev_b32_e32 v77, v77, v181
	v_bfe_u32 v181, v181, 3, 4
	v_and_b32_e32 v77, 7, v77
	s_delay_alu instid0(VALU_DEP_2) | instskip(SKIP_1) | instid1(VALU_DEP_1)
	v_cmp_eq_u32_e32 vcc_lo, 0, v181
	v_dual_cndmask_b32 v181, v181, v74 :: v_dual_lshlrev_b32 v56, 24, v56
	v_dual_cndmask_b32 v59, v59, v77 :: v_dual_and_b32 v56, 0x80000000, v56
	s_delay_alu instid0(VALU_DEP_2) | instskip(NEXT) | instid1(VALU_DEP_2)
	v_lshl_add_u32 v181, v181, 23, 0x3b800000
	v_lshlrev_b32_e32 v59, 20, v59
	s_delay_alu instid0(VALU_DEP_1)
	v_or3_b32 v181, v56, v181, v59
.LBB6_1515:                             ;   in Loop: Header=BB6_142 Depth=2
	s_or_b32 exec_lo, exec_lo, s25
	v_lshrrev_b16 v56, 8, v15
	s_mov_b32 s11, 0
	s_mov_b32 s26, exec_lo
                                        ; implicit-def: $sgpr25
	s_delay_alu instid0(VALU_DEP_1)
	v_cmpx_lt_i16_e32 0x7f, v56
	s_xor_b32 s26, exec_lo, s26
	s_cbranch_execnz .LBB6_2497
; %bb.1516:                             ;   in Loop: Header=BB6_142 Depth=2
	s_or_saveexec_b32 s26, s26
	v_mov_b32_e32 v59, s25
	s_xor_b32 exec_lo, exec_lo, s26
	s_cbranch_execnz .LBB6_2500
.LBB6_1517:                             ;   in Loop: Header=BB6_142 Depth=2
	s_or_b32 exec_lo, exec_lo, s26
	s_and_saveexec_b32 s25, s11
	s_cbranch_execz .LBB6_1519
.LBB6_1518:                             ;   in Loop: Header=BB6_142 Depth=2
	v_and_b32_e32 v59, 0xffff, v56
	v_lshlrev_b32_e32 v56, 24, v56
	s_delay_alu instid0(VALU_DEP_2) | instskip(NEXT) | instid1(VALU_DEP_2)
	v_and_b32_e32 v74, 7, v59
	v_and_b32_e32 v56, 0x80000000, v56
	s_delay_alu instid0(VALU_DEP_2) | instskip(NEXT) | instid1(VALU_DEP_1)
	v_clz_i32_u32_e32 v77, v74
	v_min_u32_e32 v77, 32, v77
	s_delay_alu instid0(VALU_DEP_1) | instskip(SKIP_1) | instid1(VALU_DEP_2)
	v_subrev_nc_u32_e32 v88, 28, v77
	v_sub_nc_u32_e32 v77, 29, v77
	v_lshlrev_b32_e32 v88, v88, v59
	v_bfe_u32 v59, v59, 3, 4
	s_delay_alu instid0(VALU_DEP_2) | instskip(NEXT) | instid1(VALU_DEP_2)
	v_and_b32_e32 v88, 7, v88
	v_cmp_eq_u32_e32 vcc_lo, 0, v59
	s_delay_alu instid0(VALU_DEP_2) | instskip(NEXT) | instid1(VALU_DEP_1)
	v_dual_cndmask_b32 v59, v59, v77 :: v_dual_cndmask_b32 v74, v74, v88
	v_lshl_add_u32 v59, v59, 23, 0x3b800000
	s_delay_alu instid0(VALU_DEP_2) | instskip(NEXT) | instid1(VALU_DEP_1)
	v_lshlrev_b32_e32 v74, 20, v74
	v_or3_b32 v59, v56, v59, v74
.LBB6_1519:                             ;   in Loop: Header=BB6_142 Depth=2
	s_or_b32 exec_lo, exec_lo, s25
	s_delay_alu instid0(VALU_DEP_1) | instskip(NEXT) | instid1(VALU_DEP_1)
	v_add_f32_e32 v56, v181, v59
	v_and_b32_e32 v181, 0x7f800000, v56
	s_delay_alu instid0(VALU_DEP_1)
	v_cmp_ne_u32_e32 vcc_lo, 0x7f800000, v181
	v_mov_b32_e32 v181, 0x8000
	s_and_saveexec_b32 s25, vcc_lo
	s_cbranch_execz .LBB6_1527
; %bb.1520:                             ;   in Loop: Header=BB6_142 Depth=2
	v_mov_b32_e32 v181, 0
	s_mov_b32 s26, exec_lo
	v_cmpx_ne_u32_e32 0, v56
	s_cbranch_execz .LBB6_1526
; %bb.1521:                             ;   in Loop: Header=BB6_142 Depth=2
	v_bfe_u32 v181, v56, 23, 8
	s_delay_alu instid0(VALU_DEP_1) | instskip(SKIP_1) | instid1(VALU_DEP_2)
	v_sub_nc_u32_e32 v74, 0x78, v181
	v_cmp_gt_u32_e32 vcc_lo, 0x79, v181
	v_dual_cndmask_b32 v74, 0, v74 :: v_dual_and_b32 v59, 0x7fffff, v56
	s_delay_alu instid0(VALU_DEP_1) | instskip(SKIP_2) | instid1(VALU_DEP_4)
	v_or_b32_e32 v77, 0x800000, v59
	v_cmp_eq_u32_e32 vcc_lo, 0, v181
	v_add_nc_u32_e32 v181, 0xffffff89, v181
	v_cndmask_b32_e64 v74, v74, 0x77, vcc_lo
	s_delay_alu instid0(VALU_DEP_2) | instskip(SKIP_1) | instid1(VALU_DEP_3)
	v_cndmask_b32_e64 v181, v181, 0xffffff8a, vcc_lo
	v_cndmask_b32_e32 v59, v77, v59, vcc_lo
	v_lshl_add_u32 v77, 0x100000, v74, -1
	v_lshlrev_b32_e64 v90, v74, 0x80000
	s_delay_alu instid0(VALU_DEP_3) | instskip(SKIP_1) | instid1(VALU_DEP_4)
	v_lshrrev_b32_e32 v88, v74, v59
	v_add_nc_u32_e32 v74, v74, v181
	v_and_b32_e32 v59, v77, v59
	s_delay_alu instid0(VALU_DEP_3) | instskip(NEXT) | instid1(VALU_DEP_2)
	v_bfe_u32 v89, v88, 20, 1
	v_cmp_eq_u32_e64 s11, v59, v90
	s_delay_alu instid0(VALU_DEP_2) | instskip(NEXT) | instid1(VALU_DEP_1)
	v_add_nc_u32_e32 v77, -1, v89
	v_cndmask_b32_e64 v59, 0, v77, s11
	v_lshrrev_b32_e32 v77, 23, v88
	s_mov_b32 s11, exec_lo
	s_delay_alu instid0(VALU_DEP_2) | instskip(NEXT) | instid1(VALU_DEP_2)
	v_add_nc_u32_e32 v59, v59, v88
	v_xor_b32_e32 v77, 1, v77
	s_delay_alu instid0(VALU_DEP_2) | instskip(NEXT) | instid1(VALU_DEP_1)
	v_and_b32_e32 v181, 0xfffff, v59
	v_add_nc_u32_e32 v59, v181, v88
                                        ; implicit-def: $vgpr181
	s_delay_alu instid0(VALU_DEP_3)
	v_cmpx_ne_u32_e64 v74, v77
	s_xor_b32 s11, exec_lo, s11
; %bb.1522:                             ;   in Loop: Header=BB6_142 Depth=2
	s_delay_alu instid0(VALU_DEP_2) | instskip(SKIP_2) | instid1(VALU_DEP_2)
	v_cmp_lt_u32_e32 vcc_lo, 0xffffff, v59
	v_sub_nc_u32_e32 v181, v74, v77
	v_cndmask_b32_e64 v74, 0, 1, vcc_lo
	v_add_co_ci_u32_e32 v181, vcc_lo, 0, v181, vcc_lo
	s_delay_alu instid0(VALU_DEP_2)
	v_lshrrev_b32_e32 v59, v74, v59
; %bb.1523:                             ;   in Loop: Header=BB6_142 Depth=2
	s_and_not1_saveexec_b32 s11, s11
; %bb.1524:                             ;   in Loop: Header=BB6_142 Depth=2
	s_delay_alu instid0(VALU_DEP_1)
	v_bfe_u32 v181, v59, 23, 1
; %bb.1525:                             ;   in Loop: Header=BB6_142 Depth=2
	s_or_b32 exec_lo, exec_lo, s11
	v_lshrrev_b32_e32 v59, 20, v59
	s_delay_alu instid0(VALU_DEP_2) | instskip(SKIP_2) | instid1(VALU_DEP_2)
	v_cmp_gt_i32_e32 vcc_lo, 16, v181
	v_min_i32_e32 v74, 15, v181
	v_lshrrev_b32_e32 v56, 24, v56
	v_dual_cndmask_b32 v59, 7, v59 :: v_dual_lshlrev_b32 v74, 3, v74
	s_delay_alu instid0(VALU_DEP_2) | instskip(NEXT) | instid1(VALU_DEP_2)
	v_and_b32_e32 v56, 0x80, v56
	v_or_b32_e32 v181, v181, v59
	v_and_b32_e32 v77, 7, v59
	s_delay_alu instid0(VALU_DEP_2) | instskip(SKIP_1) | instid1(VALU_DEP_1)
	v_cmp_ne_u32_e32 vcc_lo, 0, v181
	v_and_b32_e32 v74, 0xf8, v74
	v_or3_b32 v56, v56, v74, v77
	s_delay_alu instid0(VALU_DEP_1) | instskip(NEXT) | instid1(VALU_DEP_1)
	v_lshlrev_b32_e32 v56, 8, v56
	v_cndmask_b32_e32 v181, 0, v56, vcc_lo
.LBB6_1526:                             ;   in Loop: Header=BB6_142 Depth=2
	s_or_b32 exec_lo, exec_lo, s26
.LBB6_1527:                             ;   in Loop: Header=BB6_142 Depth=2
	s_delay_alu instid0(SALU_CYCLE_1) | instskip(SKIP_3) | instid1(VALU_DEP_1)
	s_or_b32 exec_lo, exec_lo, s25
	v_or_b32_e32 v182, v182, v178
	s_mov_b32 s11, 0
	s_mov_b32 s26, exec_lo
                                        ; implicit-def: $sgpr25
	v_and_b32_e32 v56, 0xff, v182
	s_delay_alu instid0(VALU_DEP_1)
	v_cmpx_lt_i16_e32 0x7f, v56
	s_xor_b32 s26, exec_lo, s26
	s_cbranch_execnz .LBB6_2501
; %bb.1528:                             ;   in Loop: Header=BB6_142 Depth=2
	s_or_saveexec_b32 s26, s26
	v_mov_b32_e32 v178, s25
	s_xor_b32 exec_lo, exec_lo, s26
	s_cbranch_execnz .LBB6_2504
.LBB6_1529:                             ;   in Loop: Header=BB6_142 Depth=2
	s_or_b32 exec_lo, exec_lo, s26
	v_lshl_or_b32 v182, v182, 16, v42
	s_and_saveexec_b32 s25, s11
	s_cbranch_execz .LBB6_1531
.LBB6_1530:                             ;   in Loop: Header=BB6_142 Depth=2
	s_delay_alu instid0(VALU_DEP_1) | instskip(SKIP_2) | instid1(VALU_DEP_3)
	v_bfe_u32 v178, v182, 16, 3
	v_lshrrev_b32_e32 v56, 16, v182
	v_lshlrev_b32_e32 v74, 8, v182
	v_clz_i32_u32_e32 v42, v178
	s_delay_alu instid0(VALU_DEP_1) | instskip(NEXT) | instid1(VALU_DEP_1)
	v_min_u32_e32 v42, 32, v42
	v_subrev_nc_u32_e32 v59, 28, v42
	v_sub_nc_u32_e32 v42, 29, v42
	s_delay_alu instid0(VALU_DEP_2) | instskip(SKIP_1) | instid1(VALU_DEP_2)
	v_lshlrev_b32_e32 v56, v59, v56
	v_bfe_u32 v59, v182, 19, 4
	v_and_b32_e32 v56, 7, v56
	s_delay_alu instid0(VALU_DEP_2) | instskip(SKIP_1) | instid1(VALU_DEP_3)
	v_cmp_eq_u32_e32 vcc_lo, 0, v59
	v_cndmask_b32_e32 v42, v59, v42, vcc_lo
	v_cndmask_b32_e32 v178, v178, v56, vcc_lo
	v_and_b32_e32 v56, 0x80000000, v74
	s_delay_alu instid0(VALU_DEP_3) | instskip(NEXT) | instid1(VALU_DEP_3)
	v_lshl_add_u32 v42, v42, 23, 0x3b800000
	v_lshlrev_b32_e32 v178, 20, v178
	s_delay_alu instid0(VALU_DEP_1)
	v_or3_b32 v178, v56, v42, v178
.LBB6_1531:                             ;   in Loop: Header=BB6_142 Depth=2
	s_or_b32 exec_lo, exec_lo, s25
	v_lshrrev_b32_e32 v42, 16, v15
	s_mov_b32 s11, 0
	s_mov_b32 s26, exec_lo
                                        ; implicit-def: $sgpr25
	s_delay_alu instid0(VALU_DEP_1) | instskip(NEXT) | instid1(VALU_DEP_1)
	v_and_b32_e32 v59, 0xff, v42
	v_cmpx_lt_i16_e32 0x7f, v59
	s_xor_b32 s26, exec_lo, s26
	s_cbranch_execnz .LBB6_2505
; %bb.1532:                             ;   in Loop: Header=BB6_142 Depth=2
	s_or_saveexec_b32 s26, s26
	v_mov_b32_e32 v56, s25
	s_xor_b32 exec_lo, exec_lo, s26
	s_cbranch_execnz .LBB6_2508
.LBB6_1533:                             ;   in Loop: Header=BB6_142 Depth=2
	s_or_b32 exec_lo, exec_lo, s26
	s_and_saveexec_b32 s25, s11
	s_cbranch_execz .LBB6_1535
.LBB6_1534:                             ;   in Loop: Header=BB6_142 Depth=2
	v_bfe_u32 v56, v15, 16, 3
	s_delay_alu instid0(VALU_DEP_1) | instskip(NEXT) | instid1(VALU_DEP_1)
	v_clz_i32_u32_e32 v59, v56
	v_min_u32_e32 v59, 32, v59
	s_delay_alu instid0(VALU_DEP_1) | instskip(SKIP_1) | instid1(VALU_DEP_2)
	v_subrev_nc_u32_e32 v74, 28, v59
	v_sub_nc_u32_e32 v59, 29, v59
	v_lshlrev_b32_e32 v42, v74, v42
	v_bfe_u32 v74, v15, 19, 4
	s_delay_alu instid0(VALU_DEP_1) | instskip(NEXT) | instid1(VALU_DEP_3)
	v_cmp_eq_u32_e32 vcc_lo, 0, v74
	v_dual_cndmask_b32 v59, v74, v59 :: v_dual_and_b32 v42, 7, v42
	s_delay_alu instid0(VALU_DEP_1) | instskip(NEXT) | instid1(VALU_DEP_2)
	v_dual_cndmask_b32 v42, v56, v42 :: v_dual_lshlrev_b32 v77, 8, v15
	v_lshl_add_u32 v59, v59, 23, 0x3b800000
	s_delay_alu instid0(VALU_DEP_2) | instskip(NEXT) | instid1(VALU_DEP_3)
	v_and_b32_e32 v56, 0x80000000, v77
	v_lshlrev_b32_e32 v42, 20, v42
	s_delay_alu instid0(VALU_DEP_1)
	v_or3_b32 v56, v56, v59, v42
.LBB6_1535:                             ;   in Loop: Header=BB6_142 Depth=2
	s_or_b32 exec_lo, exec_lo, s25
	s_delay_alu instid0(VALU_DEP_1) | instskip(NEXT) | instid1(VALU_DEP_1)
	v_add_f32_e32 v42, v178, v56
	v_and_b32_e32 v178, 0x7f800000, v42
	s_delay_alu instid0(VALU_DEP_1)
	v_cmp_ne_u32_e32 vcc_lo, 0x7f800000, v178
	v_mov_b32_e32 v178, 0x80
	s_and_saveexec_b32 s25, vcc_lo
	s_cbranch_execz .LBB6_1543
; %bb.1536:                             ;   in Loop: Header=BB6_142 Depth=2
	v_mov_b32_e32 v178, 0
	s_mov_b32 s26, exec_lo
	v_cmpx_ne_u32_e32 0, v42
	s_cbranch_execz .LBB6_1542
; %bb.1537:                             ;   in Loop: Header=BB6_142 Depth=2
	v_bfe_u32 v178, v42, 23, 8
	s_delay_alu instid0(VALU_DEP_1) | instskip(SKIP_1) | instid1(VALU_DEP_2)
	v_sub_nc_u32_e32 v59, 0x78, v178
	v_cmp_gt_u32_e32 vcc_lo, 0x79, v178
	v_dual_cndmask_b32 v59, 0, v59 :: v_dual_and_b32 v56, 0x7fffff, v42
	s_delay_alu instid0(VALU_DEP_1) | instskip(SKIP_2) | instid1(VALU_DEP_4)
	v_or_b32_e32 v74, 0x800000, v56
	v_cmp_eq_u32_e32 vcc_lo, 0, v178
	v_add_nc_u32_e32 v178, 0xffffff89, v178
	v_cndmask_b32_e64 v59, v59, 0x77, vcc_lo
	s_delay_alu instid0(VALU_DEP_2) | instskip(SKIP_1) | instid1(VALU_DEP_3)
	v_cndmask_b32_e64 v178, v178, 0xffffff8a, vcc_lo
	v_cndmask_b32_e32 v56, v74, v56, vcc_lo
	v_lshl_add_u32 v74, 0x100000, v59, -1
	v_lshlrev_b32_e64 v89, v59, 0x80000
	s_delay_alu instid0(VALU_DEP_3) | instskip(SKIP_1) | instid1(VALU_DEP_4)
	v_lshrrev_b32_e32 v77, v59, v56
	v_add_nc_u32_e32 v59, v59, v178
	v_and_b32_e32 v56, v74, v56
	s_delay_alu instid0(VALU_DEP_3) | instskip(NEXT) | instid1(VALU_DEP_2)
	v_bfe_u32 v88, v77, 20, 1
	v_cmp_eq_u32_e64 s11, v56, v89
	s_delay_alu instid0(VALU_DEP_2) | instskip(NEXT) | instid1(VALU_DEP_1)
	v_add_nc_u32_e32 v74, -1, v88
	v_cndmask_b32_e64 v56, 0, v74, s11
	v_lshrrev_b32_e32 v74, 23, v77
	s_mov_b32 s11, exec_lo
	s_delay_alu instid0(VALU_DEP_2) | instskip(NEXT) | instid1(VALU_DEP_2)
	v_add_nc_u32_e32 v56, v56, v77
	v_xor_b32_e32 v74, 1, v74
	s_delay_alu instid0(VALU_DEP_2) | instskip(NEXT) | instid1(VALU_DEP_1)
	v_and_b32_e32 v178, 0xfffff, v56
	v_add_nc_u32_e32 v56, v178, v77
                                        ; implicit-def: $vgpr178
	s_delay_alu instid0(VALU_DEP_3)
	v_cmpx_ne_u32_e64 v59, v74
	s_xor_b32 s11, exec_lo, s11
; %bb.1538:                             ;   in Loop: Header=BB6_142 Depth=2
	s_delay_alu instid0(VALU_DEP_2) | instskip(SKIP_2) | instid1(VALU_DEP_2)
	v_cmp_lt_u32_e32 vcc_lo, 0xffffff, v56
	v_sub_nc_u32_e32 v178, v59, v74
	v_cndmask_b32_e64 v59, 0, 1, vcc_lo
	v_add_co_ci_u32_e32 v178, vcc_lo, 0, v178, vcc_lo
	s_delay_alu instid0(VALU_DEP_2)
	v_lshrrev_b32_e32 v56, v59, v56
; %bb.1539:                             ;   in Loop: Header=BB6_142 Depth=2
	s_and_not1_saveexec_b32 s11, s11
; %bb.1540:                             ;   in Loop: Header=BB6_142 Depth=2
	s_delay_alu instid0(VALU_DEP_1)
	v_bfe_u32 v178, v56, 23, 1
; %bb.1541:                             ;   in Loop: Header=BB6_142 Depth=2
	s_or_b32 exec_lo, exec_lo, s11
	v_lshrrev_b32_e32 v56, 20, v56
	s_delay_alu instid0(VALU_DEP_2) | instskip(SKIP_2) | instid1(VALU_DEP_2)
	v_cmp_gt_i32_e32 vcc_lo, 16, v178
	v_min_i32_e32 v59, 15, v178
	v_lshrrev_b32_e32 v42, 24, v42
	v_dual_cndmask_b32 v56, 7, v56 :: v_dual_lshlrev_b32 v59, 3, v59
	s_delay_alu instid0(VALU_DEP_2) | instskip(NEXT) | instid1(VALU_DEP_2)
	v_and_b32_e32 v42, 0x80, v42
	v_or_b32_e32 v178, v178, v56
	v_and_b32_e32 v74, 7, v56
	s_delay_alu instid0(VALU_DEP_2) | instskip(SKIP_1) | instid1(VALU_DEP_1)
	v_cmp_ne_u32_e32 vcc_lo, 0, v178
	v_and_b32_e32 v59, 0xf8, v59
	v_or3_b32 v42, v59, v42, v74
	s_delay_alu instid0(VALU_DEP_1)
	v_cndmask_b32_e32 v178, 0, v42, vcc_lo
.LBB6_1542:                             ;   in Loop: Header=BB6_142 Depth=2
	s_or_b32 exec_lo, exec_lo, s26
.LBB6_1543:                             ;   in Loop: Header=BB6_142 Depth=2
	s_delay_alu instid0(SALU_CYCLE_1) | instskip(SKIP_3) | instid1(VALU_DEP_1)
	s_or_b32 exec_lo, exec_lo, s25
	v_lshrrev_b32_e32 v56, 24, v182
	s_mov_b32 s11, 0
	s_mov_b32 s26, exec_lo
                                        ; implicit-def: $sgpr25
	v_cmpx_lt_i16_e32 0x7f, v56
	s_xor_b32 s26, exec_lo, s26
	s_cbranch_execnz .LBB6_2509
; %bb.1544:                             ;   in Loop: Header=BB6_142 Depth=2
	s_or_saveexec_b32 s26, s26
	v_mov_b32_e32 v42, s25
	s_xor_b32 exec_lo, exec_lo, s26
	s_cbranch_execnz .LBB6_2512
.LBB6_1545:                             ;   in Loop: Header=BB6_142 Depth=2
	s_or_b32 exec_lo, exec_lo, s26
	s_and_saveexec_b32 s25, s11
	s_cbranch_execz .LBB6_1547
.LBB6_1546:                             ;   in Loop: Header=BB6_142 Depth=2
	v_bfe_u32 v42, v182, 24, 3
	s_delay_alu instid0(VALU_DEP_1) | instskip(NEXT) | instid1(VALU_DEP_1)
	v_clz_i32_u32_e32 v59, v42
	v_min_u32_e32 v59, 32, v59
	s_delay_alu instid0(VALU_DEP_1) | instskip(SKIP_1) | instid1(VALU_DEP_2)
	v_subrev_nc_u32_e32 v74, 28, v59
	v_sub_nc_u32_e32 v59, 29, v59
	v_lshlrev_b32_e32 v56, v74, v56
	v_bfe_u32 v74, v182, 27, 4
	v_and_b32_e32 v182, 0x80000000, v182
	s_delay_alu instid0(VALU_DEP_2) | instskip(NEXT) | instid1(VALU_DEP_4)
	v_cmp_eq_u32_e32 vcc_lo, 0, v74
	v_dual_cndmask_b32 v59, v74, v59 :: v_dual_and_b32 v56, 7, v56
	s_delay_alu instid0(VALU_DEP_1) | instskip(NEXT) | instid1(VALU_DEP_2)
	v_cndmask_b32_e32 v42, v42, v56, vcc_lo
	v_lshl_add_u32 v56, v59, 23, 0x3b800000
	s_delay_alu instid0(VALU_DEP_2) | instskip(NEXT) | instid1(VALU_DEP_1)
	v_lshlrev_b32_e32 v42, 20, v42
	v_or3_b32 v42, v182, v56, v42
.LBB6_1547:                             ;   in Loop: Header=BB6_142 Depth=2
	s_or_b32 exec_lo, exec_lo, s25
	v_lshrrev_b32_e32 v182, 24, v15
	s_mov_b32 s11, 0
	s_mov_b32 s26, exec_lo
                                        ; implicit-def: $sgpr25
	s_delay_alu instid0(VALU_DEP_1)
	v_cmpx_lt_i16_e64 0x7f, v182
	s_xor_b32 s26, exec_lo, s26
	s_cbranch_execnz .LBB6_2513
; %bb.1548:                             ;   in Loop: Header=BB6_142 Depth=2
	s_or_saveexec_b32 s26, s26
	v_mov_b32_e32 v56, s25
	s_xor_b32 exec_lo, exec_lo, s26
	s_cbranch_execnz .LBB6_2516
.LBB6_1549:                             ;   in Loop: Header=BB6_142 Depth=2
	s_or_b32 exec_lo, exec_lo, s26
	s_and_saveexec_b32 s25, s11
	s_cbranch_execz .LBB6_1551
.LBB6_1550:                             ;   in Loop: Header=BB6_142 Depth=2
	v_bfe_u32 v56, v15, 24, 3
	s_delay_alu instid0(VALU_DEP_1) | instskip(NEXT) | instid1(VALU_DEP_1)
	v_clz_i32_u32_e32 v59, v56
	v_min_u32_e32 v59, 32, v59
	s_delay_alu instid0(VALU_DEP_1) | instskip(SKIP_1) | instid1(VALU_DEP_2)
	v_subrev_nc_u32_e32 v74, 28, v59
	v_sub_nc_u32_e32 v59, 29, v59
	v_lshlrev_b32_e32 v182, v74, v182
	v_bfe_u32 v74, v15, 27, 4
	v_and_b32_e32 v15, 0x80000000, v15
	s_delay_alu instid0(VALU_DEP_2) | instskip(NEXT) | instid1(VALU_DEP_4)
	v_cmp_eq_u32_e32 vcc_lo, 0, v74
	v_dual_cndmask_b32 v59, v74, v59 :: v_dual_and_b32 v182, 7, v182
	s_delay_alu instid0(VALU_DEP_1) | instskip(NEXT) | instid1(VALU_DEP_2)
	v_cndmask_b32_e32 v182, v56, v182, vcc_lo
	v_lshl_add_u32 v56, v59, 23, 0x3b800000
	s_delay_alu instid0(VALU_DEP_2) | instskip(NEXT) | instid1(VALU_DEP_1)
	v_lshlrev_b32_e32 v182, 20, v182
	v_or3_b32 v56, v15, v56, v182
.LBB6_1551:                             ;   in Loop: Header=BB6_142 Depth=2
	s_or_b32 exec_lo, exec_lo, s25
	s_delay_alu instid0(VALU_DEP_1) | instskip(NEXT) | instid1(VALU_DEP_1)
	v_add_f32_e32 v182, v42, v56
	v_and_b32_e32 v15, 0x7f800000, v182
	s_delay_alu instid0(VALU_DEP_1)
	v_cmp_ne_u32_e32 vcc_lo, 0x7f800000, v15
	v_mov_b32_e32 v15, 0x8000
	s_and_saveexec_b32 s25, vcc_lo
	s_cbranch_execz .LBB6_1559
; %bb.1552:                             ;   in Loop: Header=BB6_142 Depth=2
	v_mov_b32_e32 v15, 0
	s_mov_b32 s26, exec_lo
	v_cmpx_ne_u32_e32 0, v182
	s_cbranch_execz .LBB6_1558
; %bb.1553:                             ;   in Loop: Header=BB6_142 Depth=2
	v_bfe_u32 v15, v182, 23, 8
	v_and_b32_e32 v42, 0x7fffff, v182
	s_delay_alu instid0(VALU_DEP_2) | instskip(SKIP_1) | instid1(VALU_DEP_3)
	v_sub_nc_u32_e32 v56, 0x78, v15
	v_cmp_gt_u32_e32 vcc_lo, 0x79, v15
	v_or_b32_e32 v59, 0x800000, v42
	s_delay_alu instid0(VALU_DEP_3) | instskip(SKIP_2) | instid1(VALU_DEP_3)
	v_cndmask_b32_e32 v56, 0, v56, vcc_lo
	v_cmp_eq_u32_e32 vcc_lo, 0, v15
	v_add_nc_u32_e32 v15, 0xffffff89, v15
	v_cndmask_b32_e64 v56, v56, 0x77, vcc_lo
	v_cndmask_b32_e32 v42, v59, v42, vcc_lo
	s_delay_alu instid0(VALU_DEP_3) | instskip(NEXT) | instid1(VALU_DEP_3)
	v_cndmask_b32_e64 v15, v15, 0xffffff8a, vcc_lo
	v_lshl_add_u32 v59, 0x100000, v56, -1
	s_delay_alu instid0(VALU_DEP_3) | instskip(SKIP_1) | instid1(VALU_DEP_4)
	v_lshrrev_b32_e32 v74, v56, v42
	v_lshlrev_b32_e64 v88, v56, 0x80000
	v_add_nc_u32_e32 v56, v56, v15
	s_delay_alu instid0(VALU_DEP_4) | instskip(NEXT) | instid1(VALU_DEP_4)
	v_and_b32_e32 v42, v59, v42
	v_bfe_u32 v77, v74, 20, 1
	s_delay_alu instid0(VALU_DEP_2) | instskip(NEXT) | instid1(VALU_DEP_2)
	v_cmp_eq_u32_e64 s11, v42, v88
	v_add_nc_u32_e32 v59, -1, v77
	s_delay_alu instid0(VALU_DEP_1) | instskip(SKIP_2) | instid1(VALU_DEP_2)
	v_cndmask_b32_e64 v42, 0, v59, s11
	v_lshrrev_b32_e32 v59, 23, v74
	s_mov_b32 s11, exec_lo
	v_add_nc_u32_e32 v42, v42, v74
	s_delay_alu instid0(VALU_DEP_2) | instskip(NEXT) | instid1(VALU_DEP_2)
	v_xor_b32_e32 v59, 1, v59
	v_and_b32_e32 v15, 0xfffff, v42
	s_delay_alu instid0(VALU_DEP_1) | instskip(NEXT) | instid1(VALU_DEP_3)
	v_add_nc_u32_e32 v42, v15, v74
                                        ; implicit-def: $vgpr15
	v_cmpx_ne_u32_e64 v56, v59
	s_xor_b32 s11, exec_lo, s11
; %bb.1554:                             ;   in Loop: Header=BB6_142 Depth=2
	s_delay_alu instid0(VALU_DEP_2) | instskip(SKIP_2) | instid1(VALU_DEP_2)
	v_cmp_lt_u32_e32 vcc_lo, 0xffffff, v42
	v_sub_nc_u32_e32 v15, v56, v59
	v_cndmask_b32_e64 v56, 0, 1, vcc_lo
	v_add_co_ci_u32_e32 v15, vcc_lo, 0, v15, vcc_lo
	s_delay_alu instid0(VALU_DEP_2)
	v_lshrrev_b32_e32 v42, v56, v42
; %bb.1555:                             ;   in Loop: Header=BB6_142 Depth=2
	s_and_not1_saveexec_b32 s11, s11
; %bb.1556:                             ;   in Loop: Header=BB6_142 Depth=2
	s_delay_alu instid0(VALU_DEP_1)
	v_bfe_u32 v15, v42, 23, 1
; %bb.1557:                             ;   in Loop: Header=BB6_142 Depth=2
	s_or_b32 exec_lo, exec_lo, s11
	v_lshrrev_b32_e32 v42, 20, v42
	s_delay_alu instid0(VALU_DEP_2) | instskip(SKIP_2) | instid1(VALU_DEP_4)
	v_cmp_gt_i32_e32 vcc_lo, 16, v15
	v_min_i32_e32 v56, 15, v15
	v_lshrrev_b32_e32 v182, 24, v182
	v_cndmask_b32_e32 v42, 7, v42, vcc_lo
	s_delay_alu instid0(VALU_DEP_2) | instskip(NEXT) | instid1(VALU_DEP_2)
	v_and_b32_e32 v182, 0x80, v182
	v_or_b32_e32 v15, v15, v42
	v_and_b32_e32 v59, 7, v42
	s_delay_alu instid0(VALU_DEP_2) | instskip(SKIP_1) | instid1(VALU_DEP_1)
	v_cmp_ne_u32_e32 vcc_lo, 0, v15
	v_lshlrev_b32_e32 v56, 3, v56
	v_and_b32_e32 v56, 0xf8, v56
	s_delay_alu instid0(VALU_DEP_1) | instskip(NEXT) | instid1(VALU_DEP_1)
	v_or3_b32 v182, v182, v56, v59
	v_lshlrev_b32_e32 v182, 8, v182
	s_delay_alu instid0(VALU_DEP_1)
	v_cndmask_b32_e32 v15, 0, v182, vcc_lo
.LBB6_1558:                             ;   in Loop: Header=BB6_142 Depth=2
	s_or_b32 exec_lo, exec_lo, s26
.LBB6_1559:                             ;   in Loop: Header=BB6_142 Depth=2
	s_delay_alu instid0(SALU_CYCLE_1) | instskip(SKIP_3) | instid1(VALU_DEP_1)
	s_or_b32 exec_lo, exec_lo, s25
	v_and_b32_e32 v42, 0xff, v177
	s_mov_b32 s11, 0
	s_mov_b32 s26, exec_lo
                                        ; implicit-def: $sgpr25
	v_cmpx_lt_i16_e32 0x7f, v42
	s_xor_b32 s26, exec_lo, s26
	s_cbranch_execnz .LBB6_2517
; %bb.1560:                             ;   in Loop: Header=BB6_142 Depth=2
	s_or_saveexec_b32 s26, s26
	v_mov_b32_e32 v182, s25
	s_xor_b32 exec_lo, exec_lo, s26
	s_cbranch_execnz .LBB6_2520
.LBB6_1561:                             ;   in Loop: Header=BB6_142 Depth=2
	s_or_b32 exec_lo, exec_lo, s26
	s_and_saveexec_b32 s25, s11
	s_cbranch_execz .LBB6_1563
.LBB6_1562:                             ;   in Loop: Header=BB6_142 Depth=2
	v_and_b32_e32 v182, 7, v177
	v_bfe_u32 v59, v177, 3, 4
	s_delay_alu instid0(VALU_DEP_2) | instskip(NEXT) | instid1(VALU_DEP_2)
	v_clz_i32_u32_e32 v42, v182
	v_cmp_eq_u32_e32 vcc_lo, 0, v59
	s_delay_alu instid0(VALU_DEP_2) | instskip(NEXT) | instid1(VALU_DEP_1)
	v_min_u32_e32 v42, 32, v42
	v_subrev_nc_u32_e32 v56, 28, v42
	v_sub_nc_u32_e32 v42, 29, v42
	s_delay_alu instid0(VALU_DEP_2) | instskip(NEXT) | instid1(VALU_DEP_2)
	v_lshlrev_b32_e32 v56, v56, v177
	v_dual_cndmask_b32 v42, v59, v42 :: v_dual_lshlrev_b32 v177, 24, v177
	s_delay_alu instid0(VALU_DEP_2) | instskip(NEXT) | instid1(VALU_DEP_2)
	v_and_b32_e32 v56, 7, v56
	v_and_b32_e32 v177, 0x80000000, v177
	s_delay_alu instid0(VALU_DEP_3) | instskip(NEXT) | instid1(VALU_DEP_3)
	v_lshl_add_u32 v42, v42, 23, 0x3b800000
	v_cndmask_b32_e32 v182, v182, v56, vcc_lo
	s_delay_alu instid0(VALU_DEP_1) | instskip(NEXT) | instid1(VALU_DEP_1)
	v_lshlrev_b32_e32 v182, 20, v182
	v_or3_b32 v182, v177, v42, v182
.LBB6_1563:                             ;   in Loop: Header=BB6_142 Depth=2
	s_or_b32 exec_lo, exec_lo, s25
	v_and_b32_e32 v42, 0xff, v16
	s_mov_b32 s11, 0
	s_mov_b32 s26, exec_lo
                                        ; implicit-def: $sgpr25
	s_delay_alu instid0(VALU_DEP_1)
	v_cmpx_lt_i16_e32 0x7f, v42
	s_xor_b32 s26, exec_lo, s26
	s_cbranch_execnz .LBB6_2521
; %bb.1564:                             ;   in Loop: Header=BB6_142 Depth=2
	s_or_saveexec_b32 s26, s26
	v_mov_b32_e32 v177, s25
	s_xor_b32 exec_lo, exec_lo, s26
	s_cbranch_execnz .LBB6_2524
.LBB6_1565:                             ;   in Loop: Header=BB6_142 Depth=2
	s_or_b32 exec_lo, exec_lo, s26
	s_and_saveexec_b32 s25, s11
	s_cbranch_execz .LBB6_1567
.LBB6_1566:                             ;   in Loop: Header=BB6_142 Depth=2
	v_bfe_u32 v59, v16, 3, 4
	v_lshlrev_b32_e32 v74, 24, v16
	s_delay_alu instid0(VALU_DEP_2) | instskip(SKIP_1) | instid1(VALU_DEP_1)
	v_cmp_eq_u32_e32 vcc_lo, 0, v59
	v_and_b32_e32 v177, 7, v16
	v_clz_i32_u32_e32 v42, v177
	s_delay_alu instid0(VALU_DEP_1) | instskip(NEXT) | instid1(VALU_DEP_1)
	v_min_u32_e32 v42, 32, v42
	v_subrev_nc_u32_e32 v56, 28, v42
	v_sub_nc_u32_e32 v42, 29, v42
	s_delay_alu instid0(VALU_DEP_2) | instskip(NEXT) | instid1(VALU_DEP_2)
	v_lshlrev_b32_e32 v56, v56, v16
	v_cndmask_b32_e32 v42, v59, v42, vcc_lo
	s_delay_alu instid0(VALU_DEP_2) | instskip(NEXT) | instid1(VALU_DEP_2)
	v_and_b32_e32 v56, 7, v56
	v_lshl_add_u32 v42, v42, 23, 0x3b800000
	s_delay_alu instid0(VALU_DEP_2) | instskip(NEXT) | instid1(VALU_DEP_1)
	v_dual_cndmask_b32 v177, v177, v56 :: v_dual_and_b32 v56, 0x80000000, v74
	v_lshlrev_b32_e32 v177, 20, v177
	s_delay_alu instid0(VALU_DEP_1)
	v_or3_b32 v177, v56, v42, v177
.LBB6_1567:                             ;   in Loop: Header=BB6_142 Depth=2
	s_or_b32 exec_lo, exec_lo, s25
	s_delay_alu instid0(VALU_DEP_1) | instskip(NEXT) | instid1(VALU_DEP_1)
	v_add_f32_e32 v182, v182, v177
	v_and_b32_e32 v177, 0x7f800000, v182
	s_delay_alu instid0(VALU_DEP_1)
	v_cmp_ne_u32_e32 vcc_lo, 0x7f800000, v177
	v_mov_b32_e32 v177, 0x80
	s_and_saveexec_b32 s25, vcc_lo
	s_cbranch_execz .LBB6_1575
; %bb.1568:                             ;   in Loop: Header=BB6_142 Depth=2
	v_mov_b32_e32 v177, 0
	s_mov_b32 s26, exec_lo
	v_cmpx_ne_u32_e32 0, v182
	s_cbranch_execz .LBB6_1574
; %bb.1569:                             ;   in Loop: Header=BB6_142 Depth=2
	v_bfe_u32 v177, v182, 23, 8
	v_and_b32_e32 v42, 0x7fffff, v182
	s_delay_alu instid0(VALU_DEP_2) | instskip(SKIP_1) | instid1(VALU_DEP_3)
	v_sub_nc_u32_e32 v56, 0x78, v177
	v_cmp_gt_u32_e32 vcc_lo, 0x79, v177
	v_or_b32_e32 v59, 0x800000, v42
	s_delay_alu instid0(VALU_DEP_3) | instskip(SKIP_2) | instid1(VALU_DEP_3)
	v_cndmask_b32_e32 v56, 0, v56, vcc_lo
	v_cmp_eq_u32_e32 vcc_lo, 0, v177
	v_add_nc_u32_e32 v177, 0xffffff89, v177
	v_cndmask_b32_e64 v56, v56, 0x77, vcc_lo
	v_cndmask_b32_e32 v42, v59, v42, vcc_lo
	s_delay_alu instid0(VALU_DEP_3) | instskip(NEXT) | instid1(VALU_DEP_3)
	v_cndmask_b32_e64 v177, v177, 0xffffff8a, vcc_lo
	v_lshl_add_u32 v59, 0x100000, v56, -1
	s_delay_alu instid0(VALU_DEP_3) | instskip(SKIP_1) | instid1(VALU_DEP_4)
	v_lshrrev_b32_e32 v74, v56, v42
	v_lshlrev_b32_e64 v88, v56, 0x80000
	v_add_nc_u32_e32 v56, v56, v177
	s_delay_alu instid0(VALU_DEP_4) | instskip(NEXT) | instid1(VALU_DEP_4)
	v_and_b32_e32 v42, v59, v42
	v_bfe_u32 v77, v74, 20, 1
	s_delay_alu instid0(VALU_DEP_2) | instskip(NEXT) | instid1(VALU_DEP_2)
	v_cmp_eq_u32_e64 s11, v42, v88
	v_add_nc_u32_e32 v59, -1, v77
	s_delay_alu instid0(VALU_DEP_1) | instskip(SKIP_2) | instid1(VALU_DEP_2)
	v_cndmask_b32_e64 v42, 0, v59, s11
	v_lshrrev_b32_e32 v59, 23, v74
	s_mov_b32 s11, exec_lo
	v_add_nc_u32_e32 v42, v42, v74
	s_delay_alu instid0(VALU_DEP_2) | instskip(NEXT) | instid1(VALU_DEP_2)
	v_xor_b32_e32 v59, 1, v59
	v_and_b32_e32 v177, 0xfffff, v42
	s_delay_alu instid0(VALU_DEP_1) | instskip(NEXT) | instid1(VALU_DEP_3)
	v_add_nc_u32_e32 v42, v177, v74
                                        ; implicit-def: $vgpr177
	v_cmpx_ne_u32_e64 v56, v59
	s_xor_b32 s11, exec_lo, s11
; %bb.1570:                             ;   in Loop: Header=BB6_142 Depth=2
	s_delay_alu instid0(VALU_DEP_2) | instskip(SKIP_2) | instid1(VALU_DEP_2)
	v_cmp_lt_u32_e32 vcc_lo, 0xffffff, v42
	v_sub_nc_u32_e32 v177, v56, v59
	v_cndmask_b32_e64 v56, 0, 1, vcc_lo
	v_add_co_ci_u32_e32 v177, vcc_lo, 0, v177, vcc_lo
	s_delay_alu instid0(VALU_DEP_2)
	v_lshrrev_b32_e32 v42, v56, v42
; %bb.1571:                             ;   in Loop: Header=BB6_142 Depth=2
	s_and_not1_saveexec_b32 s11, s11
; %bb.1572:                             ;   in Loop: Header=BB6_142 Depth=2
	s_delay_alu instid0(VALU_DEP_1)
	v_bfe_u32 v177, v42, 23, 1
; %bb.1573:                             ;   in Loop: Header=BB6_142 Depth=2
	s_or_b32 exec_lo, exec_lo, s11
	v_lshrrev_b32_e32 v42, 20, v42
	s_delay_alu instid0(VALU_DEP_2) | instskip(SKIP_2) | instid1(VALU_DEP_4)
	v_cmp_gt_i32_e32 vcc_lo, 16, v177
	v_lshrrev_b32_e32 v182, 24, v182
	v_min_i32_e32 v56, 15, v177
	v_cndmask_b32_e32 v42, 7, v42, vcc_lo
	s_delay_alu instid0(VALU_DEP_3) | instskip(NEXT) | instid1(VALU_DEP_2)
	v_and_b32_e32 v182, 0x80, v182
	v_or_b32_e32 v177, v177, v42
	v_and_b32_e32 v59, 7, v42
	s_delay_alu instid0(VALU_DEP_2) | instskip(SKIP_1) | instid1(VALU_DEP_1)
	v_cmp_ne_u32_e32 vcc_lo, 0, v177
	v_lshlrev_b32_e32 v56, 3, v56
	v_or3_b32 v182, v56, v182, v59
	s_delay_alu instid0(VALU_DEP_1)
	v_cndmask_b32_e32 v177, 0, v182, vcc_lo
.LBB6_1574:                             ;   in Loop: Header=BB6_142 Depth=2
	s_or_b32 exec_lo, exec_lo, s26
.LBB6_1575:                             ;   in Loop: Header=BB6_142 Depth=2
	s_delay_alu instid0(SALU_CYCLE_1) | instskip(SKIP_3) | instid1(VALU_DEP_1)
	s_or_b32 exec_lo, exec_lo, s25
	v_and_b32_e32 v42, 0xff, v167
	s_mov_b32 s11, 0
	s_mov_b32 s26, exec_lo
                                        ; implicit-def: $sgpr25
	v_cmpx_lt_i16_e32 0x7f, v42
	s_xor_b32 s26, exec_lo, s26
	s_cbranch_execnz .LBB6_2525
; %bb.1576:                             ;   in Loop: Header=BB6_142 Depth=2
	s_or_saveexec_b32 s26, s26
	v_mov_b32_e32 v182, s25
	s_xor_b32 exec_lo, exec_lo, s26
	s_cbranch_execnz .LBB6_2528
.LBB6_1577:                             ;   in Loop: Header=BB6_142 Depth=2
	s_or_b32 exec_lo, exec_lo, s26
	s_and_saveexec_b32 s25, s11
	s_cbranch_execz .LBB6_1579
.LBB6_1578:                             ;   in Loop: Header=BB6_142 Depth=2
	v_and_b32_e32 v182, 7, v167
	v_bfe_u32 v59, v167, 3, 4
	s_delay_alu instid0(VALU_DEP_2) | instskip(NEXT) | instid1(VALU_DEP_2)
	v_clz_i32_u32_e32 v42, v182
	v_cmp_eq_u32_e32 vcc_lo, 0, v59
	s_delay_alu instid0(VALU_DEP_2) | instskip(NEXT) | instid1(VALU_DEP_1)
	v_min_u32_e32 v42, 32, v42
	v_subrev_nc_u32_e32 v56, 28, v42
	v_sub_nc_u32_e32 v42, 29, v42
	s_delay_alu instid0(VALU_DEP_2) | instskip(NEXT) | instid1(VALU_DEP_2)
	v_lshlrev_b32_e32 v56, v56, v167
	v_dual_cndmask_b32 v42, v59, v42 :: v_dual_lshlrev_b32 v167, 24, v167
	s_delay_alu instid0(VALU_DEP_2) | instskip(NEXT) | instid1(VALU_DEP_2)
	v_and_b32_e32 v56, 7, v56
	v_and_b32_e32 v167, 0x80000000, v167
	s_delay_alu instid0(VALU_DEP_3) | instskip(NEXT) | instid1(VALU_DEP_3)
	v_lshl_add_u32 v42, v42, 23, 0x3b800000
	v_cndmask_b32_e32 v182, v182, v56, vcc_lo
	s_delay_alu instid0(VALU_DEP_1) | instskip(NEXT) | instid1(VALU_DEP_1)
	v_lshlrev_b32_e32 v182, 20, v182
	v_or3_b32 v182, v167, v42, v182
.LBB6_1579:                             ;   in Loop: Header=BB6_142 Depth=2
	s_or_b32 exec_lo, exec_lo, s25
	v_lshrrev_b16 v167, 8, v16
	s_mov_b32 s11, 0
	s_mov_b32 s26, exec_lo
                                        ; implicit-def: $sgpr25
	s_delay_alu instid0(VALU_DEP_1)
	v_cmpx_lt_i16_e64 0x7f, v167
	s_xor_b32 s26, exec_lo, s26
	s_cbranch_execnz .LBB6_2529
; %bb.1580:                             ;   in Loop: Header=BB6_142 Depth=2
	s_or_saveexec_b32 s26, s26
	v_mov_b32_e32 v42, s25
	s_xor_b32 exec_lo, exec_lo, s26
	s_cbranch_execnz .LBB6_2532
.LBB6_1581:                             ;   in Loop: Header=BB6_142 Depth=2
	s_or_b32 exec_lo, exec_lo, s26
	s_and_saveexec_b32 s25, s11
	s_cbranch_execz .LBB6_1583
.LBB6_1582:                             ;   in Loop: Header=BB6_142 Depth=2
	v_and_b32_e32 v42, 0xffff, v167
	s_delay_alu instid0(VALU_DEP_1) | instskip(NEXT) | instid1(VALU_DEP_1)
	v_and_b32_e32 v56, 7, v42
	v_clz_i32_u32_e32 v59, v56
	s_delay_alu instid0(VALU_DEP_1) | instskip(NEXT) | instid1(VALU_DEP_1)
	v_min_u32_e32 v59, 32, v59
	v_subrev_nc_u32_e32 v74, 28, v59
	v_sub_nc_u32_e32 v59, 29, v59
	s_delay_alu instid0(VALU_DEP_2) | instskip(SKIP_1) | instid1(VALU_DEP_2)
	v_lshlrev_b32_e32 v74, v74, v42
	v_bfe_u32 v42, v42, 3, 4
	v_and_b32_e32 v74, 7, v74
	s_delay_alu instid0(VALU_DEP_2) | instskip(NEXT) | instid1(VALU_DEP_2)
	v_cmp_eq_u32_e32 vcc_lo, 0, v42
	v_dual_cndmask_b32 v56, v56, v74 :: v_dual_lshlrev_b32 v167, 24, v167
	v_cndmask_b32_e32 v42, v42, v59, vcc_lo
	s_delay_alu instid0(VALU_DEP_2) | instskip(NEXT) | instid1(VALU_DEP_3)
	v_and_b32_e32 v167, 0x80000000, v167
	v_lshlrev_b32_e32 v56, 20, v56
	s_delay_alu instid0(VALU_DEP_3) | instskip(NEXT) | instid1(VALU_DEP_1)
	v_lshl_add_u32 v42, v42, 23, 0x3b800000
	v_or3_b32 v42, v167, v42, v56
.LBB6_1583:                             ;   in Loop: Header=BB6_142 Depth=2
	s_or_b32 exec_lo, exec_lo, s25
	s_delay_alu instid0(VALU_DEP_1) | instskip(NEXT) | instid1(VALU_DEP_1)
	v_add_f32_e32 v182, v182, v42
	v_and_b32_e32 v167, 0x7f800000, v182
	s_delay_alu instid0(VALU_DEP_1)
	v_cmp_ne_u32_e32 vcc_lo, 0x7f800000, v167
	v_mov_b32_e32 v167, 0x80
	s_and_saveexec_b32 s25, vcc_lo
	s_cbranch_execz .LBB6_1591
; %bb.1584:                             ;   in Loop: Header=BB6_142 Depth=2
	v_mov_b32_e32 v167, 0
	s_mov_b32 s26, exec_lo
	v_cmpx_ne_u32_e32 0, v182
	s_cbranch_execz .LBB6_1590
; %bb.1585:                             ;   in Loop: Header=BB6_142 Depth=2
	v_bfe_u32 v167, v182, 23, 8
	v_and_b32_e32 v42, 0x7fffff, v182
	s_delay_alu instid0(VALU_DEP_2) | instskip(SKIP_1) | instid1(VALU_DEP_3)
	v_sub_nc_u32_e32 v56, 0x78, v167
	v_cmp_gt_u32_e32 vcc_lo, 0x79, v167
	v_or_b32_e32 v59, 0x800000, v42
	s_delay_alu instid0(VALU_DEP_3) | instskip(SKIP_2) | instid1(VALU_DEP_3)
	v_cndmask_b32_e32 v56, 0, v56, vcc_lo
	v_cmp_eq_u32_e32 vcc_lo, 0, v167
	v_add_nc_u32_e32 v167, 0xffffff89, v167
	v_cndmask_b32_e64 v56, v56, 0x77, vcc_lo
	v_cndmask_b32_e32 v42, v59, v42, vcc_lo
	s_delay_alu instid0(VALU_DEP_3) | instskip(NEXT) | instid1(VALU_DEP_3)
	v_cndmask_b32_e64 v167, v167, 0xffffff8a, vcc_lo
	v_lshl_add_u32 v59, 0x100000, v56, -1
	s_delay_alu instid0(VALU_DEP_3) | instskip(SKIP_1) | instid1(VALU_DEP_4)
	v_lshrrev_b32_e32 v74, v56, v42
	v_lshlrev_b32_e64 v88, v56, 0x80000
	v_add_nc_u32_e32 v56, v56, v167
	s_delay_alu instid0(VALU_DEP_4) | instskip(NEXT) | instid1(VALU_DEP_4)
	v_and_b32_e32 v42, v59, v42
	v_bfe_u32 v77, v74, 20, 1
	s_delay_alu instid0(VALU_DEP_2) | instskip(NEXT) | instid1(VALU_DEP_2)
	v_cmp_eq_u32_e64 s11, v42, v88
	v_add_nc_u32_e32 v59, -1, v77
	s_delay_alu instid0(VALU_DEP_1) | instskip(SKIP_2) | instid1(VALU_DEP_2)
	v_cndmask_b32_e64 v42, 0, v59, s11
	v_lshrrev_b32_e32 v59, 23, v74
	s_mov_b32 s11, exec_lo
	v_add_nc_u32_e32 v42, v42, v74
	s_delay_alu instid0(VALU_DEP_2) | instskip(NEXT) | instid1(VALU_DEP_2)
	v_xor_b32_e32 v59, 1, v59
	v_and_b32_e32 v167, 0xfffff, v42
	s_delay_alu instid0(VALU_DEP_1) | instskip(NEXT) | instid1(VALU_DEP_3)
	v_add_nc_u32_e32 v42, v167, v74
                                        ; implicit-def: $vgpr167
	v_cmpx_ne_u32_e64 v56, v59
	s_xor_b32 s11, exec_lo, s11
; %bb.1586:                             ;   in Loop: Header=BB6_142 Depth=2
	s_delay_alu instid0(VALU_DEP_2) | instskip(SKIP_2) | instid1(VALU_DEP_2)
	v_cmp_lt_u32_e32 vcc_lo, 0xffffff, v42
	v_sub_nc_u32_e32 v167, v56, v59
	v_cndmask_b32_e64 v56, 0, 1, vcc_lo
	v_add_co_ci_u32_e32 v167, vcc_lo, 0, v167, vcc_lo
	s_delay_alu instid0(VALU_DEP_2)
	v_lshrrev_b32_e32 v42, v56, v42
; %bb.1587:                             ;   in Loop: Header=BB6_142 Depth=2
	s_and_not1_saveexec_b32 s11, s11
; %bb.1588:                             ;   in Loop: Header=BB6_142 Depth=2
	s_delay_alu instid0(VALU_DEP_1)
	v_bfe_u32 v167, v42, 23, 1
; %bb.1589:                             ;   in Loop: Header=BB6_142 Depth=2
	s_or_b32 exec_lo, exec_lo, s11
	v_lshrrev_b32_e32 v42, 20, v42
	s_delay_alu instid0(VALU_DEP_2) | instskip(SKIP_2) | instid1(VALU_DEP_4)
	v_cmp_gt_i32_e32 vcc_lo, 16, v167
	v_lshrrev_b32_e32 v182, 24, v182
	v_min_i32_e32 v56, 15, v167
	v_cndmask_b32_e32 v42, 7, v42, vcc_lo
	s_delay_alu instid0(VALU_DEP_3) | instskip(NEXT) | instid1(VALU_DEP_2)
	v_and_b32_e32 v182, 0x80, v182
	v_or_b32_e32 v167, v167, v42
	v_and_b32_e32 v59, 7, v42
	s_delay_alu instid0(VALU_DEP_2) | instskip(SKIP_1) | instid1(VALU_DEP_1)
	v_cmp_ne_u32_e32 vcc_lo, 0, v167
	v_lshlrev_b32_e32 v56, 3, v56
	v_or3_b32 v182, v56, v182, v59
	s_delay_alu instid0(VALU_DEP_1)
	v_cndmask_b32_e32 v167, 0, v182, vcc_lo
.LBB6_1590:                             ;   in Loop: Header=BB6_142 Depth=2
	s_or_b32 exec_lo, exec_lo, s26
.LBB6_1591:                             ;   in Loop: Header=BB6_142 Depth=2
	s_delay_alu instid0(SALU_CYCLE_1) | instskip(SKIP_3) | instid1(VALU_DEP_1)
	s_or_b32 exec_lo, exec_lo, s25
	v_and_b32_e32 v42, 0xff, v166
	s_mov_b32 s11, 0
	s_mov_b32 s26, exec_lo
                                        ; implicit-def: $sgpr25
	v_cmpx_lt_i16_e32 0x7f, v42
	s_xor_b32 s26, exec_lo, s26
	s_cbranch_execnz .LBB6_2533
; %bb.1592:                             ;   in Loop: Header=BB6_142 Depth=2
	s_or_saveexec_b32 s26, s26
	v_mov_b32_e32 v182, s25
	s_xor_b32 exec_lo, exec_lo, s26
	s_cbranch_execnz .LBB6_2536
.LBB6_1593:                             ;   in Loop: Header=BB6_142 Depth=2
	s_or_b32 exec_lo, exec_lo, s26
	s_and_saveexec_b32 s25, s11
	s_cbranch_execz .LBB6_1595
.LBB6_1594:                             ;   in Loop: Header=BB6_142 Depth=2
	v_and_b32_e32 v182, 7, v166
	v_bfe_u32 v59, v166, 3, 4
	s_delay_alu instid0(VALU_DEP_2) | instskip(NEXT) | instid1(VALU_DEP_2)
	v_clz_i32_u32_e32 v42, v182
	v_cmp_eq_u32_e32 vcc_lo, 0, v59
	s_delay_alu instid0(VALU_DEP_2) | instskip(NEXT) | instid1(VALU_DEP_1)
	v_min_u32_e32 v42, 32, v42
	v_subrev_nc_u32_e32 v56, 28, v42
	v_sub_nc_u32_e32 v42, 29, v42
	s_delay_alu instid0(VALU_DEP_2) | instskip(SKIP_1) | instid1(VALU_DEP_3)
	v_lshlrev_b32_e32 v56, v56, v166
	v_lshlrev_b32_e32 v166, 24, v166
	v_cndmask_b32_e32 v42, v59, v42, vcc_lo
	s_delay_alu instid0(VALU_DEP_3) | instskip(NEXT) | instid1(VALU_DEP_3)
	v_and_b32_e32 v56, 7, v56
	v_and_b32_e32 v166, 0x80000000, v166
	s_delay_alu instid0(VALU_DEP_3) | instskip(NEXT) | instid1(VALU_DEP_3)
	v_lshl_add_u32 v42, v42, 23, 0x3b800000
	v_cndmask_b32_e32 v182, v182, v56, vcc_lo
	s_delay_alu instid0(VALU_DEP_1) | instskip(NEXT) | instid1(VALU_DEP_1)
	v_lshlrev_b32_e32 v182, 20, v182
	v_or3_b32 v182, v166, v42, v182
.LBB6_1595:                             ;   in Loop: Header=BB6_142 Depth=2
	s_or_b32 exec_lo, exec_lo, s25
	v_lshrrev_b32_e32 v166, 16, v16
	s_mov_b32 s11, 0
	s_mov_b32 s26, exec_lo
                                        ; implicit-def: $sgpr25
	s_delay_alu instid0(VALU_DEP_1) | instskip(NEXT) | instid1(VALU_DEP_1)
	v_and_b32_e32 v56, 0xff, v166
	v_cmpx_lt_i16_e32 0x7f, v56
	s_xor_b32 s26, exec_lo, s26
	s_cbranch_execnz .LBB6_2537
; %bb.1596:                             ;   in Loop: Header=BB6_142 Depth=2
	s_or_saveexec_b32 s26, s26
	v_mov_b32_e32 v42, s25
	s_xor_b32 exec_lo, exec_lo, s26
	s_cbranch_execnz .LBB6_2540
.LBB6_1597:                             ;   in Loop: Header=BB6_142 Depth=2
	s_or_b32 exec_lo, exec_lo, s26
	s_and_saveexec_b32 s25, s11
	s_cbranch_execz .LBB6_1599
.LBB6_1598:                             ;   in Loop: Header=BB6_142 Depth=2
	v_bfe_u32 v42, v16, 16, 3
	v_lshlrev_b32_e32 v74, 8, v16
	s_delay_alu instid0(VALU_DEP_2) | instskip(NEXT) | instid1(VALU_DEP_1)
	v_clz_i32_u32_e32 v56, v42
	v_min_u32_e32 v56, 32, v56
	s_delay_alu instid0(VALU_DEP_1) | instskip(SKIP_1) | instid1(VALU_DEP_2)
	v_subrev_nc_u32_e32 v59, 28, v56
	v_sub_nc_u32_e32 v56, 29, v56
	v_lshlrev_b32_e32 v166, v59, v166
	v_bfe_u32 v59, v16, 19, 4
	s_delay_alu instid0(VALU_DEP_2) | instskip(NEXT) | instid1(VALU_DEP_2)
	v_and_b32_e32 v166, 7, v166
	v_cmp_eq_u32_e32 vcc_lo, 0, v59
	v_cndmask_b32_e32 v56, v59, v56, vcc_lo
	s_delay_alu instid0(VALU_DEP_3) | instskip(SKIP_1) | instid1(VALU_DEP_3)
	v_cndmask_b32_e32 v166, v42, v166, vcc_lo
	v_and_b32_e32 v42, 0x80000000, v74
	v_lshl_add_u32 v56, v56, 23, 0x3b800000
	s_delay_alu instid0(VALU_DEP_3) | instskip(NEXT) | instid1(VALU_DEP_1)
	v_lshlrev_b32_e32 v166, 20, v166
	v_or3_b32 v42, v42, v56, v166
.LBB6_1599:                             ;   in Loop: Header=BB6_142 Depth=2
	s_or_b32 exec_lo, exec_lo, s25
	s_delay_alu instid0(VALU_DEP_1) | instskip(NEXT) | instid1(VALU_DEP_1)
	v_add_f32_e32 v182, v182, v42
	v_and_b32_e32 v166, 0x7f800000, v182
	s_delay_alu instid0(VALU_DEP_1)
	v_cmp_ne_u32_e32 vcc_lo, 0x7f800000, v166
	v_mov_b32_e32 v166, 0x80
	s_and_saveexec_b32 s25, vcc_lo
	s_cbranch_execz .LBB6_1607
; %bb.1600:                             ;   in Loop: Header=BB6_142 Depth=2
	v_mov_b32_e32 v166, 0
	s_mov_b32 s26, exec_lo
	v_cmpx_ne_u32_e32 0, v182
	s_cbranch_execz .LBB6_1606
; %bb.1601:                             ;   in Loop: Header=BB6_142 Depth=2
	v_bfe_u32 v166, v182, 23, 8
	v_and_b32_e32 v42, 0x7fffff, v182
	s_delay_alu instid0(VALU_DEP_2) | instskip(SKIP_1) | instid1(VALU_DEP_3)
	v_sub_nc_u32_e32 v56, 0x78, v166
	v_cmp_gt_u32_e32 vcc_lo, 0x79, v166
	v_or_b32_e32 v59, 0x800000, v42
	s_delay_alu instid0(VALU_DEP_3) | instskip(SKIP_2) | instid1(VALU_DEP_3)
	v_cndmask_b32_e32 v56, 0, v56, vcc_lo
	v_cmp_eq_u32_e32 vcc_lo, 0, v166
	v_add_nc_u32_e32 v166, 0xffffff89, v166
	v_cndmask_b32_e64 v56, v56, 0x77, vcc_lo
	v_cndmask_b32_e32 v42, v59, v42, vcc_lo
	s_delay_alu instid0(VALU_DEP_3) | instskip(NEXT) | instid1(VALU_DEP_3)
	v_cndmask_b32_e64 v166, v166, 0xffffff8a, vcc_lo
	v_lshl_add_u32 v59, 0x100000, v56, -1
	s_delay_alu instid0(VALU_DEP_3) | instskip(SKIP_1) | instid1(VALU_DEP_4)
	v_lshrrev_b32_e32 v74, v56, v42
	v_lshlrev_b32_e64 v88, v56, 0x80000
	v_add_nc_u32_e32 v56, v56, v166
	s_delay_alu instid0(VALU_DEP_4) | instskip(NEXT) | instid1(VALU_DEP_4)
	v_and_b32_e32 v42, v59, v42
	v_bfe_u32 v77, v74, 20, 1
	s_delay_alu instid0(VALU_DEP_2) | instskip(NEXT) | instid1(VALU_DEP_2)
	v_cmp_eq_u32_e64 s11, v42, v88
	v_add_nc_u32_e32 v59, -1, v77
	s_delay_alu instid0(VALU_DEP_1) | instskip(SKIP_2) | instid1(VALU_DEP_2)
	v_cndmask_b32_e64 v42, 0, v59, s11
	v_lshrrev_b32_e32 v59, 23, v74
	s_mov_b32 s11, exec_lo
	v_add_nc_u32_e32 v42, v42, v74
	s_delay_alu instid0(VALU_DEP_2) | instskip(NEXT) | instid1(VALU_DEP_2)
	v_xor_b32_e32 v59, 1, v59
	v_and_b32_e32 v166, 0xfffff, v42
	s_delay_alu instid0(VALU_DEP_1) | instskip(NEXT) | instid1(VALU_DEP_3)
	v_add_nc_u32_e32 v42, v166, v74
                                        ; implicit-def: $vgpr166
	v_cmpx_ne_u32_e64 v56, v59
	s_xor_b32 s11, exec_lo, s11
; %bb.1602:                             ;   in Loop: Header=BB6_142 Depth=2
	s_delay_alu instid0(VALU_DEP_2) | instskip(SKIP_2) | instid1(VALU_DEP_2)
	v_cmp_lt_u32_e32 vcc_lo, 0xffffff, v42
	v_sub_nc_u32_e32 v166, v56, v59
	v_cndmask_b32_e64 v56, 0, 1, vcc_lo
	v_add_co_ci_u32_e32 v166, vcc_lo, 0, v166, vcc_lo
	s_delay_alu instid0(VALU_DEP_2)
	v_lshrrev_b32_e32 v42, v56, v42
; %bb.1603:                             ;   in Loop: Header=BB6_142 Depth=2
	s_and_not1_saveexec_b32 s11, s11
; %bb.1604:                             ;   in Loop: Header=BB6_142 Depth=2
	s_delay_alu instid0(VALU_DEP_1)
	v_bfe_u32 v166, v42, 23, 1
; %bb.1605:                             ;   in Loop: Header=BB6_142 Depth=2
	s_or_b32 exec_lo, exec_lo, s11
	v_lshrrev_b32_e32 v42, 20, v42
	s_delay_alu instid0(VALU_DEP_2) | instskip(SKIP_2) | instid1(VALU_DEP_4)
	v_cmp_gt_i32_e32 vcc_lo, 16, v166
	v_lshrrev_b32_e32 v182, 24, v182
	v_min_i32_e32 v56, 15, v166
	v_cndmask_b32_e32 v42, 7, v42, vcc_lo
	s_delay_alu instid0(VALU_DEP_3) | instskip(NEXT) | instid1(VALU_DEP_3)
	v_and_b32_e32 v182, 0x80, v182
	v_lshlrev_b32_e32 v56, 3, v56
	s_delay_alu instid0(VALU_DEP_3) | instskip(SKIP_1) | instid1(VALU_DEP_2)
	v_and_b32_e32 v59, 7, v42
	v_or_b32_e32 v166, v166, v42
	v_or3_b32 v182, v56, v182, v59
	s_delay_alu instid0(VALU_DEP_2) | instskip(NEXT) | instid1(VALU_DEP_2)
	v_cmp_ne_u32_e32 vcc_lo, 0, v166
	v_cndmask_b32_e32 v166, 0, v182, vcc_lo
.LBB6_1606:                             ;   in Loop: Header=BB6_142 Depth=2
	s_or_b32 exec_lo, exec_lo, s26
.LBB6_1607:                             ;   in Loop: Header=BB6_142 Depth=2
	s_delay_alu instid0(SALU_CYCLE_1) | instskip(SKIP_3) | instid1(VALU_DEP_1)
	s_or_b32 exec_lo, exec_lo, s25
	v_and_b32_e32 v42, 0xff, v163
	s_mov_b32 s11, 0
	s_mov_b32 s26, exec_lo
                                        ; implicit-def: $sgpr25
	v_cmpx_lt_i16_e32 0x7f, v42
	s_xor_b32 s26, exec_lo, s26
	s_cbranch_execnz .LBB6_2541
; %bb.1608:                             ;   in Loop: Header=BB6_142 Depth=2
	s_or_saveexec_b32 s26, s26
	v_mov_b32_e32 v182, s25
	s_xor_b32 exec_lo, exec_lo, s26
	s_cbranch_execnz .LBB6_2544
.LBB6_1609:                             ;   in Loop: Header=BB6_142 Depth=2
	s_or_b32 exec_lo, exec_lo, s26
	s_and_saveexec_b32 s25, s11
	s_cbranch_execz .LBB6_1611
.LBB6_1610:                             ;   in Loop: Header=BB6_142 Depth=2
	v_lshlrev_b32_e32 v163, 8, v163
	s_delay_alu instid0(VALU_DEP_1) | instskip(SKIP_1) | instid1(VALU_DEP_2)
	v_and_b32_e32 v182, 0xff00, v163
	v_bfe_u32 v163, v163, 11, 4
	v_bfe_u32 v56, v182, 8, 3
	s_delay_alu instid0(VALU_DEP_2) | instskip(SKIP_1) | instid1(VALU_DEP_3)
	v_cmp_eq_u32_e32 vcc_lo, 0, v163
	v_lshlrev_b32_e32 v182, 16, v182
	v_clz_i32_u32_e32 v59, v56
	s_delay_alu instid0(VALU_DEP_2) | instskip(NEXT) | instid1(VALU_DEP_2)
	v_and_b32_e32 v182, 0x80000000, v182
	v_min_u32_e32 v59, 32, v59
	s_delay_alu instid0(VALU_DEP_1) | instskip(SKIP_1) | instid1(VALU_DEP_1)
	v_subrev_nc_u32_e32 v74, 28, v59
	v_sub_nc_u32_e32 v59, 29, v59
	v_dual_cndmask_b32 v163, v163, v59 :: v_dual_lshlrev_b32 v42, v74, v42
	s_delay_alu instid0(VALU_DEP_1) | instskip(NEXT) | instid1(VALU_DEP_2)
	v_and_b32_e32 v42, 7, v42
	v_lshl_add_u32 v163, v163, 23, 0x3b800000
	s_delay_alu instid0(VALU_DEP_2) | instskip(NEXT) | instid1(VALU_DEP_1)
	v_cndmask_b32_e32 v42, v56, v42, vcc_lo
	v_lshlrev_b32_e32 v42, 20, v42
	s_delay_alu instid0(VALU_DEP_1)
	v_or3_b32 v182, v182, v163, v42
.LBB6_1611:                             ;   in Loop: Header=BB6_142 Depth=2
	s_or_b32 exec_lo, exec_lo, s25
	v_lshrrev_b32_e32 v163, 24, v16
	s_mov_b32 s11, 0
	s_mov_b32 s26, exec_lo
                                        ; implicit-def: $sgpr25
	s_delay_alu instid0(VALU_DEP_1)
	v_cmpx_lt_i16_e64 0x7f, v163
	s_xor_b32 s26, exec_lo, s26
	s_cbranch_execnz .LBB6_2545
; %bb.1612:                             ;   in Loop: Header=BB6_142 Depth=2
	s_or_saveexec_b32 s26, s26
	v_mov_b32_e32 v42, s25
	s_xor_b32 exec_lo, exec_lo, s26
	s_cbranch_execnz .LBB6_2548
.LBB6_1613:                             ;   in Loop: Header=BB6_142 Depth=2
	s_or_b32 exec_lo, exec_lo, s26
	s_and_saveexec_b32 s25, s11
	s_cbranch_execz .LBB6_1615
.LBB6_1614:                             ;   in Loop: Header=BB6_142 Depth=2
	v_bfe_u32 v42, v16, 24, 3
	s_delay_alu instid0(VALU_DEP_1) | instskip(NEXT) | instid1(VALU_DEP_1)
	v_clz_i32_u32_e32 v56, v42
	v_min_u32_e32 v56, 32, v56
	s_delay_alu instid0(VALU_DEP_1) | instskip(SKIP_1) | instid1(VALU_DEP_2)
	v_subrev_nc_u32_e32 v59, 28, v56
	v_sub_nc_u32_e32 v56, 29, v56
	v_lshlrev_b32_e32 v163, v59, v163
	v_bfe_u32 v59, v16, 27, 4
	v_and_b32_e32 v16, 0x80000000, v16
	s_delay_alu instid0(VALU_DEP_2) | instskip(NEXT) | instid1(VALU_DEP_4)
	v_cmp_eq_u32_e32 vcc_lo, 0, v59
	v_dual_cndmask_b32 v56, v59, v56 :: v_dual_and_b32 v163, 7, v163
	s_delay_alu instid0(VALU_DEP_1) | instskip(NEXT) | instid1(VALU_DEP_2)
	v_cndmask_b32_e32 v163, v42, v163, vcc_lo
	v_lshl_add_u32 v42, v56, 23, 0x3b800000
	s_delay_alu instid0(VALU_DEP_2) | instskip(NEXT) | instid1(VALU_DEP_1)
	v_lshlrev_b32_e32 v163, 20, v163
	v_or3_b32 v42, v16, v42, v163
.LBB6_1615:                             ;   in Loop: Header=BB6_142 Depth=2
	s_or_b32 exec_lo, exec_lo, s25
	s_delay_alu instid0(VALU_DEP_1) | instskip(NEXT) | instid1(VALU_DEP_1)
	v_add_f32_e32 v163, v182, v42
	v_and_b32_e32 v16, 0x7f800000, v163
	s_delay_alu instid0(VALU_DEP_1)
	v_cmp_ne_u32_e32 vcc_lo, 0x7f800000, v16
	v_mov_b32_e32 v16, 0x80
	s_and_saveexec_b32 s25, vcc_lo
	s_cbranch_execz .LBB6_1623
; %bb.1616:                             ;   in Loop: Header=BB6_142 Depth=2
	v_mov_b32_e32 v16, 0
	s_mov_b32 s26, exec_lo
	v_cmpx_ne_u32_e32 0, v163
	s_cbranch_execz .LBB6_1622
; %bb.1617:                             ;   in Loop: Header=BB6_142 Depth=2
	v_bfe_u32 v16, v163, 23, 8
	v_and_b32_e32 v182, 0x7fffff, v163
	s_delay_alu instid0(VALU_DEP_2) | instskip(SKIP_1) | instid1(VALU_DEP_3)
	v_sub_nc_u32_e32 v42, 0x78, v16
	v_cmp_gt_u32_e32 vcc_lo, 0x79, v16
	v_or_b32_e32 v56, 0x800000, v182
	s_delay_alu instid0(VALU_DEP_3) | instskip(SKIP_2) | instid1(VALU_DEP_3)
	v_cndmask_b32_e32 v42, 0, v42, vcc_lo
	v_cmp_eq_u32_e32 vcc_lo, 0, v16
	v_add_nc_u32_e32 v16, 0xffffff89, v16
	v_cndmask_b32_e64 v42, v42, 0x77, vcc_lo
	v_cndmask_b32_e32 v182, v56, v182, vcc_lo
	s_delay_alu instid0(VALU_DEP_3) | instskip(NEXT) | instid1(VALU_DEP_3)
	v_cndmask_b32_e64 v16, v16, 0xffffff8a, vcc_lo
	v_lshl_add_u32 v56, 0x100000, v42, -1
	s_delay_alu instid0(VALU_DEP_3) | instskip(SKIP_1) | instid1(VALU_DEP_4)
	v_lshrrev_b32_e32 v59, v42, v182
	v_lshlrev_b32_e64 v77, v42, 0x80000
	v_add_nc_u32_e32 v42, v42, v16
	s_delay_alu instid0(VALU_DEP_4) | instskip(NEXT) | instid1(VALU_DEP_4)
	v_and_b32_e32 v182, v56, v182
	v_bfe_u32 v74, v59, 20, 1
	s_delay_alu instid0(VALU_DEP_2) | instskip(NEXT) | instid1(VALU_DEP_2)
	v_cmp_eq_u32_e64 s11, v182, v77
	v_add_nc_u32_e32 v56, -1, v74
	s_delay_alu instid0(VALU_DEP_1) | instskip(SKIP_2) | instid1(VALU_DEP_2)
	v_cndmask_b32_e64 v182, 0, v56, s11
	v_lshrrev_b32_e32 v56, 23, v59
	s_mov_b32 s11, exec_lo
	v_add_nc_u32_e32 v182, v182, v59
	s_delay_alu instid0(VALU_DEP_2) | instskip(NEXT) | instid1(VALU_DEP_2)
	v_xor_b32_e32 v56, 1, v56
	v_and_b32_e32 v16, 0xfffff, v182
	s_delay_alu instid0(VALU_DEP_1) | instskip(NEXT) | instid1(VALU_DEP_3)
	v_add_nc_u32_e32 v182, v16, v59
                                        ; implicit-def: $vgpr16
	v_cmpx_ne_u32_e64 v42, v56
	s_xor_b32 s11, exec_lo, s11
; %bb.1618:                             ;   in Loop: Header=BB6_142 Depth=2
	s_delay_alu instid0(VALU_DEP_2) | instskip(SKIP_2) | instid1(VALU_DEP_2)
	v_cmp_lt_u32_e32 vcc_lo, 0xffffff, v182
	v_sub_nc_u32_e32 v16, v42, v56
	v_cndmask_b32_e64 v42, 0, 1, vcc_lo
	v_add_co_ci_u32_e32 v16, vcc_lo, 0, v16, vcc_lo
	s_delay_alu instid0(VALU_DEP_2)
	v_lshrrev_b32_e32 v182, v42, v182
; %bb.1619:                             ;   in Loop: Header=BB6_142 Depth=2
	s_and_not1_saveexec_b32 s11, s11
; %bb.1620:                             ;   in Loop: Header=BB6_142 Depth=2
	s_delay_alu instid0(VALU_DEP_1)
	v_bfe_u32 v16, v182, 23, 1
; %bb.1621:                             ;   in Loop: Header=BB6_142 Depth=2
	s_or_b32 exec_lo, exec_lo, s11
	v_lshrrev_b32_e32 v182, 20, v182
	s_delay_alu instid0(VALU_DEP_2) | instskip(SKIP_2) | instid1(VALU_DEP_2)
	v_cmp_gt_i32_e32 vcc_lo, 16, v16
	v_lshrrev_b32_e32 v163, 24, v163
	v_min_i32_e32 v42, 15, v16
	v_dual_cndmask_b32 v182, 7, v182 :: v_dual_and_b32 v163, 0x80, v163
	s_delay_alu instid0(VALU_DEP_2) | instskip(NEXT) | instid1(VALU_DEP_2)
	v_lshlrev_b32_e32 v42, 3, v42
	v_and_b32_e32 v56, 7, v182
	v_or_b32_e32 v16, v16, v182
	s_delay_alu instid0(VALU_DEP_2) | instskip(NEXT) | instid1(VALU_DEP_2)
	v_or3_b32 v163, v42, v163, v56
	v_cmp_ne_u32_e32 vcc_lo, 0, v16
	s_delay_alu instid0(VALU_DEP_2)
	v_cndmask_b32_e32 v16, 0, v163, vcc_lo
.LBB6_1622:                             ;   in Loop: Header=BB6_142 Depth=2
	s_or_b32 exec_lo, exec_lo, s26
.LBB6_1623:                             ;   in Loop: Header=BB6_142 Depth=2
	s_delay_alu instid0(SALU_CYCLE_1) | instskip(SKIP_3) | instid1(VALU_DEP_1)
	s_or_b32 exec_lo, exec_lo, s25
	v_or_b32_e32 v176, v176, v162
	s_mov_b32 s11, 0
	s_mov_b32 s26, exec_lo
                                        ; implicit-def: $sgpr25
	v_and_b32_e32 v163, 0xff, v176
	s_delay_alu instid0(VALU_DEP_1)
	v_cmpx_lt_i16_e64 0x7f, v163
	s_xor_b32 s26, exec_lo, s26
	s_cbranch_execnz .LBB6_2549
; %bb.1624:                             ;   in Loop: Header=BB6_142 Depth=2
	s_or_saveexec_b32 s26, s26
	v_mov_b32_e32 v162, s25
	s_xor_b32 exec_lo, exec_lo, s26
	s_cbranch_execnz .LBB6_2552
.LBB6_1625:                             ;   in Loop: Header=BB6_142 Depth=2
	s_or_b32 exec_lo, exec_lo, s26
	s_and_saveexec_b32 s25, s11
	s_cbranch_execz .LBB6_1627
.LBB6_1626:                             ;   in Loop: Header=BB6_142 Depth=2
	v_bfe_u32 v42, v176, 3, 4
	v_lshlrev_b32_e32 v56, 24, v176
	s_delay_alu instid0(VALU_DEP_2) | instskip(SKIP_1) | instid1(VALU_DEP_1)
	v_cmp_eq_u32_e32 vcc_lo, 0, v42
	v_and_b32_e32 v162, 7, v176
	v_clz_i32_u32_e32 v163, v162
	s_delay_alu instid0(VALU_DEP_1) | instskip(NEXT) | instid1(VALU_DEP_1)
	v_min_u32_e32 v163, 32, v163
	v_subrev_nc_u32_e32 v182, 28, v163
	v_sub_nc_u32_e32 v163, 29, v163
	s_delay_alu instid0(VALU_DEP_2) | instskip(NEXT) | instid1(VALU_DEP_1)
	v_lshlrev_b32_e32 v182, v182, v176
	v_dual_cndmask_b32 v163, v42, v163 :: v_dual_and_b32 v182, 7, v182
	s_delay_alu instid0(VALU_DEP_1) | instskip(NEXT) | instid1(VALU_DEP_2)
	v_lshl_add_u32 v163, v163, 23, 0x3b800000
	v_cndmask_b32_e32 v162, v162, v182, vcc_lo
	v_and_b32_e32 v182, 0x80000000, v56
	s_delay_alu instid0(VALU_DEP_2) | instskip(NEXT) | instid1(VALU_DEP_1)
	v_lshlrev_b32_e32 v162, 20, v162
	v_or3_b32 v162, v182, v163, v162
.LBB6_1627:                             ;   in Loop: Header=BB6_142 Depth=2
	s_or_b32 exec_lo, exec_lo, s25
	v_and_b32_e32 v182, 0xff, v17
	s_mov_b32 s11, 0
	s_mov_b32 s26, exec_lo
                                        ; implicit-def: $sgpr25
	s_delay_alu instid0(VALU_DEP_1)
	v_cmpx_lt_i16_e64 0x7f, v182
	s_xor_b32 s26, exec_lo, s26
	s_cbranch_execnz .LBB6_2553
; %bb.1628:                             ;   in Loop: Header=BB6_142 Depth=2
	s_or_saveexec_b32 s26, s26
	v_mov_b32_e32 v163, s25
	s_xor_b32 exec_lo, exec_lo, s26
	s_cbranch_execnz .LBB6_2556
.LBB6_1629:                             ;   in Loop: Header=BB6_142 Depth=2
	s_or_b32 exec_lo, exec_lo, s26
	s_and_saveexec_b32 s25, s11
	s_cbranch_execz .LBB6_1631
.LBB6_1630:                             ;   in Loop: Header=BB6_142 Depth=2
	v_bfe_u32 v56, v17, 3, 4
	v_lshlrev_b32_e32 v59, 24, v17
	s_delay_alu instid0(VALU_DEP_2) | instskip(SKIP_1) | instid1(VALU_DEP_1)
	v_cmp_eq_u32_e32 vcc_lo, 0, v56
	v_and_b32_e32 v163, 7, v17
	v_clz_i32_u32_e32 v182, v163
	s_delay_alu instid0(VALU_DEP_1) | instskip(NEXT) | instid1(VALU_DEP_1)
	v_min_u32_e32 v182, 32, v182
	v_subrev_nc_u32_e32 v42, 28, v182
	v_sub_nc_u32_e32 v182, 29, v182
	s_delay_alu instid0(VALU_DEP_2) | instskip(NEXT) | instid1(VALU_DEP_2)
	v_lshlrev_b32_e32 v42, v42, v17
	v_cndmask_b32_e32 v182, v56, v182, vcc_lo
	s_delay_alu instid0(VALU_DEP_2) | instskip(NEXT) | instid1(VALU_DEP_2)
	v_and_b32_e32 v42, 7, v42
	v_lshl_add_u32 v182, v182, 23, 0x3b800000
	s_delay_alu instid0(VALU_DEP_2) | instskip(NEXT) | instid1(VALU_DEP_1)
	v_dual_cndmask_b32 v163, v163, v42 :: v_dual_and_b32 v42, 0x80000000, v59
	v_lshlrev_b32_e32 v163, 20, v163
	s_delay_alu instid0(VALU_DEP_1)
	v_or3_b32 v163, v42, v182, v163
.LBB6_1631:                             ;   in Loop: Header=BB6_142 Depth=2
	s_or_b32 exec_lo, exec_lo, s25
	s_delay_alu instid0(VALU_DEP_1) | instskip(NEXT) | instid1(VALU_DEP_1)
	v_add_f32_e32 v163, v162, v163
	v_and_b32_e32 v162, 0x7f800000, v163
	s_delay_alu instid0(VALU_DEP_1)
	v_cmp_ne_u32_e32 vcc_lo, 0x7f800000, v162
	v_mov_b32_e32 v162, 0x80
	s_and_saveexec_b32 s25, vcc_lo
	s_cbranch_execz .LBB6_1639
; %bb.1632:                             ;   in Loop: Header=BB6_142 Depth=2
	v_mov_b32_e32 v162, 0
	s_mov_b32 s26, exec_lo
	v_cmpx_ne_u32_e32 0, v163
	s_cbranch_execz .LBB6_1638
; %bb.1633:                             ;   in Loop: Header=BB6_142 Depth=2
	v_bfe_u32 v162, v163, 23, 8
	v_and_b32_e32 v182, 0x7fffff, v163
	s_delay_alu instid0(VALU_DEP_2) | instskip(SKIP_1) | instid1(VALU_DEP_3)
	v_sub_nc_u32_e32 v42, 0x78, v162
	v_cmp_gt_u32_e32 vcc_lo, 0x79, v162
	v_or_b32_e32 v56, 0x800000, v182
	s_delay_alu instid0(VALU_DEP_3) | instskip(SKIP_2) | instid1(VALU_DEP_3)
	v_cndmask_b32_e32 v42, 0, v42, vcc_lo
	v_cmp_eq_u32_e32 vcc_lo, 0, v162
	v_add_nc_u32_e32 v162, 0xffffff89, v162
	v_cndmask_b32_e64 v42, v42, 0x77, vcc_lo
	v_cndmask_b32_e32 v182, v56, v182, vcc_lo
	s_delay_alu instid0(VALU_DEP_3) | instskip(NEXT) | instid1(VALU_DEP_3)
	v_cndmask_b32_e64 v162, v162, 0xffffff8a, vcc_lo
	v_lshl_add_u32 v56, 0x100000, v42, -1
	s_delay_alu instid0(VALU_DEP_3) | instskip(SKIP_1) | instid1(VALU_DEP_4)
	v_lshrrev_b32_e32 v59, v42, v182
	v_lshlrev_b32_e64 v77, v42, 0x80000
	v_add_nc_u32_e32 v42, v42, v162
	s_delay_alu instid0(VALU_DEP_4) | instskip(NEXT) | instid1(VALU_DEP_4)
	v_and_b32_e32 v182, v56, v182
	v_bfe_u32 v74, v59, 20, 1
	s_delay_alu instid0(VALU_DEP_2) | instskip(NEXT) | instid1(VALU_DEP_2)
	v_cmp_eq_u32_e64 s11, v182, v77
	v_add_nc_u32_e32 v56, -1, v74
	s_delay_alu instid0(VALU_DEP_1) | instskip(SKIP_2) | instid1(VALU_DEP_2)
	v_cndmask_b32_e64 v182, 0, v56, s11
	v_lshrrev_b32_e32 v56, 23, v59
	s_mov_b32 s11, exec_lo
	v_add_nc_u32_e32 v182, v182, v59
	s_delay_alu instid0(VALU_DEP_2) | instskip(NEXT) | instid1(VALU_DEP_2)
	v_xor_b32_e32 v56, 1, v56
	v_and_b32_e32 v162, 0xfffff, v182
	s_delay_alu instid0(VALU_DEP_1) | instskip(NEXT) | instid1(VALU_DEP_3)
	v_add_nc_u32_e32 v182, v162, v59
                                        ; implicit-def: $vgpr162
	v_cmpx_ne_u32_e64 v42, v56
	s_xor_b32 s11, exec_lo, s11
; %bb.1634:                             ;   in Loop: Header=BB6_142 Depth=2
	s_delay_alu instid0(VALU_DEP_2) | instskip(SKIP_2) | instid1(VALU_DEP_2)
	v_cmp_lt_u32_e32 vcc_lo, 0xffffff, v182
	v_sub_nc_u32_e32 v162, v42, v56
	v_cndmask_b32_e64 v42, 0, 1, vcc_lo
	v_add_co_ci_u32_e32 v162, vcc_lo, 0, v162, vcc_lo
	s_delay_alu instid0(VALU_DEP_2)
	v_lshrrev_b32_e32 v182, v42, v182
; %bb.1635:                             ;   in Loop: Header=BB6_142 Depth=2
	s_and_not1_saveexec_b32 s11, s11
; %bb.1636:                             ;   in Loop: Header=BB6_142 Depth=2
	s_delay_alu instid0(VALU_DEP_1)
	v_bfe_u32 v162, v182, 23, 1
; %bb.1637:                             ;   in Loop: Header=BB6_142 Depth=2
	s_or_b32 exec_lo, exec_lo, s11
	v_lshrrev_b32_e32 v182, 20, v182
	s_delay_alu instid0(VALU_DEP_2) | instskip(SKIP_2) | instid1(VALU_DEP_2)
	v_cmp_gt_i32_e32 vcc_lo, 16, v162
	v_lshrrev_b32_e32 v163, 24, v163
	v_min_i32_e32 v42, 15, v162
	v_dual_cndmask_b32 v182, 7, v182 :: v_dual_and_b32 v163, 0x80, v163
	s_delay_alu instid0(VALU_DEP_2) | instskip(NEXT) | instid1(VALU_DEP_2)
	v_lshlrev_b32_e32 v42, 3, v42
	v_and_b32_e32 v56, 7, v182
	v_or_b32_e32 v162, v162, v182
	s_delay_alu instid0(VALU_DEP_2) | instskip(NEXT) | instid1(VALU_DEP_2)
	v_or3_b32 v163, v42, v163, v56
	v_cmp_ne_u32_e32 vcc_lo, 0, v162
	s_delay_alu instid0(VALU_DEP_2)
	v_cndmask_b32_e32 v162, 0, v163, vcc_lo
.LBB6_1638:                             ;   in Loop: Header=BB6_142 Depth=2
	s_or_b32 exec_lo, exec_lo, s26
.LBB6_1639:                             ;   in Loop: Header=BB6_142 Depth=2
	s_delay_alu instid0(SALU_CYCLE_1) | instskip(SKIP_3) | instid1(VALU_DEP_1)
	s_or_b32 exec_lo, exec_lo, s25
	v_lshrrev_b16 v182, 8, v176
	s_mov_b32 s11, 0
	s_mov_b32 s26, exec_lo
                                        ; implicit-def: $sgpr25
	v_cmpx_lt_i16_e64 0x7f, v182
	s_xor_b32 s26, exec_lo, s26
	s_cbranch_execnz .LBB6_2557
; %bb.1640:                             ;   in Loop: Header=BB6_142 Depth=2
	s_or_saveexec_b32 s26, s26
	v_mov_b32_e32 v163, s25
	s_xor_b32 exec_lo, exec_lo, s26
	s_cbranch_execnz .LBB6_2560
.LBB6_1641:                             ;   in Loop: Header=BB6_142 Depth=2
	s_or_b32 exec_lo, exec_lo, s26
	s_and_saveexec_b32 s25, s11
	s_cbranch_execz .LBB6_1643
.LBB6_1642:                             ;   in Loop: Header=BB6_142 Depth=2
	v_and_b32_e32 v163, 0xffff, v182
	v_lshlrev_b32_e32 v182, 24, v182
	s_delay_alu instid0(VALU_DEP_2) | instskip(NEXT) | instid1(VALU_DEP_2)
	v_and_b32_e32 v42, 7, v163
	v_and_b32_e32 v182, 0x80000000, v182
	s_delay_alu instid0(VALU_DEP_2) | instskip(NEXT) | instid1(VALU_DEP_1)
	v_clz_i32_u32_e32 v56, v42
	v_min_u32_e32 v56, 32, v56
	s_delay_alu instid0(VALU_DEP_1) | instskip(SKIP_1) | instid1(VALU_DEP_2)
	v_subrev_nc_u32_e32 v59, 28, v56
	v_sub_nc_u32_e32 v56, 29, v56
	v_lshlrev_b32_e32 v59, v59, v163
	v_bfe_u32 v163, v163, 3, 4
	s_delay_alu instid0(VALU_DEP_2) | instskip(NEXT) | instid1(VALU_DEP_2)
	v_and_b32_e32 v59, 7, v59
	v_cmp_eq_u32_e32 vcc_lo, 0, v163
	s_delay_alu instid0(VALU_DEP_2) | instskip(NEXT) | instid1(VALU_DEP_1)
	v_dual_cndmask_b32 v163, v163, v56 :: v_dual_cndmask_b32 v42, v42, v59
	v_lshl_add_u32 v163, v163, 23, 0x3b800000
	s_delay_alu instid0(VALU_DEP_2) | instskip(NEXT) | instid1(VALU_DEP_1)
	v_lshlrev_b32_e32 v42, 20, v42
	v_or3_b32 v163, v182, v163, v42
.LBB6_1643:                             ;   in Loop: Header=BB6_142 Depth=2
	s_or_b32 exec_lo, exec_lo, s25
	v_lshrrev_b16 v182, 8, v17
	s_mov_b32 s11, 0
	s_mov_b32 s26, exec_lo
                                        ; implicit-def: $sgpr25
	s_delay_alu instid0(VALU_DEP_1)
	v_cmpx_lt_i16_e64 0x7f, v182
	s_xor_b32 s26, exec_lo, s26
	s_cbranch_execnz .LBB6_2561
; %bb.1644:                             ;   in Loop: Header=BB6_142 Depth=2
	s_or_saveexec_b32 s26, s26
	v_mov_b32_e32 v42, s25
	s_xor_b32 exec_lo, exec_lo, s26
	s_cbranch_execnz .LBB6_2564
.LBB6_1645:                             ;   in Loop: Header=BB6_142 Depth=2
	s_or_b32 exec_lo, exec_lo, s26
	s_and_saveexec_b32 s25, s11
	s_cbranch_execz .LBB6_1647
.LBB6_1646:                             ;   in Loop: Header=BB6_142 Depth=2
	v_and_b32_e32 v42, 0xffff, v182
	v_lshlrev_b32_e32 v182, 24, v182
	s_delay_alu instid0(VALU_DEP_2) | instskip(NEXT) | instid1(VALU_DEP_2)
	v_and_b32_e32 v56, 7, v42
	v_and_b32_e32 v182, 0x80000000, v182
	s_delay_alu instid0(VALU_DEP_2) | instskip(NEXT) | instid1(VALU_DEP_1)
	v_clz_i32_u32_e32 v59, v56
	v_min_u32_e32 v59, 32, v59
	s_delay_alu instid0(VALU_DEP_1) | instskip(SKIP_1) | instid1(VALU_DEP_2)
	v_subrev_nc_u32_e32 v74, 28, v59
	v_sub_nc_u32_e32 v59, 29, v59
	v_lshlrev_b32_e32 v74, v74, v42
	v_bfe_u32 v42, v42, 3, 4
	s_delay_alu instid0(VALU_DEP_2) | instskip(NEXT) | instid1(VALU_DEP_2)
	v_and_b32_e32 v74, 7, v74
	v_cmp_eq_u32_e32 vcc_lo, 0, v42
	v_cndmask_b32_e32 v42, v42, v59, vcc_lo
	s_delay_alu instid0(VALU_DEP_3) | instskip(NEXT) | instid1(VALU_DEP_2)
	v_cndmask_b32_e32 v56, v56, v74, vcc_lo
	v_lshl_add_u32 v42, v42, 23, 0x3b800000
	s_delay_alu instid0(VALU_DEP_2) | instskip(NEXT) | instid1(VALU_DEP_1)
	v_lshlrev_b32_e32 v56, 20, v56
	v_or3_b32 v42, v182, v42, v56
.LBB6_1647:                             ;   in Loop: Header=BB6_142 Depth=2
	s_or_b32 exec_lo, exec_lo, s25
	s_delay_alu instid0(VALU_DEP_1) | instskip(NEXT) | instid1(VALU_DEP_1)
	v_add_f32_e32 v182, v163, v42
	v_and_b32_e32 v163, 0x7f800000, v182
	s_delay_alu instid0(VALU_DEP_1)
	v_cmp_ne_u32_e32 vcc_lo, 0x7f800000, v163
	v_mov_b32_e32 v163, 0x8000
	s_and_saveexec_b32 s25, vcc_lo
	s_cbranch_execz .LBB6_1655
; %bb.1648:                             ;   in Loop: Header=BB6_142 Depth=2
	v_mov_b32_e32 v163, 0
	s_mov_b32 s26, exec_lo
	v_cmpx_ne_u32_e32 0, v182
	s_cbranch_execz .LBB6_1654
; %bb.1649:                             ;   in Loop: Header=BB6_142 Depth=2
	v_bfe_u32 v163, v182, 23, 8
	v_and_b32_e32 v42, 0x7fffff, v182
	s_delay_alu instid0(VALU_DEP_2) | instskip(SKIP_1) | instid1(VALU_DEP_3)
	v_sub_nc_u32_e32 v56, 0x78, v163
	v_cmp_gt_u32_e32 vcc_lo, 0x79, v163
	v_or_b32_e32 v59, 0x800000, v42
	s_delay_alu instid0(VALU_DEP_3) | instskip(SKIP_2) | instid1(VALU_DEP_3)
	v_cndmask_b32_e32 v56, 0, v56, vcc_lo
	v_cmp_eq_u32_e32 vcc_lo, 0, v163
	v_add_nc_u32_e32 v163, 0xffffff89, v163
	v_cndmask_b32_e64 v56, v56, 0x77, vcc_lo
	v_cndmask_b32_e32 v42, v59, v42, vcc_lo
	s_delay_alu instid0(VALU_DEP_3) | instskip(NEXT) | instid1(VALU_DEP_3)
	v_cndmask_b32_e64 v163, v163, 0xffffff8a, vcc_lo
	v_lshl_add_u32 v59, 0x100000, v56, -1
	s_delay_alu instid0(VALU_DEP_3) | instskip(SKIP_1) | instid1(VALU_DEP_4)
	v_lshrrev_b32_e32 v74, v56, v42
	v_lshlrev_b32_e64 v88, v56, 0x80000
	v_add_nc_u32_e32 v56, v56, v163
	s_delay_alu instid0(VALU_DEP_4) | instskip(NEXT) | instid1(VALU_DEP_4)
	v_and_b32_e32 v42, v59, v42
	v_bfe_u32 v77, v74, 20, 1
	s_delay_alu instid0(VALU_DEP_2) | instskip(NEXT) | instid1(VALU_DEP_2)
	v_cmp_eq_u32_e64 s11, v42, v88
	v_add_nc_u32_e32 v59, -1, v77
	s_delay_alu instid0(VALU_DEP_1) | instskip(SKIP_2) | instid1(VALU_DEP_2)
	v_cndmask_b32_e64 v42, 0, v59, s11
	v_lshrrev_b32_e32 v59, 23, v74
	s_mov_b32 s11, exec_lo
	v_add_nc_u32_e32 v42, v42, v74
	s_delay_alu instid0(VALU_DEP_2) | instskip(NEXT) | instid1(VALU_DEP_2)
	v_xor_b32_e32 v59, 1, v59
	v_and_b32_e32 v163, 0xfffff, v42
	s_delay_alu instid0(VALU_DEP_1) | instskip(NEXT) | instid1(VALU_DEP_3)
	v_add_nc_u32_e32 v42, v163, v74
                                        ; implicit-def: $vgpr163
	v_cmpx_ne_u32_e64 v56, v59
	s_xor_b32 s11, exec_lo, s11
; %bb.1650:                             ;   in Loop: Header=BB6_142 Depth=2
	s_delay_alu instid0(VALU_DEP_2) | instskip(SKIP_2) | instid1(VALU_DEP_2)
	v_cmp_lt_u32_e32 vcc_lo, 0xffffff, v42
	v_sub_nc_u32_e32 v163, v56, v59
	v_cndmask_b32_e64 v56, 0, 1, vcc_lo
	v_add_co_ci_u32_e32 v163, vcc_lo, 0, v163, vcc_lo
	s_delay_alu instid0(VALU_DEP_2)
	v_lshrrev_b32_e32 v42, v56, v42
; %bb.1651:                             ;   in Loop: Header=BB6_142 Depth=2
	s_and_not1_saveexec_b32 s11, s11
; %bb.1652:                             ;   in Loop: Header=BB6_142 Depth=2
	s_delay_alu instid0(VALU_DEP_1)
	v_bfe_u32 v163, v42, 23, 1
; %bb.1653:                             ;   in Loop: Header=BB6_142 Depth=2
	s_or_b32 exec_lo, exec_lo, s11
	v_lshrrev_b32_e32 v42, 20, v42
	s_delay_alu instid0(VALU_DEP_2) | instskip(SKIP_2) | instid1(VALU_DEP_4)
	v_cmp_gt_i32_e32 vcc_lo, 16, v163
	v_min_i32_e32 v56, 15, v163
	v_lshrrev_b32_e32 v182, 24, v182
	v_cndmask_b32_e32 v42, 7, v42, vcc_lo
	s_delay_alu instid0(VALU_DEP_2) | instskip(NEXT) | instid1(VALU_DEP_2)
	v_and_b32_e32 v182, 0x80, v182
	v_or_b32_e32 v163, v163, v42
	v_and_b32_e32 v59, 7, v42
	s_delay_alu instid0(VALU_DEP_2) | instskip(SKIP_1) | instid1(VALU_DEP_1)
	v_cmp_ne_u32_e32 vcc_lo, 0, v163
	v_lshlrev_b32_e32 v56, 3, v56
	v_and_b32_e32 v56, 0xf8, v56
	s_delay_alu instid0(VALU_DEP_1) | instskip(NEXT) | instid1(VALU_DEP_1)
	v_or3_b32 v182, v182, v56, v59
	v_lshlrev_b32_e32 v182, 8, v182
	s_delay_alu instid0(VALU_DEP_1)
	v_cndmask_b32_e32 v163, 0, v182, vcc_lo
.LBB6_1654:                             ;   in Loop: Header=BB6_142 Depth=2
	s_or_b32 exec_lo, exec_lo, s26
.LBB6_1655:                             ;   in Loop: Header=BB6_142 Depth=2
	s_delay_alu instid0(SALU_CYCLE_1) | instskip(SKIP_3) | instid1(VALU_DEP_1)
	s_or_b32 exec_lo, exec_lo, s25
	v_or_b32_e32 v164, v164, v161
	s_mov_b32 s11, 0
	s_mov_b32 s26, exec_lo
                                        ; implicit-def: $sgpr25
	v_and_b32_e32 v182, 0xff, v164
	s_delay_alu instid0(VALU_DEP_1)
	v_cmpx_lt_i16_e64 0x7f, v182
	s_xor_b32 s26, exec_lo, s26
	s_cbranch_execnz .LBB6_2565
; %bb.1656:                             ;   in Loop: Header=BB6_142 Depth=2
	s_or_saveexec_b32 s26, s26
	v_mov_b32_e32 v161, s25
	s_xor_b32 exec_lo, exec_lo, s26
	s_cbranch_execnz .LBB6_2568
.LBB6_1657:                             ;   in Loop: Header=BB6_142 Depth=2
	s_or_b32 exec_lo, exec_lo, s26
	v_lshl_or_b32 v164, v164, 16, v176
	s_and_saveexec_b32 s25, s11
	s_cbranch_execz .LBB6_1659
.LBB6_1658:                             ;   in Loop: Header=BB6_142 Depth=2
	s_delay_alu instid0(VALU_DEP_1) | instskip(SKIP_1) | instid1(VALU_DEP_2)
	v_bfe_u32 v161, v164, 16, 3
	v_lshrrev_b32_e32 v182, 16, v164
	v_clz_i32_u32_e32 v176, v161
	s_delay_alu instid0(VALU_DEP_1) | instskip(NEXT) | instid1(VALU_DEP_1)
	v_min_u32_e32 v176, 32, v176
	v_subrev_nc_u32_e32 v42, 28, v176
	v_sub_nc_u32_e32 v176, 29, v176
	s_delay_alu instid0(VALU_DEP_2) | instskip(SKIP_1) | instid1(VALU_DEP_2)
	v_lshlrev_b32_e32 v182, v42, v182
	v_bfe_u32 v42, v164, 19, 4
	v_and_b32_e32 v182, 7, v182
	s_delay_alu instid0(VALU_DEP_2) | instskip(NEXT) | instid1(VALU_DEP_2)
	v_cmp_eq_u32_e32 vcc_lo, 0, v42
	v_dual_cndmask_b32 v161, v161, v182 :: v_dual_lshlrev_b32 v56, 8, v164
	v_cndmask_b32_e32 v176, v42, v176, vcc_lo
	s_delay_alu instid0(VALU_DEP_2) | instskip(NEXT) | instid1(VALU_DEP_3)
	v_and_b32_e32 v182, 0x80000000, v56
	v_lshlrev_b32_e32 v161, 20, v161
	s_delay_alu instid0(VALU_DEP_3) | instskip(NEXT) | instid1(VALU_DEP_1)
	v_lshl_add_u32 v176, v176, 23, 0x3b800000
	v_or3_b32 v161, v182, v176, v161
.LBB6_1659:                             ;   in Loop: Header=BB6_142 Depth=2
	s_or_b32 exec_lo, exec_lo, s25
	v_lshrrev_b32_e32 v176, 16, v17
	s_mov_b32 s11, 0
	s_mov_b32 s26, exec_lo
                                        ; implicit-def: $sgpr25
	s_delay_alu instid0(VALU_DEP_1) | instskip(NEXT) | instid1(VALU_DEP_1)
	v_and_b32_e32 v42, 0xff, v176
	v_cmpx_lt_i16_e32 0x7f, v42
	s_xor_b32 s26, exec_lo, s26
	s_cbranch_execnz .LBB6_2569
; %bb.1660:                             ;   in Loop: Header=BB6_142 Depth=2
	s_or_saveexec_b32 s26, s26
	v_mov_b32_e32 v182, s25
	s_xor_b32 exec_lo, exec_lo, s26
	s_cbranch_execnz .LBB6_2572
.LBB6_1661:                             ;   in Loop: Header=BB6_142 Depth=2
	s_or_b32 exec_lo, exec_lo, s26
	s_and_saveexec_b32 s25, s11
	s_cbranch_execz .LBB6_1663
.LBB6_1662:                             ;   in Loop: Header=BB6_142 Depth=2
	v_bfe_u32 v182, v17, 16, 3
	s_delay_alu instid0(VALU_DEP_1) | instskip(NEXT) | instid1(VALU_DEP_1)
	v_clz_i32_u32_e32 v42, v182
	v_min_u32_e32 v42, 32, v42
	s_delay_alu instid0(VALU_DEP_1) | instskip(SKIP_1) | instid1(VALU_DEP_2)
	v_subrev_nc_u32_e32 v56, 28, v42
	v_sub_nc_u32_e32 v42, 29, v42
	v_lshlrev_b32_e32 v176, v56, v176
	v_bfe_u32 v56, v17, 19, 4
	s_delay_alu instid0(VALU_DEP_2) | instskip(NEXT) | instid1(VALU_DEP_2)
	v_and_b32_e32 v176, 7, v176
	v_cmp_eq_u32_e32 vcc_lo, 0, v56
	v_dual_cndmask_b32 v42, v56, v42 :: v_dual_lshlrev_b32 v59, 8, v17
	s_delay_alu instid0(VALU_DEP_3) | instskip(NEXT) | instid1(VALU_DEP_2)
	v_cndmask_b32_e32 v176, v182, v176, vcc_lo
	v_and_b32_e32 v182, 0x80000000, v59
	s_delay_alu instid0(VALU_DEP_3) | instskip(NEXT) | instid1(VALU_DEP_3)
	v_lshl_add_u32 v42, v42, 23, 0x3b800000
	v_lshlrev_b32_e32 v176, 20, v176
	s_delay_alu instid0(VALU_DEP_1)
	v_or3_b32 v182, v182, v42, v176
.LBB6_1663:                             ;   in Loop: Header=BB6_142 Depth=2
	s_or_b32 exec_lo, exec_lo, s25
	s_delay_alu instid0(VALU_DEP_1) | instskip(NEXT) | instid1(VALU_DEP_1)
	v_add_f32_e32 v176, v161, v182
	v_and_b32_e32 v161, 0x7f800000, v176
	s_delay_alu instid0(VALU_DEP_1)
	v_cmp_ne_u32_e32 vcc_lo, 0x7f800000, v161
	v_mov_b32_e32 v161, 0x80
	s_and_saveexec_b32 s25, vcc_lo
	s_cbranch_execz .LBB6_1671
; %bb.1664:                             ;   in Loop: Header=BB6_142 Depth=2
	v_mov_b32_e32 v161, 0
	s_mov_b32 s26, exec_lo
	v_cmpx_ne_u32_e32 0, v176
	s_cbranch_execz .LBB6_1670
; %bb.1665:                             ;   in Loop: Header=BB6_142 Depth=2
	v_bfe_u32 v161, v176, 23, 8
	v_and_b32_e32 v182, 0x7fffff, v176
	s_delay_alu instid0(VALU_DEP_2) | instskip(SKIP_1) | instid1(VALU_DEP_3)
	v_sub_nc_u32_e32 v42, 0x78, v161
	v_cmp_gt_u32_e32 vcc_lo, 0x79, v161
	v_or_b32_e32 v56, 0x800000, v182
	s_delay_alu instid0(VALU_DEP_3) | instskip(SKIP_2) | instid1(VALU_DEP_3)
	v_cndmask_b32_e32 v42, 0, v42, vcc_lo
	v_cmp_eq_u32_e32 vcc_lo, 0, v161
	v_add_nc_u32_e32 v161, 0xffffff89, v161
	v_cndmask_b32_e64 v42, v42, 0x77, vcc_lo
	v_cndmask_b32_e32 v182, v56, v182, vcc_lo
	s_delay_alu instid0(VALU_DEP_3) | instskip(NEXT) | instid1(VALU_DEP_3)
	v_cndmask_b32_e64 v161, v161, 0xffffff8a, vcc_lo
	v_lshl_add_u32 v56, 0x100000, v42, -1
	s_delay_alu instid0(VALU_DEP_3) | instskip(SKIP_1) | instid1(VALU_DEP_4)
	v_lshrrev_b32_e32 v59, v42, v182
	v_lshlrev_b32_e64 v77, v42, 0x80000
	v_add_nc_u32_e32 v42, v42, v161
	s_delay_alu instid0(VALU_DEP_4) | instskip(NEXT) | instid1(VALU_DEP_4)
	v_and_b32_e32 v182, v56, v182
	v_bfe_u32 v74, v59, 20, 1
	s_delay_alu instid0(VALU_DEP_2) | instskip(NEXT) | instid1(VALU_DEP_2)
	v_cmp_eq_u32_e64 s11, v182, v77
	v_add_nc_u32_e32 v56, -1, v74
	s_delay_alu instid0(VALU_DEP_1) | instskip(SKIP_2) | instid1(VALU_DEP_2)
	v_cndmask_b32_e64 v182, 0, v56, s11
	v_lshrrev_b32_e32 v56, 23, v59
	s_mov_b32 s11, exec_lo
	v_add_nc_u32_e32 v182, v182, v59
	s_delay_alu instid0(VALU_DEP_2) | instskip(NEXT) | instid1(VALU_DEP_2)
	v_xor_b32_e32 v56, 1, v56
	v_and_b32_e32 v161, 0xfffff, v182
	s_delay_alu instid0(VALU_DEP_1) | instskip(NEXT) | instid1(VALU_DEP_3)
	v_add_nc_u32_e32 v182, v161, v59
                                        ; implicit-def: $vgpr161
	v_cmpx_ne_u32_e64 v42, v56
	s_xor_b32 s11, exec_lo, s11
; %bb.1666:                             ;   in Loop: Header=BB6_142 Depth=2
	s_delay_alu instid0(VALU_DEP_2) | instskip(SKIP_2) | instid1(VALU_DEP_2)
	v_cmp_lt_u32_e32 vcc_lo, 0xffffff, v182
	v_sub_nc_u32_e32 v161, v42, v56
	v_cndmask_b32_e64 v42, 0, 1, vcc_lo
	v_add_co_ci_u32_e32 v161, vcc_lo, 0, v161, vcc_lo
	s_delay_alu instid0(VALU_DEP_2)
	v_lshrrev_b32_e32 v182, v42, v182
; %bb.1667:                             ;   in Loop: Header=BB6_142 Depth=2
	s_and_not1_saveexec_b32 s11, s11
; %bb.1668:                             ;   in Loop: Header=BB6_142 Depth=2
	s_delay_alu instid0(VALU_DEP_1)
	v_bfe_u32 v161, v182, 23, 1
; %bb.1669:                             ;   in Loop: Header=BB6_142 Depth=2
	s_or_b32 exec_lo, exec_lo, s11
	v_lshrrev_b32_e32 v182, 20, v182
	s_delay_alu instid0(VALU_DEP_2) | instskip(SKIP_2) | instid1(VALU_DEP_3)
	v_min_i32_e32 v42, 15, v161
	v_cmp_gt_i32_e32 vcc_lo, 16, v161
	v_lshrrev_b32_e32 v176, 24, v176
	v_lshlrev_b32_e32 v42, 3, v42
	v_cndmask_b32_e32 v182, 7, v182, vcc_lo
	s_delay_alu instid0(VALU_DEP_3) | instskip(NEXT) | instid1(VALU_DEP_3)
	v_and_b32_e32 v176, 0x80, v176
	v_and_b32_e32 v42, 0xf8, v42
	s_delay_alu instid0(VALU_DEP_3) | instskip(SKIP_1) | instid1(VALU_DEP_2)
	v_and_b32_e32 v56, 7, v182
	v_or_b32_e32 v161, v161, v182
	v_or3_b32 v176, v42, v176, v56
	s_delay_alu instid0(VALU_DEP_2) | instskip(NEXT) | instid1(VALU_DEP_2)
	v_cmp_ne_u32_e32 vcc_lo, 0, v161
	v_cndmask_b32_e32 v161, 0, v176, vcc_lo
.LBB6_1670:                             ;   in Loop: Header=BB6_142 Depth=2
	s_or_b32 exec_lo, exec_lo, s26
.LBB6_1671:                             ;   in Loop: Header=BB6_142 Depth=2
	s_delay_alu instid0(SALU_CYCLE_1) | instskip(SKIP_3) | instid1(VALU_DEP_1)
	s_or_b32 exec_lo, exec_lo, s25
	v_lshrrev_b32_e32 v182, 24, v164
	s_mov_b32 s11, 0
	s_mov_b32 s26, exec_lo
                                        ; implicit-def: $sgpr25
	v_cmpx_lt_i16_e64 0x7f, v182
	s_xor_b32 s26, exec_lo, s26
	s_cbranch_execnz .LBB6_2573
; %bb.1672:                             ;   in Loop: Header=BB6_142 Depth=2
	s_or_saveexec_b32 s26, s26
	v_mov_b32_e32 v176, s25
	s_xor_b32 exec_lo, exec_lo, s26
	s_cbranch_execnz .LBB6_2576
.LBB6_1673:                             ;   in Loop: Header=BB6_142 Depth=2
	s_or_b32 exec_lo, exec_lo, s26
	s_and_saveexec_b32 s25, s11
	s_cbranch_execz .LBB6_1675
.LBB6_1674:                             ;   in Loop: Header=BB6_142 Depth=2
	v_bfe_u32 v176, v164, 24, 3
	s_delay_alu instid0(VALU_DEP_1) | instskip(NEXT) | instid1(VALU_DEP_1)
	v_clz_i32_u32_e32 v42, v176
	v_min_u32_e32 v42, 32, v42
	s_delay_alu instid0(VALU_DEP_1) | instskip(SKIP_1) | instid1(VALU_DEP_2)
	v_subrev_nc_u32_e32 v56, 28, v42
	v_sub_nc_u32_e32 v42, 29, v42
	v_lshlrev_b32_e32 v182, v56, v182
	v_bfe_u32 v56, v164, 27, 4
	v_and_b32_e32 v164, 0x80000000, v164
	s_delay_alu instid0(VALU_DEP_3) | instskip(NEXT) | instid1(VALU_DEP_3)
	v_and_b32_e32 v182, 7, v182
	v_cmp_eq_u32_e32 vcc_lo, 0, v56
	v_cndmask_b32_e32 v42, v56, v42, vcc_lo
	s_delay_alu instid0(VALU_DEP_3) | instskip(NEXT) | instid1(VALU_DEP_2)
	v_cndmask_b32_e32 v176, v176, v182, vcc_lo
	v_lshl_add_u32 v182, v42, 23, 0x3b800000
	s_delay_alu instid0(VALU_DEP_2) | instskip(NEXT) | instid1(VALU_DEP_1)
	v_lshlrev_b32_e32 v176, 20, v176
	v_or3_b32 v176, v164, v182, v176
.LBB6_1675:                             ;   in Loop: Header=BB6_142 Depth=2
	s_or_b32 exec_lo, exec_lo, s25
	v_lshrrev_b32_e32 v164, 24, v17
	s_mov_b32 s11, 0
	s_mov_b32 s26, exec_lo
                                        ; implicit-def: $sgpr25
	s_delay_alu instid0(VALU_DEP_1)
	v_cmpx_lt_i16_e64 0x7f, v164
	s_xor_b32 s26, exec_lo, s26
	s_cbranch_execnz .LBB6_2577
; %bb.1676:                             ;   in Loop: Header=BB6_142 Depth=2
	s_or_saveexec_b32 s26, s26
	v_mov_b32_e32 v182, s25
	s_xor_b32 exec_lo, exec_lo, s26
	s_cbranch_execnz .LBB6_2580
.LBB6_1677:                             ;   in Loop: Header=BB6_142 Depth=2
	s_or_b32 exec_lo, exec_lo, s26
	s_and_saveexec_b32 s25, s11
	s_cbranch_execz .LBB6_1679
.LBB6_1678:                             ;   in Loop: Header=BB6_142 Depth=2
	v_bfe_u32 v182, v17, 24, 3
	s_delay_alu instid0(VALU_DEP_1) | instskip(NEXT) | instid1(VALU_DEP_1)
	v_clz_i32_u32_e32 v42, v182
	v_min_u32_e32 v42, 32, v42
	s_delay_alu instid0(VALU_DEP_1) | instskip(SKIP_1) | instid1(VALU_DEP_2)
	v_subrev_nc_u32_e32 v56, 28, v42
	v_sub_nc_u32_e32 v42, 29, v42
	v_lshlrev_b32_e32 v164, v56, v164
	v_bfe_u32 v56, v17, 27, 4
	v_and_b32_e32 v17, 0x80000000, v17
	s_delay_alu instid0(VALU_DEP_3) | instskip(NEXT) | instid1(VALU_DEP_3)
	v_and_b32_e32 v164, 7, v164
	v_cmp_eq_u32_e32 vcc_lo, 0, v56
	v_cndmask_b32_e32 v42, v56, v42, vcc_lo
	s_delay_alu instid0(VALU_DEP_3) | instskip(NEXT) | instid1(VALU_DEP_2)
	v_cndmask_b32_e32 v164, v182, v164, vcc_lo
	v_lshl_add_u32 v182, v42, 23, 0x3b800000
	s_delay_alu instid0(VALU_DEP_2) | instskip(NEXT) | instid1(VALU_DEP_1)
	v_lshlrev_b32_e32 v164, 20, v164
	v_or3_b32 v182, v17, v182, v164
.LBB6_1679:                             ;   in Loop: Header=BB6_142 Depth=2
	s_or_b32 exec_lo, exec_lo, s25
	s_delay_alu instid0(VALU_DEP_1) | instskip(NEXT) | instid1(VALU_DEP_1)
	v_add_f32_e32 v164, v176, v182
	v_and_b32_e32 v17, 0x7f800000, v164
	s_delay_alu instid0(VALU_DEP_1)
	v_cmp_ne_u32_e32 vcc_lo, 0x7f800000, v17
	v_mov_b32_e32 v17, 0x8000
	s_and_saveexec_b32 s25, vcc_lo
	s_cbranch_execz .LBB6_1687
; %bb.1680:                             ;   in Loop: Header=BB6_142 Depth=2
	v_mov_b32_e32 v17, 0
	s_mov_b32 s26, exec_lo
	v_cmpx_ne_u32_e32 0, v164
	s_cbranch_execz .LBB6_1686
; %bb.1681:                             ;   in Loop: Header=BB6_142 Depth=2
	v_bfe_u32 v17, v164, 23, 8
	v_and_b32_e32 v176, 0x7fffff, v164
	s_delay_alu instid0(VALU_DEP_2) | instskip(SKIP_1) | instid1(VALU_DEP_3)
	v_sub_nc_u32_e32 v182, 0x78, v17
	v_cmp_gt_u32_e32 vcc_lo, 0x79, v17
	v_or_b32_e32 v42, 0x800000, v176
	s_delay_alu instid0(VALU_DEP_3) | instskip(SKIP_2) | instid1(VALU_DEP_3)
	v_cndmask_b32_e32 v182, 0, v182, vcc_lo
	v_cmp_eq_u32_e32 vcc_lo, 0, v17
	v_add_nc_u32_e32 v17, 0xffffff89, v17
	v_cndmask_b32_e64 v182, v182, 0x77, vcc_lo
	v_cndmask_b32_e32 v176, v42, v176, vcc_lo
	s_delay_alu instid0(VALU_DEP_3) | instskip(NEXT) | instid1(VALU_DEP_3)
	v_cndmask_b32_e64 v17, v17, 0xffffff8a, vcc_lo
	v_lshl_add_u32 v42, 0x100000, v182, -1
	s_delay_alu instid0(VALU_DEP_3) | instskip(SKIP_1) | instid1(VALU_DEP_4)
	v_lshrrev_b32_e32 v56, v182, v176
	v_lshlrev_b32_e64 v74, v182, 0x80000
	v_add_nc_u32_e32 v182, v182, v17
	s_delay_alu instid0(VALU_DEP_4) | instskip(NEXT) | instid1(VALU_DEP_4)
	v_and_b32_e32 v176, v42, v176
	v_bfe_u32 v59, v56, 20, 1
	s_delay_alu instid0(VALU_DEP_2) | instskip(NEXT) | instid1(VALU_DEP_2)
	v_cmp_eq_u32_e64 s11, v176, v74
	v_add_nc_u32_e32 v42, -1, v59
	s_delay_alu instid0(VALU_DEP_1) | instskip(SKIP_2) | instid1(VALU_DEP_2)
	v_cndmask_b32_e64 v176, 0, v42, s11
	v_lshrrev_b32_e32 v42, 23, v56
	s_mov_b32 s11, exec_lo
	v_add_nc_u32_e32 v176, v176, v56
	s_delay_alu instid0(VALU_DEP_2) | instskip(NEXT) | instid1(VALU_DEP_2)
	v_xor_b32_e32 v42, 1, v42
	v_and_b32_e32 v17, 0xfffff, v176
	s_delay_alu instid0(VALU_DEP_1) | instskip(NEXT) | instid1(VALU_DEP_3)
	v_add_nc_u32_e32 v176, v17, v56
                                        ; implicit-def: $vgpr17
	v_cmpx_ne_u32_e64 v182, v42
	s_xor_b32 s11, exec_lo, s11
; %bb.1682:                             ;   in Loop: Header=BB6_142 Depth=2
	s_delay_alu instid0(VALU_DEP_2) | instskip(SKIP_2) | instid1(VALU_DEP_2)
	v_cmp_lt_u32_e32 vcc_lo, 0xffffff, v176
	v_sub_nc_u32_e32 v17, v182, v42
	v_cndmask_b32_e64 v182, 0, 1, vcc_lo
	v_add_co_ci_u32_e32 v17, vcc_lo, 0, v17, vcc_lo
	s_delay_alu instid0(VALU_DEP_2)
	v_lshrrev_b32_e32 v176, v182, v176
; %bb.1683:                             ;   in Loop: Header=BB6_142 Depth=2
	s_and_not1_saveexec_b32 s11, s11
; %bb.1684:                             ;   in Loop: Header=BB6_142 Depth=2
	s_delay_alu instid0(VALU_DEP_1)
	v_bfe_u32 v17, v176, 23, 1
; %bb.1685:                             ;   in Loop: Header=BB6_142 Depth=2
	s_or_b32 exec_lo, exec_lo, s11
	v_lshrrev_b32_e32 v176, 20, v176
	s_delay_alu instid0(VALU_DEP_2) | instskip(SKIP_2) | instid1(VALU_DEP_4)
	v_cmp_gt_i32_e32 vcc_lo, 16, v17
	v_min_i32_e32 v182, 15, v17
	v_lshrrev_b32_e32 v164, 24, v164
	v_cndmask_b32_e32 v176, 7, v176, vcc_lo
	s_delay_alu instid0(VALU_DEP_2) | instskip(NEXT) | instid1(VALU_DEP_2)
	v_and_b32_e32 v164, 0x80, v164
	v_or_b32_e32 v17, v17, v176
	v_and_b32_e32 v42, 7, v176
	s_delay_alu instid0(VALU_DEP_2) | instskip(SKIP_1) | instid1(VALU_DEP_1)
	v_cmp_ne_u32_e32 vcc_lo, 0, v17
	v_lshlrev_b32_e32 v182, 3, v182
	v_and_b32_e32 v182, 0xf8, v182
	s_delay_alu instid0(VALU_DEP_1) | instskip(NEXT) | instid1(VALU_DEP_1)
	v_or3_b32 v164, v164, v182, v42
	v_lshlrev_b32_e32 v164, 8, v164
	s_delay_alu instid0(VALU_DEP_1)
	v_cndmask_b32_e32 v17, 0, v164, vcc_lo
.LBB6_1686:                             ;   in Loop: Header=BB6_142 Depth=2
	s_or_b32 exec_lo, exec_lo, s26
.LBB6_1687:                             ;   in Loop: Header=BB6_142 Depth=2
	s_delay_alu instid0(SALU_CYCLE_1) | instskip(SKIP_3) | instid1(VALU_DEP_1)
	s_or_b32 exec_lo, exec_lo, s25
	v_and_b32_e32 v176, 0xff, v151
	s_mov_b32 s11, 0
	s_mov_b32 s26, exec_lo
                                        ; implicit-def: $sgpr25
	v_cmpx_lt_i16_e64 0x7f, v176
	s_xor_b32 s26, exec_lo, s26
	s_cbranch_execnz .LBB6_2581
; %bb.1688:                             ;   in Loop: Header=BB6_142 Depth=2
	s_or_saveexec_b32 s26, s26
	v_mov_b32_e32 v164, s25
	s_xor_b32 exec_lo, exec_lo, s26
	s_cbranch_execnz .LBB6_2584
.LBB6_1689:                             ;   in Loop: Header=BB6_142 Depth=2
	s_or_b32 exec_lo, exec_lo, s26
	s_and_saveexec_b32 s25, s11
	s_cbranch_execz .LBB6_1691
.LBB6_1690:                             ;   in Loop: Header=BB6_142 Depth=2
	v_and_b32_e32 v164, 7, v151
	v_bfe_u32 v42, v151, 3, 4
	s_delay_alu instid0(VALU_DEP_2) | instskip(NEXT) | instid1(VALU_DEP_2)
	v_clz_i32_u32_e32 v176, v164
	v_cmp_eq_u32_e32 vcc_lo, 0, v42
	s_delay_alu instid0(VALU_DEP_2) | instskip(NEXT) | instid1(VALU_DEP_1)
	v_min_u32_e32 v176, 32, v176
	v_subrev_nc_u32_e32 v182, 28, v176
	v_sub_nc_u32_e32 v176, 29, v176
	s_delay_alu instid0(VALU_DEP_2) | instskip(NEXT) | instid1(VALU_DEP_2)
	v_lshlrev_b32_e32 v182, v182, v151
	v_dual_cndmask_b32 v176, v42, v176 :: v_dual_lshlrev_b32 v151, 24, v151
	s_delay_alu instid0(VALU_DEP_2) | instskip(NEXT) | instid1(VALU_DEP_2)
	v_and_b32_e32 v182, 7, v182
	v_and_b32_e32 v151, 0x80000000, v151
	s_delay_alu instid0(VALU_DEP_3) | instskip(NEXT) | instid1(VALU_DEP_3)
	v_lshl_add_u32 v176, v176, 23, 0x3b800000
	v_cndmask_b32_e32 v164, v164, v182, vcc_lo
	s_delay_alu instid0(VALU_DEP_1) | instskip(NEXT) | instid1(VALU_DEP_1)
	v_lshlrev_b32_e32 v164, 20, v164
	v_or3_b32 v164, v151, v176, v164
.LBB6_1691:                             ;   in Loop: Header=BB6_142 Depth=2
	s_or_b32 exec_lo, exec_lo, s25
	s_waitcnt vmcnt(0)
	v_and_b32_e32 v176, 0xff, v10
	s_mov_b32 s11, 0
	s_mov_b32 s26, exec_lo
                                        ; implicit-def: $sgpr25
	s_delay_alu instid0(VALU_DEP_1)
	v_cmpx_lt_i16_e64 0x7f, v176
	s_xor_b32 s26, exec_lo, s26
	s_cbranch_execnz .LBB6_2585
; %bb.1692:                             ;   in Loop: Header=BB6_142 Depth=2
	s_or_saveexec_b32 s26, s26
	v_mov_b32_e32 v151, s25
	s_xor_b32 exec_lo, exec_lo, s26
	s_cbranch_execnz .LBB6_2588
.LBB6_1693:                             ;   in Loop: Header=BB6_142 Depth=2
	s_or_b32 exec_lo, exec_lo, s26
	s_and_saveexec_b32 s25, s11
	s_cbranch_execz .LBB6_1695
.LBB6_1694:                             ;   in Loop: Header=BB6_142 Depth=2
	v_bfe_u32 v42, v10, 3, 4
	v_lshlrev_b32_e32 v56, 24, v10
	s_delay_alu instid0(VALU_DEP_2) | instskip(SKIP_1) | instid1(VALU_DEP_1)
	v_cmp_eq_u32_e32 vcc_lo, 0, v42
	v_and_b32_e32 v151, 7, v10
	v_clz_i32_u32_e32 v176, v151
	s_delay_alu instid0(VALU_DEP_1) | instskip(NEXT) | instid1(VALU_DEP_1)
	v_min_u32_e32 v176, 32, v176
	v_subrev_nc_u32_e32 v182, 28, v176
	v_sub_nc_u32_e32 v176, 29, v176
	s_delay_alu instid0(VALU_DEP_2) | instskip(NEXT) | instid1(VALU_DEP_2)
	v_lshlrev_b32_e32 v182, v182, v10
	v_cndmask_b32_e32 v176, v42, v176, vcc_lo
	s_delay_alu instid0(VALU_DEP_2) | instskip(NEXT) | instid1(VALU_DEP_2)
	v_and_b32_e32 v182, 7, v182
	v_lshl_add_u32 v176, v176, 23, 0x3b800000
	s_delay_alu instid0(VALU_DEP_2) | instskip(NEXT) | instid1(VALU_DEP_1)
	v_dual_cndmask_b32 v151, v151, v182 :: v_dual_and_b32 v182, 0x80000000, v56
	v_lshlrev_b32_e32 v151, 20, v151
	s_delay_alu instid0(VALU_DEP_1)
	v_or3_b32 v151, v182, v176, v151
.LBB6_1695:                             ;   in Loop: Header=BB6_142 Depth=2
	s_or_b32 exec_lo, exec_lo, s25
	s_delay_alu instid0(VALU_DEP_1) | instskip(NEXT) | instid1(VALU_DEP_1)
	v_add_f32_e32 v164, v164, v151
	v_and_b32_e32 v151, 0x7f800000, v164
	s_delay_alu instid0(VALU_DEP_1)
	v_cmp_ne_u32_e32 vcc_lo, 0x7f800000, v151
	v_mov_b32_e32 v151, 0x80
	s_and_saveexec_b32 s25, vcc_lo
	s_cbranch_execz .LBB6_1703
; %bb.1696:                             ;   in Loop: Header=BB6_142 Depth=2
	v_mov_b32_e32 v151, 0
	s_mov_b32 s26, exec_lo
	v_cmpx_ne_u32_e32 0, v164
	s_cbranch_execz .LBB6_1702
; %bb.1697:                             ;   in Loop: Header=BB6_142 Depth=2
	v_bfe_u32 v151, v164, 23, 8
	v_and_b32_e32 v176, 0x7fffff, v164
	s_delay_alu instid0(VALU_DEP_2) | instskip(SKIP_1) | instid1(VALU_DEP_3)
	v_sub_nc_u32_e32 v182, 0x78, v151
	v_cmp_gt_u32_e32 vcc_lo, 0x79, v151
	v_or_b32_e32 v42, 0x800000, v176
	s_delay_alu instid0(VALU_DEP_3) | instskip(SKIP_2) | instid1(VALU_DEP_3)
	v_cndmask_b32_e32 v182, 0, v182, vcc_lo
	v_cmp_eq_u32_e32 vcc_lo, 0, v151
	v_add_nc_u32_e32 v151, 0xffffff89, v151
	v_cndmask_b32_e64 v182, v182, 0x77, vcc_lo
	v_cndmask_b32_e32 v176, v42, v176, vcc_lo
	s_delay_alu instid0(VALU_DEP_3) | instskip(NEXT) | instid1(VALU_DEP_3)
	v_cndmask_b32_e64 v151, v151, 0xffffff8a, vcc_lo
	v_lshl_add_u32 v42, 0x100000, v182, -1
	s_delay_alu instid0(VALU_DEP_3) | instskip(SKIP_1) | instid1(VALU_DEP_4)
	v_lshrrev_b32_e32 v56, v182, v176
	v_lshlrev_b32_e64 v74, v182, 0x80000
	v_add_nc_u32_e32 v182, v182, v151
	s_delay_alu instid0(VALU_DEP_4) | instskip(NEXT) | instid1(VALU_DEP_4)
	v_and_b32_e32 v176, v42, v176
	v_bfe_u32 v59, v56, 20, 1
	s_delay_alu instid0(VALU_DEP_2) | instskip(NEXT) | instid1(VALU_DEP_2)
	v_cmp_eq_u32_e64 s11, v176, v74
	v_add_nc_u32_e32 v42, -1, v59
	s_delay_alu instid0(VALU_DEP_1) | instskip(SKIP_2) | instid1(VALU_DEP_2)
	v_cndmask_b32_e64 v176, 0, v42, s11
	v_lshrrev_b32_e32 v42, 23, v56
	s_mov_b32 s11, exec_lo
	v_add_nc_u32_e32 v176, v176, v56
	s_delay_alu instid0(VALU_DEP_2) | instskip(NEXT) | instid1(VALU_DEP_2)
	v_xor_b32_e32 v42, 1, v42
	v_and_b32_e32 v151, 0xfffff, v176
	s_delay_alu instid0(VALU_DEP_1) | instskip(NEXT) | instid1(VALU_DEP_3)
	v_add_nc_u32_e32 v176, v151, v56
                                        ; implicit-def: $vgpr151
	v_cmpx_ne_u32_e64 v182, v42
	s_xor_b32 s11, exec_lo, s11
; %bb.1698:                             ;   in Loop: Header=BB6_142 Depth=2
	s_delay_alu instid0(VALU_DEP_2) | instskip(SKIP_2) | instid1(VALU_DEP_2)
	v_cmp_lt_u32_e32 vcc_lo, 0xffffff, v176
	v_sub_nc_u32_e32 v151, v182, v42
	v_cndmask_b32_e64 v182, 0, 1, vcc_lo
	v_add_co_ci_u32_e32 v151, vcc_lo, 0, v151, vcc_lo
	s_delay_alu instid0(VALU_DEP_2)
	v_lshrrev_b32_e32 v176, v182, v176
; %bb.1699:                             ;   in Loop: Header=BB6_142 Depth=2
	s_and_not1_saveexec_b32 s11, s11
; %bb.1700:                             ;   in Loop: Header=BB6_142 Depth=2
	s_delay_alu instid0(VALU_DEP_1)
	v_bfe_u32 v151, v176, 23, 1
; %bb.1701:                             ;   in Loop: Header=BB6_142 Depth=2
	s_or_b32 exec_lo, exec_lo, s11
	v_lshrrev_b32_e32 v176, 20, v176
	s_delay_alu instid0(VALU_DEP_2) | instskip(SKIP_2) | instid1(VALU_DEP_4)
	v_cmp_gt_i32_e32 vcc_lo, 16, v151
	v_lshrrev_b32_e32 v164, 24, v164
	v_min_i32_e32 v182, 15, v151
	v_cndmask_b32_e32 v176, 7, v176, vcc_lo
	s_delay_alu instid0(VALU_DEP_3) | instskip(NEXT) | instid1(VALU_DEP_2)
	v_and_b32_e32 v164, 0x80, v164
	v_or_b32_e32 v151, v151, v176
	v_and_b32_e32 v42, 7, v176
	s_delay_alu instid0(VALU_DEP_2) | instskip(SKIP_1) | instid1(VALU_DEP_1)
	v_cmp_ne_u32_e32 vcc_lo, 0, v151
	v_lshlrev_b32_e32 v182, 3, v182
	v_or3_b32 v164, v182, v164, v42
	s_delay_alu instid0(VALU_DEP_1)
	v_cndmask_b32_e32 v151, 0, v164, vcc_lo
.LBB6_1702:                             ;   in Loop: Header=BB6_142 Depth=2
	s_or_b32 exec_lo, exec_lo, s26
.LBB6_1703:                             ;   in Loop: Header=BB6_142 Depth=2
	s_delay_alu instid0(SALU_CYCLE_1) | instskip(SKIP_3) | instid1(VALU_DEP_1)
	s_or_b32 exec_lo, exec_lo, s25
	v_and_b32_e32 v176, 0xff, v149
	s_mov_b32 s11, 0
	s_mov_b32 s26, exec_lo
                                        ; implicit-def: $sgpr25
	v_cmpx_lt_i16_e64 0x7f, v176
	s_xor_b32 s26, exec_lo, s26
	s_cbranch_execnz .LBB6_2589
; %bb.1704:                             ;   in Loop: Header=BB6_142 Depth=2
	s_or_saveexec_b32 s26, s26
	v_mov_b32_e32 v164, s25
	s_xor_b32 exec_lo, exec_lo, s26
	s_cbranch_execnz .LBB6_2592
.LBB6_1705:                             ;   in Loop: Header=BB6_142 Depth=2
	s_or_b32 exec_lo, exec_lo, s26
	s_and_saveexec_b32 s25, s11
	s_cbranch_execz .LBB6_1707
.LBB6_1706:                             ;   in Loop: Header=BB6_142 Depth=2
	v_and_b32_e32 v164, 7, v149
	v_bfe_u32 v42, v149, 3, 4
	s_delay_alu instid0(VALU_DEP_2) | instskip(NEXT) | instid1(VALU_DEP_2)
	v_clz_i32_u32_e32 v176, v164
	v_cmp_eq_u32_e32 vcc_lo, 0, v42
	s_delay_alu instid0(VALU_DEP_2) | instskip(NEXT) | instid1(VALU_DEP_1)
	v_min_u32_e32 v176, 32, v176
	v_subrev_nc_u32_e32 v182, 28, v176
	v_sub_nc_u32_e32 v176, 29, v176
	s_delay_alu instid0(VALU_DEP_2) | instskip(NEXT) | instid1(VALU_DEP_2)
	v_lshlrev_b32_e32 v182, v182, v149
	v_dual_cndmask_b32 v176, v42, v176 :: v_dual_lshlrev_b32 v149, 24, v149
	s_delay_alu instid0(VALU_DEP_2) | instskip(NEXT) | instid1(VALU_DEP_2)
	v_and_b32_e32 v182, 7, v182
	v_and_b32_e32 v149, 0x80000000, v149
	s_delay_alu instid0(VALU_DEP_3) | instskip(NEXT) | instid1(VALU_DEP_3)
	v_lshl_add_u32 v176, v176, 23, 0x3b800000
	v_cndmask_b32_e32 v164, v164, v182, vcc_lo
	s_delay_alu instid0(VALU_DEP_1) | instskip(NEXT) | instid1(VALU_DEP_1)
	v_lshlrev_b32_e32 v164, 20, v164
	v_or3_b32 v164, v149, v176, v164
.LBB6_1707:                             ;   in Loop: Header=BB6_142 Depth=2
	s_or_b32 exec_lo, exec_lo, s25
	v_lshrrev_b16 v149, 8, v10
	s_mov_b32 s11, 0
	s_mov_b32 s26, exec_lo
                                        ; implicit-def: $sgpr25
	s_delay_alu instid0(VALU_DEP_1)
	v_cmpx_lt_i16_e64 0x7f, v149
	s_xor_b32 s26, exec_lo, s26
	s_cbranch_execnz .LBB6_2593
; %bb.1708:                             ;   in Loop: Header=BB6_142 Depth=2
	s_or_saveexec_b32 s26, s26
	v_mov_b32_e32 v176, s25
	s_xor_b32 exec_lo, exec_lo, s26
	s_cbranch_execnz .LBB6_2596
.LBB6_1709:                             ;   in Loop: Header=BB6_142 Depth=2
	s_or_b32 exec_lo, exec_lo, s26
	s_and_saveexec_b32 s25, s11
	s_cbranch_execz .LBB6_1711
.LBB6_1710:                             ;   in Loop: Header=BB6_142 Depth=2
	v_and_b32_e32 v176, 0xffff, v149
	s_delay_alu instid0(VALU_DEP_1) | instskip(NEXT) | instid1(VALU_DEP_1)
	v_and_b32_e32 v182, 7, v176
	v_clz_i32_u32_e32 v42, v182
	s_delay_alu instid0(VALU_DEP_1) | instskip(NEXT) | instid1(VALU_DEP_1)
	v_min_u32_e32 v42, 32, v42
	v_subrev_nc_u32_e32 v56, 28, v42
	v_sub_nc_u32_e32 v42, 29, v42
	s_delay_alu instid0(VALU_DEP_2) | instskip(SKIP_1) | instid1(VALU_DEP_2)
	v_lshlrev_b32_e32 v56, v56, v176
	v_bfe_u32 v176, v176, 3, 4
	v_and_b32_e32 v56, 7, v56
	s_delay_alu instid0(VALU_DEP_2) | instskip(SKIP_1) | instid1(VALU_DEP_1)
	v_cmp_eq_u32_e32 vcc_lo, 0, v176
	v_dual_cndmask_b32 v176, v176, v42 :: v_dual_lshlrev_b32 v149, 24, v149
	v_dual_cndmask_b32 v182, v182, v56 :: v_dual_and_b32 v149, 0x80000000, v149
	s_delay_alu instid0(VALU_DEP_2) | instskip(NEXT) | instid1(VALU_DEP_2)
	v_lshl_add_u32 v176, v176, 23, 0x3b800000
	v_lshlrev_b32_e32 v182, 20, v182
	s_delay_alu instid0(VALU_DEP_1)
	v_or3_b32 v176, v149, v176, v182
.LBB6_1711:                             ;   in Loop: Header=BB6_142 Depth=2
	s_or_b32 exec_lo, exec_lo, s25
	s_delay_alu instid0(VALU_DEP_1) | instskip(NEXT) | instid1(VALU_DEP_1)
	v_add_f32_e32 v164, v164, v176
	v_and_b32_e32 v149, 0x7f800000, v164
	s_delay_alu instid0(VALU_DEP_1)
	v_cmp_ne_u32_e32 vcc_lo, 0x7f800000, v149
	v_mov_b32_e32 v149, 0x80
	s_and_saveexec_b32 s25, vcc_lo
	s_cbranch_execz .LBB6_1719
; %bb.1712:                             ;   in Loop: Header=BB6_142 Depth=2
	v_mov_b32_e32 v149, 0
	s_mov_b32 s26, exec_lo
	v_cmpx_ne_u32_e32 0, v164
	s_cbranch_execz .LBB6_1718
; %bb.1713:                             ;   in Loop: Header=BB6_142 Depth=2
	v_bfe_u32 v149, v164, 23, 8
	v_and_b32_e32 v176, 0x7fffff, v164
	s_delay_alu instid0(VALU_DEP_2) | instskip(SKIP_1) | instid1(VALU_DEP_3)
	v_sub_nc_u32_e32 v182, 0x78, v149
	v_cmp_gt_u32_e32 vcc_lo, 0x79, v149
	v_or_b32_e32 v42, 0x800000, v176
	s_delay_alu instid0(VALU_DEP_3) | instskip(SKIP_2) | instid1(VALU_DEP_3)
	v_cndmask_b32_e32 v182, 0, v182, vcc_lo
	v_cmp_eq_u32_e32 vcc_lo, 0, v149
	v_add_nc_u32_e32 v149, 0xffffff89, v149
	v_cndmask_b32_e64 v182, v182, 0x77, vcc_lo
	v_cndmask_b32_e32 v176, v42, v176, vcc_lo
	s_delay_alu instid0(VALU_DEP_3) | instskip(NEXT) | instid1(VALU_DEP_3)
	v_cndmask_b32_e64 v149, v149, 0xffffff8a, vcc_lo
	v_lshl_add_u32 v42, 0x100000, v182, -1
	s_delay_alu instid0(VALU_DEP_3) | instskip(SKIP_1) | instid1(VALU_DEP_4)
	v_lshrrev_b32_e32 v56, v182, v176
	v_lshlrev_b32_e64 v74, v182, 0x80000
	v_add_nc_u32_e32 v182, v182, v149
	s_delay_alu instid0(VALU_DEP_4) | instskip(NEXT) | instid1(VALU_DEP_4)
	v_and_b32_e32 v176, v42, v176
	v_bfe_u32 v59, v56, 20, 1
	s_delay_alu instid0(VALU_DEP_2) | instskip(NEXT) | instid1(VALU_DEP_2)
	v_cmp_eq_u32_e64 s11, v176, v74
	v_add_nc_u32_e32 v42, -1, v59
	s_delay_alu instid0(VALU_DEP_1) | instskip(SKIP_2) | instid1(VALU_DEP_2)
	v_cndmask_b32_e64 v176, 0, v42, s11
	v_lshrrev_b32_e32 v42, 23, v56
	s_mov_b32 s11, exec_lo
	v_add_nc_u32_e32 v176, v176, v56
	s_delay_alu instid0(VALU_DEP_2) | instskip(NEXT) | instid1(VALU_DEP_2)
	v_xor_b32_e32 v42, 1, v42
	v_and_b32_e32 v149, 0xfffff, v176
	s_delay_alu instid0(VALU_DEP_1) | instskip(NEXT) | instid1(VALU_DEP_3)
	v_add_nc_u32_e32 v176, v149, v56
                                        ; implicit-def: $vgpr149
	v_cmpx_ne_u32_e64 v182, v42
	s_xor_b32 s11, exec_lo, s11
; %bb.1714:                             ;   in Loop: Header=BB6_142 Depth=2
	s_delay_alu instid0(VALU_DEP_2) | instskip(SKIP_2) | instid1(VALU_DEP_2)
	v_cmp_lt_u32_e32 vcc_lo, 0xffffff, v176
	v_sub_nc_u32_e32 v149, v182, v42
	v_cndmask_b32_e64 v182, 0, 1, vcc_lo
	v_add_co_ci_u32_e32 v149, vcc_lo, 0, v149, vcc_lo
	s_delay_alu instid0(VALU_DEP_2)
	v_lshrrev_b32_e32 v176, v182, v176
; %bb.1715:                             ;   in Loop: Header=BB6_142 Depth=2
	s_and_not1_saveexec_b32 s11, s11
; %bb.1716:                             ;   in Loop: Header=BB6_142 Depth=2
	s_delay_alu instid0(VALU_DEP_1)
	v_bfe_u32 v149, v176, 23, 1
; %bb.1717:                             ;   in Loop: Header=BB6_142 Depth=2
	s_or_b32 exec_lo, exec_lo, s11
	v_lshrrev_b32_e32 v176, 20, v176
	s_delay_alu instid0(VALU_DEP_2) | instskip(SKIP_2) | instid1(VALU_DEP_4)
	v_cmp_gt_i32_e32 vcc_lo, 16, v149
	v_lshrrev_b32_e32 v164, 24, v164
	v_min_i32_e32 v182, 15, v149
	v_cndmask_b32_e32 v176, 7, v176, vcc_lo
	s_delay_alu instid0(VALU_DEP_3) | instskip(NEXT) | instid1(VALU_DEP_2)
	v_and_b32_e32 v164, 0x80, v164
	v_or_b32_e32 v149, v149, v176
	v_and_b32_e32 v42, 7, v176
	s_delay_alu instid0(VALU_DEP_2) | instskip(SKIP_1) | instid1(VALU_DEP_1)
	v_cmp_ne_u32_e32 vcc_lo, 0, v149
	v_lshlrev_b32_e32 v182, 3, v182
	v_or3_b32 v164, v182, v164, v42
	s_delay_alu instid0(VALU_DEP_1)
	v_cndmask_b32_e32 v149, 0, v164, vcc_lo
.LBB6_1718:                             ;   in Loop: Header=BB6_142 Depth=2
	s_or_b32 exec_lo, exec_lo, s26
.LBB6_1719:                             ;   in Loop: Header=BB6_142 Depth=2
	s_delay_alu instid0(SALU_CYCLE_1) | instskip(SKIP_3) | instid1(VALU_DEP_1)
	s_or_b32 exec_lo, exec_lo, s25
	v_and_b32_e32 v176, 0xff, v147
	s_mov_b32 s11, 0
	s_mov_b32 s26, exec_lo
                                        ; implicit-def: $sgpr25
	v_cmpx_lt_i16_e64 0x7f, v176
	s_xor_b32 s26, exec_lo, s26
	s_cbranch_execnz .LBB6_2597
; %bb.1720:                             ;   in Loop: Header=BB6_142 Depth=2
	s_or_saveexec_b32 s26, s26
	v_mov_b32_e32 v164, s25
	s_xor_b32 exec_lo, exec_lo, s26
	s_cbranch_execnz .LBB6_2600
.LBB6_1721:                             ;   in Loop: Header=BB6_142 Depth=2
	s_or_b32 exec_lo, exec_lo, s26
	s_and_saveexec_b32 s25, s11
	s_cbranch_execz .LBB6_1723
.LBB6_1722:                             ;   in Loop: Header=BB6_142 Depth=2
	v_and_b32_e32 v164, 7, v147
	v_bfe_u32 v42, v147, 3, 4
	s_delay_alu instid0(VALU_DEP_2) | instskip(NEXT) | instid1(VALU_DEP_2)
	v_clz_i32_u32_e32 v176, v164
	v_cmp_eq_u32_e32 vcc_lo, 0, v42
	s_delay_alu instid0(VALU_DEP_2) | instskip(NEXT) | instid1(VALU_DEP_1)
	v_min_u32_e32 v176, 32, v176
	v_subrev_nc_u32_e32 v182, 28, v176
	v_sub_nc_u32_e32 v176, 29, v176
	s_delay_alu instid0(VALU_DEP_2) | instskip(NEXT) | instid1(VALU_DEP_2)
	v_lshlrev_b32_e32 v182, v182, v147
	v_dual_cndmask_b32 v176, v42, v176 :: v_dual_lshlrev_b32 v147, 24, v147
	s_delay_alu instid0(VALU_DEP_2) | instskip(NEXT) | instid1(VALU_DEP_2)
	v_and_b32_e32 v182, 7, v182
	v_and_b32_e32 v147, 0x80000000, v147
	s_delay_alu instid0(VALU_DEP_3) | instskip(NEXT) | instid1(VALU_DEP_3)
	v_lshl_add_u32 v176, v176, 23, 0x3b800000
	v_cndmask_b32_e32 v164, v164, v182, vcc_lo
	s_delay_alu instid0(VALU_DEP_1) | instskip(NEXT) | instid1(VALU_DEP_1)
	v_lshlrev_b32_e32 v164, 20, v164
	v_or3_b32 v164, v147, v176, v164
.LBB6_1723:                             ;   in Loop: Header=BB6_142 Depth=2
	s_or_b32 exec_lo, exec_lo, s25
	v_lshrrev_b32_e32 v147, 16, v10
	s_mov_b32 s11, 0
	s_mov_b32 s26, exec_lo
                                        ; implicit-def: $sgpr25
	s_delay_alu instid0(VALU_DEP_1) | instskip(NEXT) | instid1(VALU_DEP_1)
	v_and_b32_e32 v182, 0xff, v147
	v_cmpx_lt_i16_e64 0x7f, v182
	s_xor_b32 s26, exec_lo, s26
	s_cbranch_execnz .LBB6_2601
; %bb.1724:                             ;   in Loop: Header=BB6_142 Depth=2
	s_or_saveexec_b32 s26, s26
	v_mov_b32_e32 v176, s25
	s_xor_b32 exec_lo, exec_lo, s26
	s_cbranch_execnz .LBB6_2604
.LBB6_1725:                             ;   in Loop: Header=BB6_142 Depth=2
	s_or_b32 exec_lo, exec_lo, s26
	s_and_saveexec_b32 s25, s11
	s_cbranch_execz .LBB6_1727
.LBB6_1726:                             ;   in Loop: Header=BB6_142 Depth=2
	v_bfe_u32 v176, v10, 16, 3
	s_delay_alu instid0(VALU_DEP_1) | instskip(NEXT) | instid1(VALU_DEP_1)
	v_clz_i32_u32_e32 v182, v176
	v_min_u32_e32 v182, 32, v182
	s_delay_alu instid0(VALU_DEP_1) | instskip(SKIP_1) | instid1(VALU_DEP_2)
	v_subrev_nc_u32_e32 v42, 28, v182
	v_sub_nc_u32_e32 v182, 29, v182
	v_lshlrev_b32_e32 v147, v42, v147
	v_bfe_u32 v42, v10, 19, 4
	s_delay_alu instid0(VALU_DEP_1) | instskip(NEXT) | instid1(VALU_DEP_3)
	v_cmp_eq_u32_e32 vcc_lo, 0, v42
	v_dual_cndmask_b32 v182, v42, v182 :: v_dual_and_b32 v147, 7, v147
	s_delay_alu instid0(VALU_DEP_1) | instskip(NEXT) | instid1(VALU_DEP_2)
	v_dual_cndmask_b32 v147, v176, v147 :: v_dual_lshlrev_b32 v56, 8, v10
	v_lshl_add_u32 v182, v182, 23, 0x3b800000
	s_delay_alu instid0(VALU_DEP_2) | instskip(NEXT) | instid1(VALU_DEP_3)
	v_and_b32_e32 v176, 0x80000000, v56
	v_lshlrev_b32_e32 v147, 20, v147
	s_delay_alu instid0(VALU_DEP_1)
	v_or3_b32 v176, v176, v182, v147
.LBB6_1727:                             ;   in Loop: Header=BB6_142 Depth=2
	s_or_b32 exec_lo, exec_lo, s25
	s_delay_alu instid0(VALU_DEP_1) | instskip(NEXT) | instid1(VALU_DEP_1)
	v_add_f32_e32 v164, v164, v176
	v_and_b32_e32 v147, 0x7f800000, v164
	s_delay_alu instid0(VALU_DEP_1)
	v_cmp_ne_u32_e32 vcc_lo, 0x7f800000, v147
	v_mov_b32_e32 v147, 0x80
	s_and_saveexec_b32 s25, vcc_lo
	s_cbranch_execz .LBB6_1735
; %bb.1728:                             ;   in Loop: Header=BB6_142 Depth=2
	v_mov_b32_e32 v147, 0
	s_mov_b32 s26, exec_lo
	v_cmpx_ne_u32_e32 0, v164
	s_cbranch_execz .LBB6_1734
; %bb.1729:                             ;   in Loop: Header=BB6_142 Depth=2
	v_bfe_u32 v147, v164, 23, 8
	v_and_b32_e32 v176, 0x7fffff, v164
	s_delay_alu instid0(VALU_DEP_2) | instskip(SKIP_1) | instid1(VALU_DEP_3)
	v_sub_nc_u32_e32 v182, 0x78, v147
	v_cmp_gt_u32_e32 vcc_lo, 0x79, v147
	v_or_b32_e32 v42, 0x800000, v176
	s_delay_alu instid0(VALU_DEP_3) | instskip(SKIP_2) | instid1(VALU_DEP_3)
	v_cndmask_b32_e32 v182, 0, v182, vcc_lo
	v_cmp_eq_u32_e32 vcc_lo, 0, v147
	v_add_nc_u32_e32 v147, 0xffffff89, v147
	v_cndmask_b32_e64 v182, v182, 0x77, vcc_lo
	v_cndmask_b32_e32 v176, v42, v176, vcc_lo
	s_delay_alu instid0(VALU_DEP_3) | instskip(NEXT) | instid1(VALU_DEP_3)
	v_cndmask_b32_e64 v147, v147, 0xffffff8a, vcc_lo
	v_lshl_add_u32 v42, 0x100000, v182, -1
	s_delay_alu instid0(VALU_DEP_3) | instskip(SKIP_1) | instid1(VALU_DEP_4)
	v_lshrrev_b32_e32 v56, v182, v176
	v_lshlrev_b32_e64 v74, v182, 0x80000
	v_add_nc_u32_e32 v182, v182, v147
	s_delay_alu instid0(VALU_DEP_4) | instskip(NEXT) | instid1(VALU_DEP_4)
	v_and_b32_e32 v176, v42, v176
	v_bfe_u32 v59, v56, 20, 1
	s_delay_alu instid0(VALU_DEP_2) | instskip(NEXT) | instid1(VALU_DEP_2)
	v_cmp_eq_u32_e64 s11, v176, v74
	v_add_nc_u32_e32 v42, -1, v59
	s_delay_alu instid0(VALU_DEP_1) | instskip(SKIP_2) | instid1(VALU_DEP_2)
	v_cndmask_b32_e64 v176, 0, v42, s11
	v_lshrrev_b32_e32 v42, 23, v56
	s_mov_b32 s11, exec_lo
	v_add_nc_u32_e32 v176, v176, v56
	s_delay_alu instid0(VALU_DEP_2) | instskip(NEXT) | instid1(VALU_DEP_2)
	v_xor_b32_e32 v42, 1, v42
	v_and_b32_e32 v147, 0xfffff, v176
	s_delay_alu instid0(VALU_DEP_1) | instskip(NEXT) | instid1(VALU_DEP_3)
	v_add_nc_u32_e32 v176, v147, v56
                                        ; implicit-def: $vgpr147
	v_cmpx_ne_u32_e64 v182, v42
	s_xor_b32 s11, exec_lo, s11
; %bb.1730:                             ;   in Loop: Header=BB6_142 Depth=2
	s_delay_alu instid0(VALU_DEP_2) | instskip(SKIP_2) | instid1(VALU_DEP_2)
	v_cmp_lt_u32_e32 vcc_lo, 0xffffff, v176
	v_sub_nc_u32_e32 v147, v182, v42
	v_cndmask_b32_e64 v182, 0, 1, vcc_lo
	v_add_co_ci_u32_e32 v147, vcc_lo, 0, v147, vcc_lo
	s_delay_alu instid0(VALU_DEP_2)
	v_lshrrev_b32_e32 v176, v182, v176
; %bb.1731:                             ;   in Loop: Header=BB6_142 Depth=2
	s_and_not1_saveexec_b32 s11, s11
; %bb.1732:                             ;   in Loop: Header=BB6_142 Depth=2
	s_delay_alu instid0(VALU_DEP_1)
	v_bfe_u32 v147, v176, 23, 1
; %bb.1733:                             ;   in Loop: Header=BB6_142 Depth=2
	s_or_b32 exec_lo, exec_lo, s11
	v_lshrrev_b32_e32 v176, 20, v176
	s_delay_alu instid0(VALU_DEP_2) | instskip(SKIP_2) | instid1(VALU_DEP_4)
	v_cmp_gt_i32_e32 vcc_lo, 16, v147
	v_lshrrev_b32_e32 v164, 24, v164
	v_min_i32_e32 v182, 15, v147
	v_cndmask_b32_e32 v176, 7, v176, vcc_lo
	s_delay_alu instid0(VALU_DEP_3) | instskip(NEXT) | instid1(VALU_DEP_2)
	v_and_b32_e32 v164, 0x80, v164
	v_or_b32_e32 v147, v147, v176
	v_and_b32_e32 v42, 7, v176
	s_delay_alu instid0(VALU_DEP_2) | instskip(SKIP_1) | instid1(VALU_DEP_1)
	v_cmp_ne_u32_e32 vcc_lo, 0, v147
	v_lshlrev_b32_e32 v182, 3, v182
	v_or3_b32 v164, v182, v164, v42
	s_delay_alu instid0(VALU_DEP_1)
	v_cndmask_b32_e32 v147, 0, v164, vcc_lo
.LBB6_1734:                             ;   in Loop: Header=BB6_142 Depth=2
	s_or_b32 exec_lo, exec_lo, s26
.LBB6_1735:                             ;   in Loop: Header=BB6_142 Depth=2
	s_delay_alu instid0(SALU_CYCLE_1) | instskip(SKIP_3) | instid1(VALU_DEP_1)
	s_or_b32 exec_lo, exec_lo, s25
	v_and_b32_e32 v176, 0xff, v145
	s_mov_b32 s11, 0
	s_mov_b32 s26, exec_lo
                                        ; implicit-def: $sgpr25
	v_cmpx_lt_i16_e64 0x7f, v176
	s_xor_b32 s26, exec_lo, s26
	s_cbranch_execnz .LBB6_2605
; %bb.1736:                             ;   in Loop: Header=BB6_142 Depth=2
	s_or_saveexec_b32 s26, s26
	v_mov_b32_e32 v164, s25
	s_xor_b32 exec_lo, exec_lo, s26
	s_cbranch_execnz .LBB6_2608
.LBB6_1737:                             ;   in Loop: Header=BB6_142 Depth=2
	s_or_b32 exec_lo, exec_lo, s26
	s_and_saveexec_b32 s25, s11
	s_cbranch_execz .LBB6_1739
.LBB6_1738:                             ;   in Loop: Header=BB6_142 Depth=2
	v_lshlrev_b32_e32 v145, 8, v145
	s_delay_alu instid0(VALU_DEP_1) | instskip(SKIP_1) | instid1(VALU_DEP_2)
	v_and_b32_e32 v164, 0xff00, v145
	v_bfe_u32 v145, v145, 11, 4
	v_bfe_u32 v182, v164, 8, 3
	s_delay_alu instid0(VALU_DEP_2) | instskip(NEXT) | instid1(VALU_DEP_2)
	v_cmp_eq_u32_e32 vcc_lo, 0, v145
	v_clz_i32_u32_e32 v42, v182
	s_delay_alu instid0(VALU_DEP_1) | instskip(NEXT) | instid1(VALU_DEP_1)
	v_min_u32_e32 v42, 32, v42
	v_subrev_nc_u32_e32 v56, 28, v42
	v_sub_nc_u32_e32 v42, 29, v42
	s_delay_alu instid0(VALU_DEP_1) | instskip(SKIP_1) | instid1(VALU_DEP_2)
	v_dual_cndmask_b32 v145, v145, v42 :: v_dual_lshlrev_b32 v176, v56, v176
	v_lshlrev_b32_e32 v164, 16, v164
	v_and_b32_e32 v176, 7, v176
	s_delay_alu instid0(VALU_DEP_3) | instskip(NEXT) | instid1(VALU_DEP_3)
	v_lshl_add_u32 v145, v145, 23, 0x3b800000
	v_and_b32_e32 v164, 0x80000000, v164
	s_delay_alu instid0(VALU_DEP_3) | instskip(NEXT) | instid1(VALU_DEP_1)
	v_cndmask_b32_e32 v176, v182, v176, vcc_lo
	v_lshlrev_b32_e32 v176, 20, v176
	s_delay_alu instid0(VALU_DEP_1)
	v_or3_b32 v164, v164, v145, v176
.LBB6_1739:                             ;   in Loop: Header=BB6_142 Depth=2
	s_or_b32 exec_lo, exec_lo, s25
	v_lshrrev_b32_e32 v145, 24, v10
	s_mov_b32 s11, 0
	s_mov_b32 s26, exec_lo
                                        ; implicit-def: $sgpr25
	s_delay_alu instid0(VALU_DEP_1)
	v_cmpx_lt_i16_e64 0x7f, v145
	s_xor_b32 s26, exec_lo, s26
	s_cbranch_execnz .LBB6_2609
; %bb.1740:                             ;   in Loop: Header=BB6_142 Depth=2
	s_or_saveexec_b32 s26, s26
	v_mov_b32_e32 v176, s25
	s_xor_b32 exec_lo, exec_lo, s26
	s_cbranch_execnz .LBB6_2612
.LBB6_1741:                             ;   in Loop: Header=BB6_142 Depth=2
	s_or_b32 exec_lo, exec_lo, s26
	s_and_saveexec_b32 s25, s11
	s_cbranch_execz .LBB6_1743
.LBB6_1742:                             ;   in Loop: Header=BB6_142 Depth=2
	v_bfe_u32 v176, v10, 24, 3
	s_delay_alu instid0(VALU_DEP_1) | instskip(NEXT) | instid1(VALU_DEP_1)
	v_clz_i32_u32_e32 v182, v176
	v_min_u32_e32 v182, 32, v182
	s_delay_alu instid0(VALU_DEP_1) | instskip(SKIP_1) | instid1(VALU_DEP_2)
	v_subrev_nc_u32_e32 v42, 28, v182
	v_sub_nc_u32_e32 v182, 29, v182
	v_lshlrev_b32_e32 v145, v42, v145
	v_bfe_u32 v42, v10, 27, 4
	v_and_b32_e32 v10, 0x80000000, v10
	s_delay_alu instid0(VALU_DEP_2) | instskip(NEXT) | instid1(VALU_DEP_4)
	v_cmp_eq_u32_e32 vcc_lo, 0, v42
	v_dual_cndmask_b32 v182, v42, v182 :: v_dual_and_b32 v145, 7, v145
	s_delay_alu instid0(VALU_DEP_1) | instskip(NEXT) | instid1(VALU_DEP_2)
	v_cndmask_b32_e32 v145, v176, v145, vcc_lo
	v_lshl_add_u32 v176, v182, 23, 0x3b800000
	s_delay_alu instid0(VALU_DEP_2) | instskip(NEXT) | instid1(VALU_DEP_1)
	v_lshlrev_b32_e32 v145, 20, v145
	v_or3_b32 v176, v10, v176, v145
.LBB6_1743:                             ;   in Loop: Header=BB6_142 Depth=2
	s_or_b32 exec_lo, exec_lo, s25
	s_delay_alu instid0(VALU_DEP_1) | instskip(NEXT) | instid1(VALU_DEP_1)
	v_add_f32_e32 v145, v164, v176
	v_and_b32_e32 v10, 0x7f800000, v145
	s_delay_alu instid0(VALU_DEP_1)
	v_cmp_ne_u32_e32 vcc_lo, 0x7f800000, v10
	v_mov_b32_e32 v10, 0x80
	s_and_saveexec_b32 s25, vcc_lo
	s_cbranch_execz .LBB6_1751
; %bb.1744:                             ;   in Loop: Header=BB6_142 Depth=2
	v_mov_b32_e32 v10, 0
	s_mov_b32 s26, exec_lo
	v_cmpx_ne_u32_e32 0, v145
	s_cbranch_execz .LBB6_1750
; %bb.1745:                             ;   in Loop: Header=BB6_142 Depth=2
	v_bfe_u32 v10, v145, 23, 8
	v_and_b32_e32 v164, 0x7fffff, v145
	s_delay_alu instid0(VALU_DEP_2) | instskip(SKIP_1) | instid1(VALU_DEP_3)
	v_sub_nc_u32_e32 v176, 0x78, v10
	v_cmp_gt_u32_e32 vcc_lo, 0x79, v10
	v_or_b32_e32 v182, 0x800000, v164
	s_delay_alu instid0(VALU_DEP_3) | instskip(SKIP_2) | instid1(VALU_DEP_3)
	v_cndmask_b32_e32 v176, 0, v176, vcc_lo
	v_cmp_eq_u32_e32 vcc_lo, 0, v10
	v_add_nc_u32_e32 v10, 0xffffff89, v10
	v_cndmask_b32_e64 v176, v176, 0x77, vcc_lo
	v_cndmask_b32_e32 v164, v182, v164, vcc_lo
	s_delay_alu instid0(VALU_DEP_3) | instskip(NEXT) | instid1(VALU_DEP_3)
	v_cndmask_b32_e64 v10, v10, 0xffffff8a, vcc_lo
	v_lshl_add_u32 v182, 0x100000, v176, -1
	s_delay_alu instid0(VALU_DEP_3) | instskip(SKIP_1) | instid1(VALU_DEP_4)
	v_lshrrev_b32_e32 v42, v176, v164
	v_lshlrev_b32_e64 v59, v176, 0x80000
	v_add_nc_u32_e32 v176, v176, v10
	s_delay_alu instid0(VALU_DEP_4) | instskip(NEXT) | instid1(VALU_DEP_4)
	v_and_b32_e32 v164, v182, v164
	v_bfe_u32 v56, v42, 20, 1
	s_delay_alu instid0(VALU_DEP_2) | instskip(NEXT) | instid1(VALU_DEP_2)
	v_cmp_eq_u32_e64 s11, v164, v59
	v_add_nc_u32_e32 v182, -1, v56
	s_delay_alu instid0(VALU_DEP_1) | instskip(SKIP_2) | instid1(VALU_DEP_2)
	v_cndmask_b32_e64 v164, 0, v182, s11
	v_lshrrev_b32_e32 v182, 23, v42
	s_mov_b32 s11, exec_lo
	v_add_nc_u32_e32 v164, v164, v42
	s_delay_alu instid0(VALU_DEP_2) | instskip(NEXT) | instid1(VALU_DEP_2)
	v_xor_b32_e32 v182, 1, v182
	v_and_b32_e32 v10, 0xfffff, v164
	s_delay_alu instid0(VALU_DEP_1) | instskip(NEXT) | instid1(VALU_DEP_3)
	v_add_nc_u32_e32 v164, v10, v42
                                        ; implicit-def: $vgpr10
	v_cmpx_ne_u32_e64 v176, v182
	s_xor_b32 s11, exec_lo, s11
; %bb.1746:                             ;   in Loop: Header=BB6_142 Depth=2
	s_delay_alu instid0(VALU_DEP_2) | instskip(SKIP_2) | instid1(VALU_DEP_2)
	v_cmp_lt_u32_e32 vcc_lo, 0xffffff, v164
	v_sub_nc_u32_e32 v10, v176, v182
	v_cndmask_b32_e64 v176, 0, 1, vcc_lo
	v_add_co_ci_u32_e32 v10, vcc_lo, 0, v10, vcc_lo
	s_delay_alu instid0(VALU_DEP_2)
	v_lshrrev_b32_e32 v164, v176, v164
; %bb.1747:                             ;   in Loop: Header=BB6_142 Depth=2
	s_and_not1_saveexec_b32 s11, s11
; %bb.1748:                             ;   in Loop: Header=BB6_142 Depth=2
	s_delay_alu instid0(VALU_DEP_1)
	v_bfe_u32 v10, v164, 23, 1
; %bb.1749:                             ;   in Loop: Header=BB6_142 Depth=2
	s_or_b32 exec_lo, exec_lo, s11
	v_lshrrev_b32_e32 v164, 20, v164
	s_delay_alu instid0(VALU_DEP_2) | instskip(SKIP_2) | instid1(VALU_DEP_2)
	v_cmp_gt_i32_e32 vcc_lo, 16, v10
	v_lshrrev_b32_e32 v145, 24, v145
	v_min_i32_e32 v176, 15, v10
	v_dual_cndmask_b32 v164, 7, v164 :: v_dual_and_b32 v145, 0x80, v145
	s_delay_alu instid0(VALU_DEP_2) | instskip(NEXT) | instid1(VALU_DEP_2)
	v_lshlrev_b32_e32 v176, 3, v176
	v_and_b32_e32 v182, 7, v164
	v_or_b32_e32 v10, v10, v164
	s_delay_alu instid0(VALU_DEP_2) | instskip(NEXT) | instid1(VALU_DEP_2)
	v_or3_b32 v145, v176, v145, v182
	v_cmp_ne_u32_e32 vcc_lo, 0, v10
	s_delay_alu instid0(VALU_DEP_2)
	v_cndmask_b32_e32 v10, 0, v145, vcc_lo
.LBB6_1750:                             ;   in Loop: Header=BB6_142 Depth=2
	s_or_b32 exec_lo, exec_lo, s26
.LBB6_1751:                             ;   in Loop: Header=BB6_142 Depth=2
	s_delay_alu instid0(SALU_CYCLE_1) | instskip(SKIP_3) | instid1(VALU_DEP_1)
	s_or_b32 exec_lo, exec_lo, s25
	v_or_b32_e32 v150, v150, v144
	s_mov_b32 s11, 0
	s_mov_b32 s26, exec_lo
                                        ; implicit-def: $sgpr25
	v_and_b32_e32 v145, 0xff, v150
	s_delay_alu instid0(VALU_DEP_1)
	v_cmpx_lt_i16_e64 0x7f, v145
	s_xor_b32 s26, exec_lo, s26
	s_cbranch_execnz .LBB6_2613
; %bb.1752:                             ;   in Loop: Header=BB6_142 Depth=2
	s_or_saveexec_b32 s26, s26
	v_mov_b32_e32 v144, s25
	s_xor_b32 exec_lo, exec_lo, s26
	s_cbranch_execnz .LBB6_2616
.LBB6_1753:                             ;   in Loop: Header=BB6_142 Depth=2
	s_or_b32 exec_lo, exec_lo, s26
	s_and_saveexec_b32 s25, s11
	s_cbranch_execz .LBB6_1755
.LBB6_1754:                             ;   in Loop: Header=BB6_142 Depth=2
	v_bfe_u32 v176, v150, 3, 4
	v_lshlrev_b32_e32 v182, 24, v150
	s_delay_alu instid0(VALU_DEP_2) | instskip(SKIP_1) | instid1(VALU_DEP_1)
	v_cmp_eq_u32_e32 vcc_lo, 0, v176
	v_and_b32_e32 v144, 7, v150
	v_clz_i32_u32_e32 v145, v144
	s_delay_alu instid0(VALU_DEP_1) | instskip(NEXT) | instid1(VALU_DEP_1)
	v_min_u32_e32 v145, 32, v145
	v_subrev_nc_u32_e32 v164, 28, v145
	v_sub_nc_u32_e32 v145, 29, v145
	s_delay_alu instid0(VALU_DEP_2) | instskip(NEXT) | instid1(VALU_DEP_1)
	v_lshlrev_b32_e32 v164, v164, v150
	v_dual_cndmask_b32 v145, v176, v145 :: v_dual_and_b32 v164, 7, v164
	s_delay_alu instid0(VALU_DEP_1) | instskip(NEXT) | instid1(VALU_DEP_2)
	v_lshl_add_u32 v145, v145, 23, 0x3b800000
	v_cndmask_b32_e32 v144, v144, v164, vcc_lo
	v_and_b32_e32 v164, 0x80000000, v182
	s_delay_alu instid0(VALU_DEP_2) | instskip(NEXT) | instid1(VALU_DEP_1)
	v_lshlrev_b32_e32 v144, 20, v144
	v_or3_b32 v144, v164, v145, v144
.LBB6_1755:                             ;   in Loop: Header=BB6_142 Depth=2
	s_or_b32 exec_lo, exec_lo, s25
	v_and_b32_e32 v164, 0xff, v11
	s_mov_b32 s11, 0
	s_mov_b32 s26, exec_lo
                                        ; implicit-def: $sgpr25
	s_delay_alu instid0(VALU_DEP_1)
	v_cmpx_lt_i16_e64 0x7f, v164
	s_xor_b32 s26, exec_lo, s26
	s_cbranch_execnz .LBB6_2617
; %bb.1756:                             ;   in Loop: Header=BB6_142 Depth=2
	s_or_saveexec_b32 s26, s26
	v_mov_b32_e32 v145, s25
	s_xor_b32 exec_lo, exec_lo, s26
	s_cbranch_execnz .LBB6_2620
.LBB6_1757:                             ;   in Loop: Header=BB6_142 Depth=2
	s_or_b32 exec_lo, exec_lo, s26
	s_and_saveexec_b32 s25, s11
	s_cbranch_execz .LBB6_1759
.LBB6_1758:                             ;   in Loop: Header=BB6_142 Depth=2
	v_bfe_u32 v182, v11, 3, 4
	s_delay_alu instid0(VALU_DEP_1) | instskip(SKIP_1) | instid1(VALU_DEP_1)
	v_cmp_eq_u32_e32 vcc_lo, 0, v182
	v_and_b32_e32 v145, 7, v11
	v_clz_i32_u32_e32 v164, v145
	s_delay_alu instid0(VALU_DEP_1) | instskip(NEXT) | instid1(VALU_DEP_1)
	v_min_u32_e32 v164, 32, v164
	v_subrev_nc_u32_e32 v176, 28, v164
	v_sub_nc_u32_e32 v164, 29, v164
	s_delay_alu instid0(VALU_DEP_2) | instskip(NEXT) | instid1(VALU_DEP_2)
	v_lshlrev_b32_e32 v176, v176, v11
	v_cndmask_b32_e32 v164, v182, v164, vcc_lo
	s_delay_alu instid0(VALU_DEP_2) | instskip(SKIP_1) | instid1(VALU_DEP_3)
	v_and_b32_e32 v176, 7, v176
	v_lshlrev_b32_e32 v42, 24, v11
	v_lshl_add_u32 v164, v164, 23, 0x3b800000
	s_delay_alu instid0(VALU_DEP_2) | instskip(NEXT) | instid1(VALU_DEP_1)
	v_dual_cndmask_b32 v145, v145, v176 :: v_dual_and_b32 v176, 0x80000000, v42
	v_lshlrev_b32_e32 v145, 20, v145
	s_delay_alu instid0(VALU_DEP_1)
	v_or3_b32 v145, v176, v164, v145
.LBB6_1759:                             ;   in Loop: Header=BB6_142 Depth=2
	s_or_b32 exec_lo, exec_lo, s25
	s_delay_alu instid0(VALU_DEP_1) | instskip(NEXT) | instid1(VALU_DEP_1)
	v_add_f32_e32 v145, v144, v145
	v_and_b32_e32 v144, 0x7f800000, v145
	s_delay_alu instid0(VALU_DEP_1)
	v_cmp_ne_u32_e32 vcc_lo, 0x7f800000, v144
	v_mov_b32_e32 v144, 0x80
	s_and_saveexec_b32 s25, vcc_lo
	s_cbranch_execz .LBB6_1767
; %bb.1760:                             ;   in Loop: Header=BB6_142 Depth=2
	v_mov_b32_e32 v144, 0
	s_mov_b32 s26, exec_lo
	v_cmpx_ne_u32_e32 0, v145
	s_cbranch_execz .LBB6_1766
; %bb.1761:                             ;   in Loop: Header=BB6_142 Depth=2
	v_bfe_u32 v144, v145, 23, 8
	v_and_b32_e32 v164, 0x7fffff, v145
	s_delay_alu instid0(VALU_DEP_2) | instskip(SKIP_1) | instid1(VALU_DEP_3)
	v_sub_nc_u32_e32 v176, 0x78, v144
	v_cmp_gt_u32_e32 vcc_lo, 0x79, v144
	v_or_b32_e32 v182, 0x800000, v164
	s_delay_alu instid0(VALU_DEP_3) | instskip(SKIP_2) | instid1(VALU_DEP_3)
	v_cndmask_b32_e32 v176, 0, v176, vcc_lo
	v_cmp_eq_u32_e32 vcc_lo, 0, v144
	v_add_nc_u32_e32 v144, 0xffffff89, v144
	v_cndmask_b32_e64 v176, v176, 0x77, vcc_lo
	v_cndmask_b32_e32 v164, v182, v164, vcc_lo
	s_delay_alu instid0(VALU_DEP_3) | instskip(NEXT) | instid1(VALU_DEP_3)
	v_cndmask_b32_e64 v144, v144, 0xffffff8a, vcc_lo
	v_lshl_add_u32 v182, 0x100000, v176, -1
	s_delay_alu instid0(VALU_DEP_3) | instskip(SKIP_1) | instid1(VALU_DEP_4)
	v_lshrrev_b32_e32 v42, v176, v164
	v_lshlrev_b32_e64 v59, v176, 0x80000
	v_add_nc_u32_e32 v176, v176, v144
	s_delay_alu instid0(VALU_DEP_4) | instskip(NEXT) | instid1(VALU_DEP_4)
	v_and_b32_e32 v164, v182, v164
	v_bfe_u32 v56, v42, 20, 1
	s_delay_alu instid0(VALU_DEP_2) | instskip(NEXT) | instid1(VALU_DEP_2)
	v_cmp_eq_u32_e64 s11, v164, v59
	v_add_nc_u32_e32 v182, -1, v56
	s_delay_alu instid0(VALU_DEP_1) | instskip(SKIP_2) | instid1(VALU_DEP_2)
	v_cndmask_b32_e64 v164, 0, v182, s11
	v_lshrrev_b32_e32 v182, 23, v42
	s_mov_b32 s11, exec_lo
	v_add_nc_u32_e32 v164, v164, v42
	s_delay_alu instid0(VALU_DEP_2) | instskip(NEXT) | instid1(VALU_DEP_2)
	v_xor_b32_e32 v182, 1, v182
	v_and_b32_e32 v144, 0xfffff, v164
	s_delay_alu instid0(VALU_DEP_1) | instskip(NEXT) | instid1(VALU_DEP_3)
	v_add_nc_u32_e32 v164, v144, v42
                                        ; implicit-def: $vgpr144
	v_cmpx_ne_u32_e64 v176, v182
	s_xor_b32 s11, exec_lo, s11
; %bb.1762:                             ;   in Loop: Header=BB6_142 Depth=2
	s_delay_alu instid0(VALU_DEP_2) | instskip(SKIP_2) | instid1(VALU_DEP_2)
	v_cmp_lt_u32_e32 vcc_lo, 0xffffff, v164
	v_sub_nc_u32_e32 v144, v176, v182
	v_cndmask_b32_e64 v176, 0, 1, vcc_lo
	v_add_co_ci_u32_e32 v144, vcc_lo, 0, v144, vcc_lo
	s_delay_alu instid0(VALU_DEP_2)
	v_lshrrev_b32_e32 v164, v176, v164
; %bb.1763:                             ;   in Loop: Header=BB6_142 Depth=2
	s_and_not1_saveexec_b32 s11, s11
; %bb.1764:                             ;   in Loop: Header=BB6_142 Depth=2
	s_delay_alu instid0(VALU_DEP_1)
	v_bfe_u32 v144, v164, 23, 1
; %bb.1765:                             ;   in Loop: Header=BB6_142 Depth=2
	s_or_b32 exec_lo, exec_lo, s11
	v_lshrrev_b32_e32 v164, 20, v164
	s_delay_alu instid0(VALU_DEP_2) | instskip(SKIP_2) | instid1(VALU_DEP_2)
	v_cmp_gt_i32_e32 vcc_lo, 16, v144
	v_lshrrev_b32_e32 v145, 24, v145
	v_min_i32_e32 v176, 15, v144
	v_dual_cndmask_b32 v164, 7, v164 :: v_dual_and_b32 v145, 0x80, v145
	s_delay_alu instid0(VALU_DEP_2) | instskip(NEXT) | instid1(VALU_DEP_2)
	v_lshlrev_b32_e32 v176, 3, v176
	v_and_b32_e32 v182, 7, v164
	v_or_b32_e32 v144, v144, v164
	s_delay_alu instid0(VALU_DEP_2) | instskip(NEXT) | instid1(VALU_DEP_2)
	v_or3_b32 v145, v176, v145, v182
	v_cmp_ne_u32_e32 vcc_lo, 0, v144
	s_delay_alu instid0(VALU_DEP_2)
	v_cndmask_b32_e32 v144, 0, v145, vcc_lo
.LBB6_1766:                             ;   in Loop: Header=BB6_142 Depth=2
	s_or_b32 exec_lo, exec_lo, s26
.LBB6_1767:                             ;   in Loop: Header=BB6_142 Depth=2
	s_delay_alu instid0(SALU_CYCLE_1) | instskip(SKIP_3) | instid1(VALU_DEP_1)
	s_or_b32 exec_lo, exec_lo, s25
	v_lshrrev_b16 v164, 8, v150
	s_mov_b32 s11, 0
	s_mov_b32 s26, exec_lo
                                        ; implicit-def: $sgpr25
	v_cmpx_lt_i16_e64 0x7f, v164
	s_xor_b32 s26, exec_lo, s26
	s_cbranch_execnz .LBB6_2621
; %bb.1768:                             ;   in Loop: Header=BB6_142 Depth=2
	s_or_saveexec_b32 s26, s26
	v_mov_b32_e32 v145, s25
	s_xor_b32 exec_lo, exec_lo, s26
	s_cbranch_execnz .LBB6_2624
.LBB6_1769:                             ;   in Loop: Header=BB6_142 Depth=2
	s_or_b32 exec_lo, exec_lo, s26
	s_and_saveexec_b32 s25, s11
	s_cbranch_execz .LBB6_1771
.LBB6_1770:                             ;   in Loop: Header=BB6_142 Depth=2
	v_and_b32_e32 v145, 0xffff, v164
	v_lshlrev_b32_e32 v164, 24, v164
	s_delay_alu instid0(VALU_DEP_2) | instskip(NEXT) | instid1(VALU_DEP_2)
	v_and_b32_e32 v176, 7, v145
	v_and_b32_e32 v164, 0x80000000, v164
	s_delay_alu instid0(VALU_DEP_2) | instskip(NEXT) | instid1(VALU_DEP_1)
	v_clz_i32_u32_e32 v182, v176
	v_min_u32_e32 v182, 32, v182
	s_delay_alu instid0(VALU_DEP_1) | instskip(SKIP_1) | instid1(VALU_DEP_2)
	v_subrev_nc_u32_e32 v42, 28, v182
	v_sub_nc_u32_e32 v182, 29, v182
	v_lshlrev_b32_e32 v42, v42, v145
	v_bfe_u32 v145, v145, 3, 4
	s_delay_alu instid0(VALU_DEP_2) | instskip(NEXT) | instid1(VALU_DEP_2)
	v_and_b32_e32 v42, 7, v42
	v_cmp_eq_u32_e32 vcc_lo, 0, v145
	v_cndmask_b32_e32 v145, v145, v182, vcc_lo
	s_delay_alu instid0(VALU_DEP_3) | instskip(NEXT) | instid1(VALU_DEP_2)
	v_cndmask_b32_e32 v176, v176, v42, vcc_lo
	v_lshl_add_u32 v145, v145, 23, 0x3b800000
	s_delay_alu instid0(VALU_DEP_2) | instskip(NEXT) | instid1(VALU_DEP_1)
	v_lshlrev_b32_e32 v176, 20, v176
	v_or3_b32 v145, v164, v145, v176
.LBB6_1771:                             ;   in Loop: Header=BB6_142 Depth=2
	s_or_b32 exec_lo, exec_lo, s25
	v_lshrrev_b16 v164, 8, v11
	s_mov_b32 s11, 0
	s_mov_b32 s26, exec_lo
                                        ; implicit-def: $sgpr25
	s_delay_alu instid0(VALU_DEP_1)
	v_cmpx_lt_i16_e64 0x7f, v164
	s_xor_b32 s26, exec_lo, s26
	s_cbranch_execnz .LBB6_2625
; %bb.1772:                             ;   in Loop: Header=BB6_142 Depth=2
	s_or_saveexec_b32 s26, s26
	v_mov_b32_e32 v176, s25
	s_xor_b32 exec_lo, exec_lo, s26
	s_cbranch_execnz .LBB6_2628
.LBB6_1773:                             ;   in Loop: Header=BB6_142 Depth=2
	s_or_b32 exec_lo, exec_lo, s26
	s_and_saveexec_b32 s25, s11
	s_cbranch_execz .LBB6_1775
.LBB6_1774:                             ;   in Loop: Header=BB6_142 Depth=2
	v_and_b32_e32 v176, 0xffff, v164
	v_lshlrev_b32_e32 v164, 24, v164
	s_delay_alu instid0(VALU_DEP_2) | instskip(NEXT) | instid1(VALU_DEP_2)
	v_and_b32_e32 v182, 7, v176
	v_and_b32_e32 v164, 0x80000000, v164
	s_delay_alu instid0(VALU_DEP_2) | instskip(NEXT) | instid1(VALU_DEP_1)
	v_clz_i32_u32_e32 v42, v182
	v_min_u32_e32 v42, 32, v42
	s_delay_alu instid0(VALU_DEP_1) | instskip(SKIP_1) | instid1(VALU_DEP_2)
	v_subrev_nc_u32_e32 v56, 28, v42
	v_sub_nc_u32_e32 v42, 29, v42
	v_lshlrev_b32_e32 v56, v56, v176
	v_bfe_u32 v176, v176, 3, 4
	s_delay_alu instid0(VALU_DEP_2) | instskip(NEXT) | instid1(VALU_DEP_2)
	v_and_b32_e32 v56, 7, v56
	v_cmp_eq_u32_e32 vcc_lo, 0, v176
	v_cndmask_b32_e32 v176, v176, v42, vcc_lo
	s_delay_alu instid0(VALU_DEP_3) | instskip(NEXT) | instid1(VALU_DEP_2)
	v_cndmask_b32_e32 v182, v182, v56, vcc_lo
	v_lshl_add_u32 v176, v176, 23, 0x3b800000
	s_delay_alu instid0(VALU_DEP_2) | instskip(NEXT) | instid1(VALU_DEP_1)
	v_lshlrev_b32_e32 v182, 20, v182
	v_or3_b32 v176, v164, v176, v182
.LBB6_1775:                             ;   in Loop: Header=BB6_142 Depth=2
	s_or_b32 exec_lo, exec_lo, s25
	s_delay_alu instid0(VALU_DEP_1) | instskip(NEXT) | instid1(VALU_DEP_1)
	v_add_f32_e32 v164, v145, v176
	v_and_b32_e32 v145, 0x7f800000, v164
	s_delay_alu instid0(VALU_DEP_1)
	v_cmp_ne_u32_e32 vcc_lo, 0x7f800000, v145
	v_mov_b32_e32 v145, 0x8000
	s_and_saveexec_b32 s25, vcc_lo
	s_cbranch_execz .LBB6_1783
; %bb.1776:                             ;   in Loop: Header=BB6_142 Depth=2
	v_mov_b32_e32 v145, 0
	s_mov_b32 s26, exec_lo
	v_cmpx_ne_u32_e32 0, v164
	s_cbranch_execz .LBB6_1782
; %bb.1777:                             ;   in Loop: Header=BB6_142 Depth=2
	v_bfe_u32 v145, v164, 23, 8
	v_and_b32_e32 v176, 0x7fffff, v164
	s_delay_alu instid0(VALU_DEP_2) | instskip(SKIP_1) | instid1(VALU_DEP_3)
	v_sub_nc_u32_e32 v182, 0x78, v145
	v_cmp_gt_u32_e32 vcc_lo, 0x79, v145
	v_or_b32_e32 v42, 0x800000, v176
	s_delay_alu instid0(VALU_DEP_3) | instskip(SKIP_2) | instid1(VALU_DEP_3)
	v_cndmask_b32_e32 v182, 0, v182, vcc_lo
	v_cmp_eq_u32_e32 vcc_lo, 0, v145
	v_add_nc_u32_e32 v145, 0xffffff89, v145
	v_cndmask_b32_e64 v182, v182, 0x77, vcc_lo
	v_cndmask_b32_e32 v176, v42, v176, vcc_lo
	s_delay_alu instid0(VALU_DEP_3) | instskip(NEXT) | instid1(VALU_DEP_3)
	v_cndmask_b32_e64 v145, v145, 0xffffff8a, vcc_lo
	v_lshl_add_u32 v42, 0x100000, v182, -1
	s_delay_alu instid0(VALU_DEP_3) | instskip(SKIP_1) | instid1(VALU_DEP_4)
	v_lshrrev_b32_e32 v56, v182, v176
	v_lshlrev_b32_e64 v74, v182, 0x80000
	v_add_nc_u32_e32 v182, v182, v145
	s_delay_alu instid0(VALU_DEP_4) | instskip(NEXT) | instid1(VALU_DEP_4)
	v_and_b32_e32 v176, v42, v176
	v_bfe_u32 v59, v56, 20, 1
	s_delay_alu instid0(VALU_DEP_2) | instskip(NEXT) | instid1(VALU_DEP_2)
	v_cmp_eq_u32_e64 s11, v176, v74
	v_add_nc_u32_e32 v42, -1, v59
	s_delay_alu instid0(VALU_DEP_1) | instskip(SKIP_2) | instid1(VALU_DEP_2)
	v_cndmask_b32_e64 v176, 0, v42, s11
	v_lshrrev_b32_e32 v42, 23, v56
	s_mov_b32 s11, exec_lo
	v_add_nc_u32_e32 v176, v176, v56
	s_delay_alu instid0(VALU_DEP_2) | instskip(NEXT) | instid1(VALU_DEP_2)
	v_xor_b32_e32 v42, 1, v42
	v_and_b32_e32 v145, 0xfffff, v176
	s_delay_alu instid0(VALU_DEP_1) | instskip(NEXT) | instid1(VALU_DEP_3)
	v_add_nc_u32_e32 v176, v145, v56
                                        ; implicit-def: $vgpr145
	v_cmpx_ne_u32_e64 v182, v42
	s_xor_b32 s11, exec_lo, s11
; %bb.1778:                             ;   in Loop: Header=BB6_142 Depth=2
	s_delay_alu instid0(VALU_DEP_2) | instskip(SKIP_2) | instid1(VALU_DEP_2)
	v_cmp_lt_u32_e32 vcc_lo, 0xffffff, v176
	v_sub_nc_u32_e32 v145, v182, v42
	v_cndmask_b32_e64 v182, 0, 1, vcc_lo
	v_add_co_ci_u32_e32 v145, vcc_lo, 0, v145, vcc_lo
	s_delay_alu instid0(VALU_DEP_2)
	v_lshrrev_b32_e32 v176, v182, v176
; %bb.1779:                             ;   in Loop: Header=BB6_142 Depth=2
	s_and_not1_saveexec_b32 s11, s11
; %bb.1780:                             ;   in Loop: Header=BB6_142 Depth=2
	s_delay_alu instid0(VALU_DEP_1)
	v_bfe_u32 v145, v176, 23, 1
; %bb.1781:                             ;   in Loop: Header=BB6_142 Depth=2
	s_or_b32 exec_lo, exec_lo, s11
	v_lshrrev_b32_e32 v176, 20, v176
	s_delay_alu instid0(VALU_DEP_2) | instskip(SKIP_2) | instid1(VALU_DEP_4)
	v_cmp_gt_i32_e32 vcc_lo, 16, v145
	v_min_i32_e32 v182, 15, v145
	v_lshrrev_b32_e32 v164, 24, v164
	v_cndmask_b32_e32 v176, 7, v176, vcc_lo
	s_delay_alu instid0(VALU_DEP_2) | instskip(NEXT) | instid1(VALU_DEP_2)
	v_and_b32_e32 v164, 0x80, v164
	v_or_b32_e32 v145, v145, v176
	v_and_b32_e32 v42, 7, v176
	s_delay_alu instid0(VALU_DEP_2) | instskip(SKIP_1) | instid1(VALU_DEP_1)
	v_cmp_ne_u32_e32 vcc_lo, 0, v145
	v_lshlrev_b32_e32 v182, 3, v182
	v_and_b32_e32 v182, 0xf8, v182
	s_delay_alu instid0(VALU_DEP_1) | instskip(NEXT) | instid1(VALU_DEP_1)
	v_or3_b32 v164, v164, v182, v42
	v_lshlrev_b32_e32 v164, 8, v164
	s_delay_alu instid0(VALU_DEP_1)
	v_cndmask_b32_e32 v145, 0, v164, vcc_lo
.LBB6_1782:                             ;   in Loop: Header=BB6_142 Depth=2
	s_or_b32 exec_lo, exec_lo, s26
.LBB6_1783:                             ;   in Loop: Header=BB6_142 Depth=2
	s_delay_alu instid0(SALU_CYCLE_1) | instskip(SKIP_3) | instid1(VALU_DEP_1)
	s_or_b32 exec_lo, exec_lo, s25
	v_or_b32_e32 v146, v146, v135
	s_mov_b32 s11, 0
	s_mov_b32 s26, exec_lo
                                        ; implicit-def: $sgpr25
	v_and_b32_e32 v164, 0xff, v146
	s_delay_alu instid0(VALU_DEP_1)
	v_cmpx_lt_i16_e64 0x7f, v164
	s_xor_b32 s26, exec_lo, s26
	s_cbranch_execnz .LBB6_2629
; %bb.1784:                             ;   in Loop: Header=BB6_142 Depth=2
	s_or_saveexec_b32 s26, s26
	v_mov_b32_e32 v135, s25
	s_xor_b32 exec_lo, exec_lo, s26
	s_cbranch_execnz .LBB6_2632
.LBB6_1785:                             ;   in Loop: Header=BB6_142 Depth=2
	s_or_b32 exec_lo, exec_lo, s26
	v_lshl_or_b32 v146, v146, 16, v150
	s_and_saveexec_b32 s25, s11
	s_cbranch_execz .LBB6_1787
.LBB6_1786:                             ;   in Loop: Header=BB6_142 Depth=2
	s_delay_alu instid0(VALU_DEP_1) | instskip(SKIP_1) | instid1(VALU_DEP_2)
	v_bfe_u32 v135, v146, 16, 3
	v_lshrrev_b32_e32 v164, 16, v146
	v_clz_i32_u32_e32 v150, v135
	s_delay_alu instid0(VALU_DEP_1) | instskip(NEXT) | instid1(VALU_DEP_1)
	v_min_u32_e32 v150, 32, v150
	v_subrev_nc_u32_e32 v176, 28, v150
	v_sub_nc_u32_e32 v150, 29, v150
	s_delay_alu instid0(VALU_DEP_2) | instskip(SKIP_1) | instid1(VALU_DEP_2)
	v_lshlrev_b32_e32 v164, v176, v164
	v_bfe_u32 v176, v146, 19, 4
	v_and_b32_e32 v164, 7, v164
	s_delay_alu instid0(VALU_DEP_2) | instskip(NEXT) | instid1(VALU_DEP_2)
	v_cmp_eq_u32_e32 vcc_lo, 0, v176
	v_dual_cndmask_b32 v135, v135, v164 :: v_dual_lshlrev_b32 v182, 8, v146
	v_cndmask_b32_e32 v150, v176, v150, vcc_lo
	s_delay_alu instid0(VALU_DEP_2) | instskip(NEXT) | instid1(VALU_DEP_3)
	v_and_b32_e32 v164, 0x80000000, v182
	v_lshlrev_b32_e32 v135, 20, v135
	s_delay_alu instid0(VALU_DEP_3) | instskip(NEXT) | instid1(VALU_DEP_1)
	v_lshl_add_u32 v150, v150, 23, 0x3b800000
	v_or3_b32 v135, v164, v150, v135
.LBB6_1787:                             ;   in Loop: Header=BB6_142 Depth=2
	s_or_b32 exec_lo, exec_lo, s25
	v_lshrrev_b32_e32 v150, 16, v11
	s_mov_b32 s11, 0
	s_mov_b32 s26, exec_lo
                                        ; implicit-def: $sgpr25
	s_delay_alu instid0(VALU_DEP_1) | instskip(NEXT) | instid1(VALU_DEP_1)
	v_and_b32_e32 v176, 0xff, v150
	v_cmpx_lt_i16_e64 0x7f, v176
	s_xor_b32 s26, exec_lo, s26
	s_cbranch_execnz .LBB6_2633
; %bb.1788:                             ;   in Loop: Header=BB6_142 Depth=2
	s_or_saveexec_b32 s26, s26
	v_mov_b32_e32 v164, s25
	s_xor_b32 exec_lo, exec_lo, s26
	s_cbranch_execnz .LBB6_2636
.LBB6_1789:                             ;   in Loop: Header=BB6_142 Depth=2
	s_or_b32 exec_lo, exec_lo, s26
	s_and_saveexec_b32 s25, s11
	s_cbranch_execz .LBB6_1791
.LBB6_1790:                             ;   in Loop: Header=BB6_142 Depth=2
	v_bfe_u32 v164, v11, 16, 3
	v_lshlrev_b32_e32 v42, 8, v11
	s_delay_alu instid0(VALU_DEP_2) | instskip(NEXT) | instid1(VALU_DEP_1)
	v_clz_i32_u32_e32 v176, v164
	v_min_u32_e32 v176, 32, v176
	s_delay_alu instid0(VALU_DEP_1) | instskip(SKIP_1) | instid1(VALU_DEP_2)
	v_subrev_nc_u32_e32 v182, 28, v176
	v_sub_nc_u32_e32 v176, 29, v176
	v_lshlrev_b32_e32 v150, v182, v150
	v_bfe_u32 v182, v11, 19, 4
	s_delay_alu instid0(VALU_DEP_2) | instskip(NEXT) | instid1(VALU_DEP_2)
	v_and_b32_e32 v150, 7, v150
	v_cmp_eq_u32_e32 vcc_lo, 0, v182
	v_cndmask_b32_e32 v176, v182, v176, vcc_lo
	s_delay_alu instid0(VALU_DEP_3) | instskip(SKIP_1) | instid1(VALU_DEP_3)
	v_cndmask_b32_e32 v150, v164, v150, vcc_lo
	v_and_b32_e32 v164, 0x80000000, v42
	v_lshl_add_u32 v176, v176, 23, 0x3b800000
	s_delay_alu instid0(VALU_DEP_3) | instskip(NEXT) | instid1(VALU_DEP_1)
	v_lshlrev_b32_e32 v150, 20, v150
	v_or3_b32 v164, v164, v176, v150
.LBB6_1791:                             ;   in Loop: Header=BB6_142 Depth=2
	s_or_b32 exec_lo, exec_lo, s25
	s_delay_alu instid0(VALU_DEP_1) | instskip(NEXT) | instid1(VALU_DEP_1)
	v_add_f32_e32 v150, v135, v164
	v_and_b32_e32 v135, 0x7f800000, v150
	s_delay_alu instid0(VALU_DEP_1)
	v_cmp_ne_u32_e32 vcc_lo, 0x7f800000, v135
	v_mov_b32_e32 v135, 0x80
	s_and_saveexec_b32 s25, vcc_lo
	s_cbranch_execz .LBB6_1799
; %bb.1792:                             ;   in Loop: Header=BB6_142 Depth=2
	v_mov_b32_e32 v135, 0
	s_mov_b32 s26, exec_lo
	v_cmpx_ne_u32_e32 0, v150
	s_cbranch_execz .LBB6_1798
; %bb.1793:                             ;   in Loop: Header=BB6_142 Depth=2
	v_bfe_u32 v135, v150, 23, 8
	v_and_b32_e32 v164, 0x7fffff, v150
	s_delay_alu instid0(VALU_DEP_2) | instskip(SKIP_1) | instid1(VALU_DEP_3)
	v_sub_nc_u32_e32 v176, 0x78, v135
	v_cmp_gt_u32_e32 vcc_lo, 0x79, v135
	v_or_b32_e32 v182, 0x800000, v164
	s_delay_alu instid0(VALU_DEP_3) | instskip(SKIP_2) | instid1(VALU_DEP_3)
	v_cndmask_b32_e32 v176, 0, v176, vcc_lo
	v_cmp_eq_u32_e32 vcc_lo, 0, v135
	v_add_nc_u32_e32 v135, 0xffffff89, v135
	v_cndmask_b32_e64 v176, v176, 0x77, vcc_lo
	v_cndmask_b32_e32 v164, v182, v164, vcc_lo
	s_delay_alu instid0(VALU_DEP_3) | instskip(NEXT) | instid1(VALU_DEP_3)
	v_cndmask_b32_e64 v135, v135, 0xffffff8a, vcc_lo
	v_lshl_add_u32 v182, 0x100000, v176, -1
	s_delay_alu instid0(VALU_DEP_3) | instskip(SKIP_1) | instid1(VALU_DEP_4)
	v_lshrrev_b32_e32 v42, v176, v164
	v_lshlrev_b32_e64 v59, v176, 0x80000
	v_add_nc_u32_e32 v176, v176, v135
	s_delay_alu instid0(VALU_DEP_4) | instskip(NEXT) | instid1(VALU_DEP_4)
	v_and_b32_e32 v164, v182, v164
	v_bfe_u32 v56, v42, 20, 1
	s_delay_alu instid0(VALU_DEP_2) | instskip(NEXT) | instid1(VALU_DEP_2)
	v_cmp_eq_u32_e64 s11, v164, v59
	v_add_nc_u32_e32 v182, -1, v56
	s_delay_alu instid0(VALU_DEP_1) | instskip(SKIP_2) | instid1(VALU_DEP_2)
	v_cndmask_b32_e64 v164, 0, v182, s11
	v_lshrrev_b32_e32 v182, 23, v42
	s_mov_b32 s11, exec_lo
	v_add_nc_u32_e32 v164, v164, v42
	s_delay_alu instid0(VALU_DEP_2) | instskip(NEXT) | instid1(VALU_DEP_2)
	v_xor_b32_e32 v182, 1, v182
	v_and_b32_e32 v135, 0xfffff, v164
	s_delay_alu instid0(VALU_DEP_1) | instskip(NEXT) | instid1(VALU_DEP_3)
	v_add_nc_u32_e32 v164, v135, v42
                                        ; implicit-def: $vgpr135
	v_cmpx_ne_u32_e64 v176, v182
	s_xor_b32 s11, exec_lo, s11
; %bb.1794:                             ;   in Loop: Header=BB6_142 Depth=2
	s_delay_alu instid0(VALU_DEP_2) | instskip(SKIP_2) | instid1(VALU_DEP_2)
	v_cmp_lt_u32_e32 vcc_lo, 0xffffff, v164
	v_sub_nc_u32_e32 v135, v176, v182
	v_cndmask_b32_e64 v176, 0, 1, vcc_lo
	v_add_co_ci_u32_e32 v135, vcc_lo, 0, v135, vcc_lo
	s_delay_alu instid0(VALU_DEP_2)
	v_lshrrev_b32_e32 v164, v176, v164
; %bb.1795:                             ;   in Loop: Header=BB6_142 Depth=2
	s_and_not1_saveexec_b32 s11, s11
; %bb.1796:                             ;   in Loop: Header=BB6_142 Depth=2
	s_delay_alu instid0(VALU_DEP_1)
	v_bfe_u32 v135, v164, 23, 1
; %bb.1797:                             ;   in Loop: Header=BB6_142 Depth=2
	s_or_b32 exec_lo, exec_lo, s11
	v_lshrrev_b32_e32 v164, 20, v164
	s_delay_alu instid0(VALU_DEP_2) | instskip(SKIP_2) | instid1(VALU_DEP_3)
	v_min_i32_e32 v176, 15, v135
	v_cmp_gt_i32_e32 vcc_lo, 16, v135
	v_lshrrev_b32_e32 v150, 24, v150
	v_lshlrev_b32_e32 v176, 3, v176
	v_cndmask_b32_e32 v164, 7, v164, vcc_lo
	s_delay_alu instid0(VALU_DEP_3) | instskip(NEXT) | instid1(VALU_DEP_3)
	v_and_b32_e32 v150, 0x80, v150
	v_and_b32_e32 v176, 0xf8, v176
	s_delay_alu instid0(VALU_DEP_3) | instskip(SKIP_1) | instid1(VALU_DEP_2)
	v_and_b32_e32 v182, 7, v164
	v_or_b32_e32 v135, v135, v164
	v_or3_b32 v150, v176, v150, v182
	s_delay_alu instid0(VALU_DEP_2) | instskip(NEXT) | instid1(VALU_DEP_2)
	v_cmp_ne_u32_e32 vcc_lo, 0, v135
	v_cndmask_b32_e32 v135, 0, v150, vcc_lo
.LBB6_1798:                             ;   in Loop: Header=BB6_142 Depth=2
	s_or_b32 exec_lo, exec_lo, s26
.LBB6_1799:                             ;   in Loop: Header=BB6_142 Depth=2
	s_delay_alu instid0(SALU_CYCLE_1) | instskip(SKIP_3) | instid1(VALU_DEP_1)
	s_or_b32 exec_lo, exec_lo, s25
	v_lshrrev_b32_e32 v164, 24, v146
	s_mov_b32 s11, 0
	s_mov_b32 s26, exec_lo
                                        ; implicit-def: $sgpr25
	v_cmpx_lt_i16_e64 0x7f, v164
	s_xor_b32 s26, exec_lo, s26
	s_cbranch_execnz .LBB6_2637
; %bb.1800:                             ;   in Loop: Header=BB6_142 Depth=2
	s_or_saveexec_b32 s26, s26
	v_mov_b32_e32 v150, s25
	s_xor_b32 exec_lo, exec_lo, s26
	s_cbranch_execnz .LBB6_2640
.LBB6_1801:                             ;   in Loop: Header=BB6_142 Depth=2
	s_or_b32 exec_lo, exec_lo, s26
	s_and_saveexec_b32 s25, s11
	s_cbranch_execz .LBB6_1803
.LBB6_1802:                             ;   in Loop: Header=BB6_142 Depth=2
	v_bfe_u32 v150, v146, 24, 3
	s_delay_alu instid0(VALU_DEP_1) | instskip(NEXT) | instid1(VALU_DEP_1)
	v_clz_i32_u32_e32 v176, v150
	v_min_u32_e32 v176, 32, v176
	s_delay_alu instid0(VALU_DEP_1) | instskip(SKIP_1) | instid1(VALU_DEP_2)
	v_subrev_nc_u32_e32 v182, 28, v176
	v_sub_nc_u32_e32 v176, 29, v176
	v_lshlrev_b32_e32 v164, v182, v164
	v_bfe_u32 v182, v146, 27, 4
	v_and_b32_e32 v146, 0x80000000, v146
	s_delay_alu instid0(VALU_DEP_3) | instskip(NEXT) | instid1(VALU_DEP_3)
	v_and_b32_e32 v164, 7, v164
	v_cmp_eq_u32_e32 vcc_lo, 0, v182
	v_cndmask_b32_e32 v176, v182, v176, vcc_lo
	s_delay_alu instid0(VALU_DEP_3) | instskip(NEXT) | instid1(VALU_DEP_2)
	v_cndmask_b32_e32 v150, v150, v164, vcc_lo
	v_lshl_add_u32 v164, v176, 23, 0x3b800000
	s_delay_alu instid0(VALU_DEP_2) | instskip(NEXT) | instid1(VALU_DEP_1)
	v_lshlrev_b32_e32 v150, 20, v150
	v_or3_b32 v150, v146, v164, v150
.LBB6_1803:                             ;   in Loop: Header=BB6_142 Depth=2
	s_or_b32 exec_lo, exec_lo, s25
	v_lshrrev_b32_e32 v146, 24, v11
	s_mov_b32 s11, 0
	s_mov_b32 s26, exec_lo
                                        ; implicit-def: $sgpr25
	s_delay_alu instid0(VALU_DEP_1)
	v_cmpx_lt_i16_e64 0x7f, v146
	s_xor_b32 s26, exec_lo, s26
	s_cbranch_execnz .LBB6_2641
; %bb.1804:                             ;   in Loop: Header=BB6_142 Depth=2
	s_or_saveexec_b32 s26, s26
	v_mov_b32_e32 v164, s25
	s_xor_b32 exec_lo, exec_lo, s26
	s_cbranch_execnz .LBB6_2644
.LBB6_1805:                             ;   in Loop: Header=BB6_142 Depth=2
	s_or_b32 exec_lo, exec_lo, s26
	s_and_saveexec_b32 s25, s11
	s_cbranch_execz .LBB6_1807
.LBB6_1806:                             ;   in Loop: Header=BB6_142 Depth=2
	v_bfe_u32 v164, v11, 24, 3
	s_delay_alu instid0(VALU_DEP_1) | instskip(NEXT) | instid1(VALU_DEP_1)
	v_clz_i32_u32_e32 v176, v164
	v_min_u32_e32 v176, 32, v176
	s_delay_alu instid0(VALU_DEP_1) | instskip(SKIP_1) | instid1(VALU_DEP_2)
	v_subrev_nc_u32_e32 v182, 28, v176
	v_sub_nc_u32_e32 v176, 29, v176
	v_lshlrev_b32_e32 v146, v182, v146
	v_bfe_u32 v182, v11, 27, 4
	v_and_b32_e32 v11, 0x80000000, v11
	s_delay_alu instid0(VALU_DEP_3) | instskip(NEXT) | instid1(VALU_DEP_3)
	v_and_b32_e32 v146, 7, v146
	v_cmp_eq_u32_e32 vcc_lo, 0, v182
	v_cndmask_b32_e32 v176, v182, v176, vcc_lo
	s_delay_alu instid0(VALU_DEP_3) | instskip(NEXT) | instid1(VALU_DEP_2)
	v_cndmask_b32_e32 v146, v164, v146, vcc_lo
	v_lshl_add_u32 v164, v176, 23, 0x3b800000
	s_delay_alu instid0(VALU_DEP_2) | instskip(NEXT) | instid1(VALU_DEP_1)
	v_lshlrev_b32_e32 v146, 20, v146
	v_or3_b32 v164, v11, v164, v146
.LBB6_1807:                             ;   in Loop: Header=BB6_142 Depth=2
	s_or_b32 exec_lo, exec_lo, s25
	s_delay_alu instid0(VALU_DEP_1) | instskip(NEXT) | instid1(VALU_DEP_1)
	v_add_f32_e32 v146, v150, v164
	v_and_b32_e32 v11, 0x7f800000, v146
	s_delay_alu instid0(VALU_DEP_1)
	v_cmp_ne_u32_e32 vcc_lo, 0x7f800000, v11
	v_mov_b32_e32 v11, 0x8000
	s_and_saveexec_b32 s25, vcc_lo
	s_cbranch_execz .LBB6_1815
; %bb.1808:                             ;   in Loop: Header=BB6_142 Depth=2
	v_mov_b32_e32 v11, 0
	s_mov_b32 s26, exec_lo
	v_cmpx_ne_u32_e32 0, v146
	s_cbranch_execz .LBB6_1814
; %bb.1809:                             ;   in Loop: Header=BB6_142 Depth=2
	v_bfe_u32 v11, v146, 23, 8
	v_and_b32_e32 v150, 0x7fffff, v146
	s_delay_alu instid0(VALU_DEP_2) | instskip(SKIP_1) | instid1(VALU_DEP_3)
	v_sub_nc_u32_e32 v164, 0x78, v11
	v_cmp_gt_u32_e32 vcc_lo, 0x79, v11
	v_or_b32_e32 v176, 0x800000, v150
	s_delay_alu instid0(VALU_DEP_3) | instskip(SKIP_2) | instid1(VALU_DEP_3)
	v_cndmask_b32_e32 v164, 0, v164, vcc_lo
	v_cmp_eq_u32_e32 vcc_lo, 0, v11
	v_add_nc_u32_e32 v11, 0xffffff89, v11
	v_cndmask_b32_e64 v164, v164, 0x77, vcc_lo
	v_cndmask_b32_e32 v150, v176, v150, vcc_lo
	s_delay_alu instid0(VALU_DEP_3) | instskip(NEXT) | instid1(VALU_DEP_3)
	v_cndmask_b32_e64 v11, v11, 0xffffff8a, vcc_lo
	v_lshl_add_u32 v176, 0x100000, v164, -1
	s_delay_alu instid0(VALU_DEP_3) | instskip(SKIP_1) | instid1(VALU_DEP_4)
	v_lshrrev_b32_e32 v182, v164, v150
	v_lshlrev_b32_e64 v56, v164, 0x80000
	v_add_nc_u32_e32 v164, v164, v11
	s_delay_alu instid0(VALU_DEP_4) | instskip(NEXT) | instid1(VALU_DEP_4)
	v_and_b32_e32 v150, v176, v150
	v_bfe_u32 v42, v182, 20, 1
	s_delay_alu instid0(VALU_DEP_2) | instskip(NEXT) | instid1(VALU_DEP_2)
	v_cmp_eq_u32_e64 s11, v150, v56
	v_add_nc_u32_e32 v176, -1, v42
	s_delay_alu instid0(VALU_DEP_1) | instskip(SKIP_2) | instid1(VALU_DEP_2)
	v_cndmask_b32_e64 v150, 0, v176, s11
	v_lshrrev_b32_e32 v176, 23, v182
	s_mov_b32 s11, exec_lo
	v_add_nc_u32_e32 v150, v150, v182
	s_delay_alu instid0(VALU_DEP_2) | instskip(NEXT) | instid1(VALU_DEP_2)
	v_xor_b32_e32 v176, 1, v176
	v_and_b32_e32 v11, 0xfffff, v150
	s_delay_alu instid0(VALU_DEP_1) | instskip(NEXT) | instid1(VALU_DEP_3)
	v_add_nc_u32_e32 v150, v11, v182
                                        ; implicit-def: $vgpr11
	v_cmpx_ne_u32_e64 v164, v176
	s_xor_b32 s11, exec_lo, s11
; %bb.1810:                             ;   in Loop: Header=BB6_142 Depth=2
	s_delay_alu instid0(VALU_DEP_2) | instskip(SKIP_2) | instid1(VALU_DEP_2)
	v_cmp_lt_u32_e32 vcc_lo, 0xffffff, v150
	v_sub_nc_u32_e32 v11, v164, v176
	v_cndmask_b32_e64 v164, 0, 1, vcc_lo
	v_add_co_ci_u32_e32 v11, vcc_lo, 0, v11, vcc_lo
	s_delay_alu instid0(VALU_DEP_2)
	v_lshrrev_b32_e32 v150, v164, v150
; %bb.1811:                             ;   in Loop: Header=BB6_142 Depth=2
	s_and_not1_saveexec_b32 s11, s11
; %bb.1812:                             ;   in Loop: Header=BB6_142 Depth=2
	s_delay_alu instid0(VALU_DEP_1)
	v_bfe_u32 v11, v150, 23, 1
; %bb.1813:                             ;   in Loop: Header=BB6_142 Depth=2
	s_or_b32 exec_lo, exec_lo, s11
	v_lshrrev_b32_e32 v150, 20, v150
	s_delay_alu instid0(VALU_DEP_2) | instskip(SKIP_2) | instid1(VALU_DEP_4)
	v_cmp_gt_i32_e32 vcc_lo, 16, v11
	v_min_i32_e32 v164, 15, v11
	v_lshrrev_b32_e32 v146, 24, v146
	v_cndmask_b32_e32 v150, 7, v150, vcc_lo
	s_delay_alu instid0(VALU_DEP_2) | instskip(NEXT) | instid1(VALU_DEP_2)
	v_and_b32_e32 v146, 0x80, v146
	v_or_b32_e32 v11, v11, v150
	v_and_b32_e32 v176, 7, v150
	s_delay_alu instid0(VALU_DEP_2) | instskip(SKIP_1) | instid1(VALU_DEP_1)
	v_cmp_ne_u32_e32 vcc_lo, 0, v11
	v_lshlrev_b32_e32 v164, 3, v164
	v_and_b32_e32 v164, 0xf8, v164
	s_delay_alu instid0(VALU_DEP_1) | instskip(NEXT) | instid1(VALU_DEP_1)
	v_or3_b32 v146, v146, v164, v176
	v_lshlrev_b32_e32 v146, 8, v146
	s_delay_alu instid0(VALU_DEP_1)
	v_cndmask_b32_e32 v11, 0, v146, vcc_lo
.LBB6_1814:                             ;   in Loop: Header=BB6_142 Depth=2
	s_or_b32 exec_lo, exec_lo, s26
.LBB6_1815:                             ;   in Loop: Header=BB6_142 Depth=2
	s_delay_alu instid0(SALU_CYCLE_1) | instskip(SKIP_3) | instid1(VALU_DEP_1)
	s_or_b32 exec_lo, exec_lo, s25
	v_and_b32_e32 v150, 0xff, v134
	s_mov_b32 s11, 0
	s_mov_b32 s26, exec_lo
                                        ; implicit-def: $sgpr25
	v_cmpx_lt_i16_e64 0x7f, v150
	s_xor_b32 s26, exec_lo, s26
	s_cbranch_execnz .LBB6_2645
; %bb.1816:                             ;   in Loop: Header=BB6_142 Depth=2
	s_or_saveexec_b32 s26, s26
	v_mov_b32_e32 v146, s25
	s_xor_b32 exec_lo, exec_lo, s26
	s_cbranch_execnz .LBB6_2648
.LBB6_1817:                             ;   in Loop: Header=BB6_142 Depth=2
	s_or_b32 exec_lo, exec_lo, s26
	s_and_saveexec_b32 s25, s11
	s_cbranch_execz .LBB6_1819
.LBB6_1818:                             ;   in Loop: Header=BB6_142 Depth=2
	v_and_b32_e32 v146, 7, v134
	v_bfe_u32 v176, v134, 3, 4
	s_delay_alu instid0(VALU_DEP_2) | instskip(NEXT) | instid1(VALU_DEP_2)
	v_clz_i32_u32_e32 v150, v146
	v_cmp_eq_u32_e32 vcc_lo, 0, v176
	s_delay_alu instid0(VALU_DEP_2) | instskip(NEXT) | instid1(VALU_DEP_1)
	v_min_u32_e32 v150, 32, v150
	v_subrev_nc_u32_e32 v164, 28, v150
	v_sub_nc_u32_e32 v150, 29, v150
	s_delay_alu instid0(VALU_DEP_2) | instskip(SKIP_1) | instid1(VALU_DEP_3)
	v_lshlrev_b32_e32 v164, v164, v134
	v_lshlrev_b32_e32 v134, 24, v134
	v_cndmask_b32_e32 v150, v176, v150, vcc_lo
	s_delay_alu instid0(VALU_DEP_3) | instskip(NEXT) | instid1(VALU_DEP_3)
	v_and_b32_e32 v164, 7, v164
	v_and_b32_e32 v134, 0x80000000, v134
	s_delay_alu instid0(VALU_DEP_3) | instskip(NEXT) | instid1(VALU_DEP_3)
	v_lshl_add_u32 v150, v150, 23, 0x3b800000
	v_cndmask_b32_e32 v146, v146, v164, vcc_lo
	s_delay_alu instid0(VALU_DEP_1) | instskip(NEXT) | instid1(VALU_DEP_1)
	v_lshlrev_b32_e32 v146, 20, v146
	v_or3_b32 v146, v134, v150, v146
.LBB6_1819:                             ;   in Loop: Header=BB6_142 Depth=2
	s_or_b32 exec_lo, exec_lo, s25
	v_and_b32_e32 v150, 0xff, v12
	s_mov_b32 s11, 0
	s_mov_b32 s26, exec_lo
                                        ; implicit-def: $sgpr25
	s_delay_alu instid0(VALU_DEP_1)
	v_cmpx_lt_i16_e64 0x7f, v150
	s_xor_b32 s26, exec_lo, s26
	s_cbranch_execnz .LBB6_2649
; %bb.1820:                             ;   in Loop: Header=BB6_142 Depth=2
	s_or_saveexec_b32 s26, s26
	v_mov_b32_e32 v134, s25
	s_xor_b32 exec_lo, exec_lo, s26
	s_cbranch_execnz .LBB6_2652
.LBB6_1821:                             ;   in Loop: Header=BB6_142 Depth=2
	s_or_b32 exec_lo, exec_lo, s26
	s_and_saveexec_b32 s25, s11
	s_cbranch_execz .LBB6_1823
.LBB6_1822:                             ;   in Loop: Header=BB6_142 Depth=2
	v_and_b32_e32 v134, 7, v12
	v_bfe_u32 v176, v12, 3, 4
	v_lshlrev_b32_e32 v182, 24, v12
	s_delay_alu instid0(VALU_DEP_3) | instskip(NEXT) | instid1(VALU_DEP_3)
	v_clz_i32_u32_e32 v150, v134
	v_cmp_eq_u32_e32 vcc_lo, 0, v176
	s_delay_alu instid0(VALU_DEP_2) | instskip(NEXT) | instid1(VALU_DEP_1)
	v_min_u32_e32 v150, 32, v150
	v_subrev_nc_u32_e32 v164, 28, v150
	v_sub_nc_u32_e32 v150, 29, v150
	s_delay_alu instid0(VALU_DEP_2) | instskip(NEXT) | instid1(VALU_DEP_2)
	v_lshlrev_b32_e32 v164, v164, v12
	v_cndmask_b32_e32 v150, v176, v150, vcc_lo
	s_delay_alu instid0(VALU_DEP_2) | instskip(NEXT) | instid1(VALU_DEP_2)
	v_and_b32_e32 v164, 7, v164
	v_lshl_add_u32 v150, v150, 23, 0x3b800000
	s_delay_alu instid0(VALU_DEP_2) | instskip(SKIP_1) | instid1(VALU_DEP_2)
	v_cndmask_b32_e32 v134, v134, v164, vcc_lo
	v_and_b32_e32 v164, 0x80000000, v182
	v_lshlrev_b32_e32 v134, 20, v134
	s_delay_alu instid0(VALU_DEP_1)
	v_or3_b32 v134, v164, v150, v134
.LBB6_1823:                             ;   in Loop: Header=BB6_142 Depth=2
	s_or_b32 exec_lo, exec_lo, s25
	s_delay_alu instid0(VALU_DEP_1) | instskip(NEXT) | instid1(VALU_DEP_1)
	v_add_f32_e32 v146, v146, v134
	v_and_b32_e32 v134, 0x7f800000, v146
	s_delay_alu instid0(VALU_DEP_1)
	v_cmp_ne_u32_e32 vcc_lo, 0x7f800000, v134
	v_mov_b32_e32 v134, 0x80
	s_and_saveexec_b32 s25, vcc_lo
	s_cbranch_execz .LBB6_1831
; %bb.1824:                             ;   in Loop: Header=BB6_142 Depth=2
	v_mov_b32_e32 v134, 0
	s_mov_b32 s26, exec_lo
	v_cmpx_ne_u32_e32 0, v146
	s_cbranch_execz .LBB6_1830
; %bb.1825:                             ;   in Loop: Header=BB6_142 Depth=2
	v_bfe_u32 v134, v146, 23, 8
	v_and_b32_e32 v150, 0x7fffff, v146
	s_delay_alu instid0(VALU_DEP_2) | instskip(SKIP_1) | instid1(VALU_DEP_3)
	v_sub_nc_u32_e32 v164, 0x78, v134
	v_cmp_gt_u32_e32 vcc_lo, 0x79, v134
	v_or_b32_e32 v176, 0x800000, v150
	s_delay_alu instid0(VALU_DEP_3) | instskip(SKIP_2) | instid1(VALU_DEP_3)
	v_cndmask_b32_e32 v164, 0, v164, vcc_lo
	v_cmp_eq_u32_e32 vcc_lo, 0, v134
	v_add_nc_u32_e32 v134, 0xffffff89, v134
	v_cndmask_b32_e64 v164, v164, 0x77, vcc_lo
	v_cndmask_b32_e32 v150, v176, v150, vcc_lo
	s_delay_alu instid0(VALU_DEP_3) | instskip(NEXT) | instid1(VALU_DEP_3)
	v_cndmask_b32_e64 v134, v134, 0xffffff8a, vcc_lo
	v_lshl_add_u32 v176, 0x100000, v164, -1
	s_delay_alu instid0(VALU_DEP_3) | instskip(SKIP_1) | instid1(VALU_DEP_4)
	v_lshrrev_b32_e32 v182, v164, v150
	v_lshlrev_b32_e64 v56, v164, 0x80000
	v_add_nc_u32_e32 v164, v164, v134
	s_delay_alu instid0(VALU_DEP_4) | instskip(NEXT) | instid1(VALU_DEP_4)
	v_and_b32_e32 v150, v176, v150
	v_bfe_u32 v42, v182, 20, 1
	s_delay_alu instid0(VALU_DEP_2) | instskip(NEXT) | instid1(VALU_DEP_2)
	v_cmp_eq_u32_e64 s11, v150, v56
	v_add_nc_u32_e32 v176, -1, v42
	s_delay_alu instid0(VALU_DEP_1) | instskip(SKIP_2) | instid1(VALU_DEP_2)
	v_cndmask_b32_e64 v150, 0, v176, s11
	v_lshrrev_b32_e32 v176, 23, v182
	s_mov_b32 s11, exec_lo
	v_add_nc_u32_e32 v150, v150, v182
	s_delay_alu instid0(VALU_DEP_2) | instskip(NEXT) | instid1(VALU_DEP_2)
	v_xor_b32_e32 v176, 1, v176
	v_and_b32_e32 v134, 0xfffff, v150
	s_delay_alu instid0(VALU_DEP_1) | instskip(NEXT) | instid1(VALU_DEP_3)
	v_add_nc_u32_e32 v150, v134, v182
                                        ; implicit-def: $vgpr134
	v_cmpx_ne_u32_e64 v164, v176
	s_xor_b32 s11, exec_lo, s11
; %bb.1826:                             ;   in Loop: Header=BB6_142 Depth=2
	s_delay_alu instid0(VALU_DEP_2) | instskip(SKIP_2) | instid1(VALU_DEP_2)
	v_cmp_lt_u32_e32 vcc_lo, 0xffffff, v150
	v_sub_nc_u32_e32 v134, v164, v176
	v_cndmask_b32_e64 v164, 0, 1, vcc_lo
	v_add_co_ci_u32_e32 v134, vcc_lo, 0, v134, vcc_lo
	s_delay_alu instid0(VALU_DEP_2)
	v_lshrrev_b32_e32 v150, v164, v150
; %bb.1827:                             ;   in Loop: Header=BB6_142 Depth=2
	s_and_not1_saveexec_b32 s11, s11
; %bb.1828:                             ;   in Loop: Header=BB6_142 Depth=2
	s_delay_alu instid0(VALU_DEP_1)
	v_bfe_u32 v134, v150, 23, 1
; %bb.1829:                             ;   in Loop: Header=BB6_142 Depth=2
	s_or_b32 exec_lo, exec_lo, s11
	v_lshrrev_b32_e32 v150, 20, v150
	s_delay_alu instid0(VALU_DEP_2) | instskip(SKIP_2) | instid1(VALU_DEP_4)
	v_cmp_gt_i32_e32 vcc_lo, 16, v134
	v_lshrrev_b32_e32 v146, 24, v146
	v_min_i32_e32 v164, 15, v134
	v_cndmask_b32_e32 v150, 7, v150, vcc_lo
	s_delay_alu instid0(VALU_DEP_3) | instskip(NEXT) | instid1(VALU_DEP_3)
	v_and_b32_e32 v146, 0x80, v146
	v_lshlrev_b32_e32 v164, 3, v164
	s_delay_alu instid0(VALU_DEP_3) | instskip(SKIP_1) | instid1(VALU_DEP_2)
	v_and_b32_e32 v176, 7, v150
	v_or_b32_e32 v134, v134, v150
	v_or3_b32 v146, v164, v146, v176
	s_delay_alu instid0(VALU_DEP_2) | instskip(NEXT) | instid1(VALU_DEP_2)
	v_cmp_ne_u32_e32 vcc_lo, 0, v134
	v_cndmask_b32_e32 v134, 0, v146, vcc_lo
.LBB6_1830:                             ;   in Loop: Header=BB6_142 Depth=2
	s_or_b32 exec_lo, exec_lo, s26
.LBB6_1831:                             ;   in Loop: Header=BB6_142 Depth=2
	s_delay_alu instid0(SALU_CYCLE_1) | instskip(SKIP_3) | instid1(VALU_DEP_1)
	s_or_b32 exec_lo, exec_lo, s25
	v_and_b32_e32 v150, 0xff, v131
	s_mov_b32 s11, 0
	s_mov_b32 s26, exec_lo
                                        ; implicit-def: $sgpr25
	v_cmpx_lt_i16_e64 0x7f, v150
	s_xor_b32 s26, exec_lo, s26
	s_cbranch_execnz .LBB6_2653
; %bb.1832:                             ;   in Loop: Header=BB6_142 Depth=2
	s_or_saveexec_b32 s26, s26
	v_mov_b32_e32 v146, s25
	s_xor_b32 exec_lo, exec_lo, s26
	s_cbranch_execnz .LBB6_2656
.LBB6_1833:                             ;   in Loop: Header=BB6_142 Depth=2
	s_or_b32 exec_lo, exec_lo, s26
	s_and_saveexec_b32 s25, s11
	s_cbranch_execz .LBB6_1835
.LBB6_1834:                             ;   in Loop: Header=BB6_142 Depth=2
	v_and_b32_e32 v146, 7, v131
	v_bfe_u32 v176, v131, 3, 4
	s_delay_alu instid0(VALU_DEP_2) | instskip(NEXT) | instid1(VALU_DEP_2)
	v_clz_i32_u32_e32 v150, v146
	v_cmp_eq_u32_e32 vcc_lo, 0, v176
	s_delay_alu instid0(VALU_DEP_2) | instskip(NEXT) | instid1(VALU_DEP_1)
	v_min_u32_e32 v150, 32, v150
	v_subrev_nc_u32_e32 v164, 28, v150
	v_sub_nc_u32_e32 v150, 29, v150
	s_delay_alu instid0(VALU_DEP_2) | instskip(NEXT) | instid1(VALU_DEP_2)
	v_lshlrev_b32_e32 v164, v164, v131
	v_dual_cndmask_b32 v150, v176, v150 :: v_dual_lshlrev_b32 v131, 24, v131
	s_delay_alu instid0(VALU_DEP_2) | instskip(NEXT) | instid1(VALU_DEP_2)
	v_and_b32_e32 v164, 7, v164
	v_and_b32_e32 v131, 0x80000000, v131
	s_delay_alu instid0(VALU_DEP_3) | instskip(NEXT) | instid1(VALU_DEP_3)
	v_lshl_add_u32 v150, v150, 23, 0x3b800000
	v_cndmask_b32_e32 v146, v146, v164, vcc_lo
	s_delay_alu instid0(VALU_DEP_1) | instskip(NEXT) | instid1(VALU_DEP_1)
	v_lshlrev_b32_e32 v146, 20, v146
	v_or3_b32 v146, v131, v150, v146
.LBB6_1835:                             ;   in Loop: Header=BB6_142 Depth=2
	s_or_b32 exec_lo, exec_lo, s25
	v_lshrrev_b16 v131, 8, v12
	s_mov_b32 s11, 0
	s_mov_b32 s26, exec_lo
                                        ; implicit-def: $sgpr25
	s_delay_alu instid0(VALU_DEP_1)
	v_cmpx_lt_i16_e64 0x7f, v131
	s_xor_b32 s26, exec_lo, s26
	s_cbranch_execnz .LBB6_2657
; %bb.1836:                             ;   in Loop: Header=BB6_142 Depth=2
	s_or_saveexec_b32 s26, s26
	v_mov_b32_e32 v150, s25
	s_xor_b32 exec_lo, exec_lo, s26
	s_cbranch_execnz .LBB6_2660
.LBB6_1837:                             ;   in Loop: Header=BB6_142 Depth=2
	s_or_b32 exec_lo, exec_lo, s26
	s_and_saveexec_b32 s25, s11
	s_cbranch_execz .LBB6_1839
.LBB6_1838:                             ;   in Loop: Header=BB6_142 Depth=2
	v_and_b32_e32 v150, 0xffff, v131
	s_delay_alu instid0(VALU_DEP_1) | instskip(NEXT) | instid1(VALU_DEP_1)
	v_and_b32_e32 v164, 7, v150
	v_clz_i32_u32_e32 v176, v164
	s_delay_alu instid0(VALU_DEP_1) | instskip(NEXT) | instid1(VALU_DEP_1)
	v_min_u32_e32 v176, 32, v176
	v_subrev_nc_u32_e32 v182, 28, v176
	v_sub_nc_u32_e32 v176, 29, v176
	s_delay_alu instid0(VALU_DEP_2) | instskip(SKIP_1) | instid1(VALU_DEP_2)
	v_lshlrev_b32_e32 v182, v182, v150
	v_bfe_u32 v150, v150, 3, 4
	v_and_b32_e32 v182, 7, v182
	s_delay_alu instid0(VALU_DEP_2) | instskip(SKIP_1) | instid1(VALU_DEP_1)
	v_cmp_eq_u32_e32 vcc_lo, 0, v150
	v_dual_cndmask_b32 v150, v150, v176 :: v_dual_lshlrev_b32 v131, 24, v131
	v_dual_cndmask_b32 v164, v164, v182 :: v_dual_and_b32 v131, 0x80000000, v131
	s_delay_alu instid0(VALU_DEP_2) | instskip(NEXT) | instid1(VALU_DEP_2)
	v_lshl_add_u32 v150, v150, 23, 0x3b800000
	v_lshlrev_b32_e32 v164, 20, v164
	s_delay_alu instid0(VALU_DEP_1)
	v_or3_b32 v150, v131, v150, v164
.LBB6_1839:                             ;   in Loop: Header=BB6_142 Depth=2
	s_or_b32 exec_lo, exec_lo, s25
	s_delay_alu instid0(VALU_DEP_1) | instskip(NEXT) | instid1(VALU_DEP_1)
	v_add_f32_e32 v146, v146, v150
	v_and_b32_e32 v131, 0x7f800000, v146
	s_delay_alu instid0(VALU_DEP_1)
	v_cmp_ne_u32_e32 vcc_lo, 0x7f800000, v131
	v_mov_b32_e32 v131, 0x80
	s_and_saveexec_b32 s25, vcc_lo
	s_cbranch_execz .LBB6_1847
; %bb.1840:                             ;   in Loop: Header=BB6_142 Depth=2
	v_mov_b32_e32 v131, 0
	s_mov_b32 s26, exec_lo
	v_cmpx_ne_u32_e32 0, v146
	s_cbranch_execz .LBB6_1846
; %bb.1841:                             ;   in Loop: Header=BB6_142 Depth=2
	v_bfe_u32 v131, v146, 23, 8
	v_and_b32_e32 v150, 0x7fffff, v146
	s_delay_alu instid0(VALU_DEP_2) | instskip(SKIP_1) | instid1(VALU_DEP_3)
	v_sub_nc_u32_e32 v164, 0x78, v131
	v_cmp_gt_u32_e32 vcc_lo, 0x79, v131
	v_or_b32_e32 v176, 0x800000, v150
	s_delay_alu instid0(VALU_DEP_3) | instskip(SKIP_2) | instid1(VALU_DEP_3)
	v_cndmask_b32_e32 v164, 0, v164, vcc_lo
	v_cmp_eq_u32_e32 vcc_lo, 0, v131
	v_add_nc_u32_e32 v131, 0xffffff89, v131
	v_cndmask_b32_e64 v164, v164, 0x77, vcc_lo
	v_cndmask_b32_e32 v150, v176, v150, vcc_lo
	s_delay_alu instid0(VALU_DEP_3) | instskip(NEXT) | instid1(VALU_DEP_3)
	v_cndmask_b32_e64 v131, v131, 0xffffff8a, vcc_lo
	v_lshl_add_u32 v176, 0x100000, v164, -1
	s_delay_alu instid0(VALU_DEP_3) | instskip(SKIP_1) | instid1(VALU_DEP_4)
	v_lshrrev_b32_e32 v182, v164, v150
	v_lshlrev_b32_e64 v56, v164, 0x80000
	v_add_nc_u32_e32 v164, v164, v131
	s_delay_alu instid0(VALU_DEP_4) | instskip(NEXT) | instid1(VALU_DEP_4)
	v_and_b32_e32 v150, v176, v150
	v_bfe_u32 v42, v182, 20, 1
	s_delay_alu instid0(VALU_DEP_2) | instskip(NEXT) | instid1(VALU_DEP_2)
	v_cmp_eq_u32_e64 s11, v150, v56
	v_add_nc_u32_e32 v176, -1, v42
	s_delay_alu instid0(VALU_DEP_1) | instskip(SKIP_2) | instid1(VALU_DEP_2)
	v_cndmask_b32_e64 v150, 0, v176, s11
	v_lshrrev_b32_e32 v176, 23, v182
	s_mov_b32 s11, exec_lo
	v_add_nc_u32_e32 v150, v150, v182
	s_delay_alu instid0(VALU_DEP_2) | instskip(NEXT) | instid1(VALU_DEP_2)
	v_xor_b32_e32 v176, 1, v176
	v_and_b32_e32 v131, 0xfffff, v150
	s_delay_alu instid0(VALU_DEP_1) | instskip(NEXT) | instid1(VALU_DEP_3)
	v_add_nc_u32_e32 v150, v131, v182
                                        ; implicit-def: $vgpr131
	v_cmpx_ne_u32_e64 v164, v176
	s_xor_b32 s11, exec_lo, s11
; %bb.1842:                             ;   in Loop: Header=BB6_142 Depth=2
	s_delay_alu instid0(VALU_DEP_2) | instskip(SKIP_2) | instid1(VALU_DEP_2)
	v_cmp_lt_u32_e32 vcc_lo, 0xffffff, v150
	v_sub_nc_u32_e32 v131, v164, v176
	v_cndmask_b32_e64 v164, 0, 1, vcc_lo
	v_add_co_ci_u32_e32 v131, vcc_lo, 0, v131, vcc_lo
	s_delay_alu instid0(VALU_DEP_2)
	v_lshrrev_b32_e32 v150, v164, v150
; %bb.1843:                             ;   in Loop: Header=BB6_142 Depth=2
	s_and_not1_saveexec_b32 s11, s11
; %bb.1844:                             ;   in Loop: Header=BB6_142 Depth=2
	s_delay_alu instid0(VALU_DEP_1)
	v_bfe_u32 v131, v150, 23, 1
; %bb.1845:                             ;   in Loop: Header=BB6_142 Depth=2
	s_or_b32 exec_lo, exec_lo, s11
	v_lshrrev_b32_e32 v150, 20, v150
	s_delay_alu instid0(VALU_DEP_2) | instskip(SKIP_2) | instid1(VALU_DEP_4)
	v_cmp_gt_i32_e32 vcc_lo, 16, v131
	v_lshrrev_b32_e32 v146, 24, v146
	v_min_i32_e32 v164, 15, v131
	v_cndmask_b32_e32 v150, 7, v150, vcc_lo
	s_delay_alu instid0(VALU_DEP_3) | instskip(NEXT) | instid1(VALU_DEP_2)
	v_and_b32_e32 v146, 0x80, v146
	v_or_b32_e32 v131, v131, v150
	v_and_b32_e32 v176, 7, v150
	s_delay_alu instid0(VALU_DEP_2) | instskip(SKIP_1) | instid1(VALU_DEP_1)
	v_cmp_ne_u32_e32 vcc_lo, 0, v131
	v_lshlrev_b32_e32 v164, 3, v164
	v_or3_b32 v146, v164, v146, v176
	s_delay_alu instid0(VALU_DEP_1)
	v_cndmask_b32_e32 v131, 0, v146, vcc_lo
.LBB6_1846:                             ;   in Loop: Header=BB6_142 Depth=2
	s_or_b32 exec_lo, exec_lo, s26
.LBB6_1847:                             ;   in Loop: Header=BB6_142 Depth=2
	s_delay_alu instid0(SALU_CYCLE_1) | instskip(SKIP_3) | instid1(VALU_DEP_1)
	s_or_b32 exec_lo, exec_lo, s25
	v_and_b32_e32 v150, 0xff, v130
	s_mov_b32 s11, 0
	s_mov_b32 s26, exec_lo
                                        ; implicit-def: $sgpr25
	v_cmpx_lt_i16_e64 0x7f, v150
	s_xor_b32 s26, exec_lo, s26
	s_cbranch_execnz .LBB6_2661
; %bb.1848:                             ;   in Loop: Header=BB6_142 Depth=2
	s_or_saveexec_b32 s26, s26
	v_mov_b32_e32 v146, s25
	s_xor_b32 exec_lo, exec_lo, s26
	s_cbranch_execnz .LBB6_2664
.LBB6_1849:                             ;   in Loop: Header=BB6_142 Depth=2
	s_or_b32 exec_lo, exec_lo, s26
	s_and_saveexec_b32 s25, s11
	s_cbranch_execz .LBB6_1851
.LBB6_1850:                             ;   in Loop: Header=BB6_142 Depth=2
	v_and_b32_e32 v146, 7, v130
	v_bfe_u32 v176, v130, 3, 4
	s_delay_alu instid0(VALU_DEP_2) | instskip(NEXT) | instid1(VALU_DEP_2)
	v_clz_i32_u32_e32 v150, v146
	v_cmp_eq_u32_e32 vcc_lo, 0, v176
	s_delay_alu instid0(VALU_DEP_2) | instskip(NEXT) | instid1(VALU_DEP_1)
	v_min_u32_e32 v150, 32, v150
	v_subrev_nc_u32_e32 v164, 28, v150
	v_sub_nc_u32_e32 v150, 29, v150
	s_delay_alu instid0(VALU_DEP_2) | instskip(SKIP_1) | instid1(VALU_DEP_3)
	v_lshlrev_b32_e32 v164, v164, v130
	v_lshlrev_b32_e32 v130, 24, v130
	v_cndmask_b32_e32 v150, v176, v150, vcc_lo
	s_delay_alu instid0(VALU_DEP_3) | instskip(NEXT) | instid1(VALU_DEP_3)
	v_and_b32_e32 v164, 7, v164
	v_and_b32_e32 v130, 0x80000000, v130
	s_delay_alu instid0(VALU_DEP_3) | instskip(NEXT) | instid1(VALU_DEP_3)
	v_lshl_add_u32 v150, v150, 23, 0x3b800000
	v_cndmask_b32_e32 v146, v146, v164, vcc_lo
	s_delay_alu instid0(VALU_DEP_1) | instskip(NEXT) | instid1(VALU_DEP_1)
	v_lshlrev_b32_e32 v146, 20, v146
	v_or3_b32 v146, v130, v150, v146
.LBB6_1851:                             ;   in Loop: Header=BB6_142 Depth=2
	s_or_b32 exec_lo, exec_lo, s25
	v_lshrrev_b32_e32 v130, 16, v12
	s_mov_b32 s11, 0
	s_mov_b32 s26, exec_lo
                                        ; implicit-def: $sgpr25
	s_delay_alu instid0(VALU_DEP_1) | instskip(NEXT) | instid1(VALU_DEP_1)
	v_and_b32_e32 v164, 0xff, v130
	v_cmpx_lt_i16_e64 0x7f, v164
	s_xor_b32 s26, exec_lo, s26
	s_cbranch_execnz .LBB6_2665
; %bb.1852:                             ;   in Loop: Header=BB6_142 Depth=2
	s_or_saveexec_b32 s26, s26
	v_mov_b32_e32 v150, s25
	s_xor_b32 exec_lo, exec_lo, s26
	s_cbranch_execnz .LBB6_2668
.LBB6_1853:                             ;   in Loop: Header=BB6_142 Depth=2
	s_or_b32 exec_lo, exec_lo, s26
	s_and_saveexec_b32 s25, s11
	s_cbranch_execz .LBB6_1855
.LBB6_1854:                             ;   in Loop: Header=BB6_142 Depth=2
	v_bfe_u32 v150, v12, 16, 3
	v_lshlrev_b32_e32 v182, 8, v12
	s_delay_alu instid0(VALU_DEP_2) | instskip(NEXT) | instid1(VALU_DEP_1)
	v_clz_i32_u32_e32 v164, v150
	v_min_u32_e32 v164, 32, v164
	s_delay_alu instid0(VALU_DEP_1) | instskip(SKIP_1) | instid1(VALU_DEP_2)
	v_subrev_nc_u32_e32 v176, 28, v164
	v_sub_nc_u32_e32 v164, 29, v164
	v_lshlrev_b32_e32 v130, v176, v130
	v_bfe_u32 v176, v12, 19, 4
	s_delay_alu instid0(VALU_DEP_2) | instskip(NEXT) | instid1(VALU_DEP_2)
	v_and_b32_e32 v130, 7, v130
	v_cmp_eq_u32_e32 vcc_lo, 0, v176
	v_cndmask_b32_e32 v164, v176, v164, vcc_lo
	s_delay_alu instid0(VALU_DEP_3) | instskip(SKIP_1) | instid1(VALU_DEP_3)
	v_cndmask_b32_e32 v130, v150, v130, vcc_lo
	v_and_b32_e32 v150, 0x80000000, v182
	v_lshl_add_u32 v164, v164, 23, 0x3b800000
	s_delay_alu instid0(VALU_DEP_3) | instskip(NEXT) | instid1(VALU_DEP_1)
	v_lshlrev_b32_e32 v130, 20, v130
	v_or3_b32 v150, v150, v164, v130
.LBB6_1855:                             ;   in Loop: Header=BB6_142 Depth=2
	s_or_b32 exec_lo, exec_lo, s25
	s_delay_alu instid0(VALU_DEP_1) | instskip(NEXT) | instid1(VALU_DEP_1)
	v_add_f32_e32 v146, v146, v150
	v_and_b32_e32 v130, 0x7f800000, v146
	s_delay_alu instid0(VALU_DEP_1)
	v_cmp_ne_u32_e32 vcc_lo, 0x7f800000, v130
	v_mov_b32_e32 v130, 0x80
	s_and_saveexec_b32 s25, vcc_lo
	s_cbranch_execz .LBB6_1863
; %bb.1856:                             ;   in Loop: Header=BB6_142 Depth=2
	v_mov_b32_e32 v130, 0
	s_mov_b32 s26, exec_lo
	v_cmpx_ne_u32_e32 0, v146
	s_cbranch_execz .LBB6_1862
; %bb.1857:                             ;   in Loop: Header=BB6_142 Depth=2
	v_bfe_u32 v130, v146, 23, 8
	v_and_b32_e32 v150, 0x7fffff, v146
	s_delay_alu instid0(VALU_DEP_2) | instskip(SKIP_1) | instid1(VALU_DEP_3)
	v_sub_nc_u32_e32 v164, 0x78, v130
	v_cmp_gt_u32_e32 vcc_lo, 0x79, v130
	v_or_b32_e32 v176, 0x800000, v150
	s_delay_alu instid0(VALU_DEP_3) | instskip(SKIP_2) | instid1(VALU_DEP_3)
	v_cndmask_b32_e32 v164, 0, v164, vcc_lo
	v_cmp_eq_u32_e32 vcc_lo, 0, v130
	v_add_nc_u32_e32 v130, 0xffffff89, v130
	v_cndmask_b32_e64 v164, v164, 0x77, vcc_lo
	v_cndmask_b32_e32 v150, v176, v150, vcc_lo
	s_delay_alu instid0(VALU_DEP_3) | instskip(NEXT) | instid1(VALU_DEP_3)
	v_cndmask_b32_e64 v130, v130, 0xffffff8a, vcc_lo
	v_lshl_add_u32 v176, 0x100000, v164, -1
	s_delay_alu instid0(VALU_DEP_3) | instskip(SKIP_1) | instid1(VALU_DEP_4)
	v_lshrrev_b32_e32 v182, v164, v150
	v_lshlrev_b32_e64 v56, v164, 0x80000
	v_add_nc_u32_e32 v164, v164, v130
	s_delay_alu instid0(VALU_DEP_4) | instskip(NEXT) | instid1(VALU_DEP_4)
	v_and_b32_e32 v150, v176, v150
	v_bfe_u32 v42, v182, 20, 1
	s_delay_alu instid0(VALU_DEP_2) | instskip(NEXT) | instid1(VALU_DEP_2)
	v_cmp_eq_u32_e64 s11, v150, v56
	v_add_nc_u32_e32 v176, -1, v42
	s_delay_alu instid0(VALU_DEP_1) | instskip(SKIP_2) | instid1(VALU_DEP_2)
	v_cndmask_b32_e64 v150, 0, v176, s11
	v_lshrrev_b32_e32 v176, 23, v182
	s_mov_b32 s11, exec_lo
	v_add_nc_u32_e32 v150, v150, v182
	s_delay_alu instid0(VALU_DEP_2) | instskip(NEXT) | instid1(VALU_DEP_2)
	v_xor_b32_e32 v176, 1, v176
	v_and_b32_e32 v130, 0xfffff, v150
	s_delay_alu instid0(VALU_DEP_1) | instskip(NEXT) | instid1(VALU_DEP_3)
	v_add_nc_u32_e32 v150, v130, v182
                                        ; implicit-def: $vgpr130
	v_cmpx_ne_u32_e64 v164, v176
	s_xor_b32 s11, exec_lo, s11
; %bb.1858:                             ;   in Loop: Header=BB6_142 Depth=2
	s_delay_alu instid0(VALU_DEP_2) | instskip(SKIP_2) | instid1(VALU_DEP_2)
	v_cmp_lt_u32_e32 vcc_lo, 0xffffff, v150
	v_sub_nc_u32_e32 v130, v164, v176
	v_cndmask_b32_e64 v164, 0, 1, vcc_lo
	v_add_co_ci_u32_e32 v130, vcc_lo, 0, v130, vcc_lo
	s_delay_alu instid0(VALU_DEP_2)
	v_lshrrev_b32_e32 v150, v164, v150
; %bb.1859:                             ;   in Loop: Header=BB6_142 Depth=2
	s_and_not1_saveexec_b32 s11, s11
; %bb.1860:                             ;   in Loop: Header=BB6_142 Depth=2
	s_delay_alu instid0(VALU_DEP_1)
	v_bfe_u32 v130, v150, 23, 1
; %bb.1861:                             ;   in Loop: Header=BB6_142 Depth=2
	s_or_b32 exec_lo, exec_lo, s11
	v_lshrrev_b32_e32 v150, 20, v150
	s_delay_alu instid0(VALU_DEP_2) | instskip(SKIP_2) | instid1(VALU_DEP_4)
	v_cmp_gt_i32_e32 vcc_lo, 16, v130
	v_lshrrev_b32_e32 v146, 24, v146
	v_min_i32_e32 v164, 15, v130
	v_cndmask_b32_e32 v150, 7, v150, vcc_lo
	s_delay_alu instid0(VALU_DEP_3) | instskip(NEXT) | instid1(VALU_DEP_3)
	v_and_b32_e32 v146, 0x80, v146
	v_lshlrev_b32_e32 v164, 3, v164
	s_delay_alu instid0(VALU_DEP_3) | instskip(SKIP_1) | instid1(VALU_DEP_2)
	v_and_b32_e32 v176, 7, v150
	v_or_b32_e32 v130, v130, v150
	v_or3_b32 v146, v164, v146, v176
	s_delay_alu instid0(VALU_DEP_2) | instskip(NEXT) | instid1(VALU_DEP_2)
	v_cmp_ne_u32_e32 vcc_lo, 0, v130
	v_cndmask_b32_e32 v130, 0, v146, vcc_lo
.LBB6_1862:                             ;   in Loop: Header=BB6_142 Depth=2
	s_or_b32 exec_lo, exec_lo, s26
.LBB6_1863:                             ;   in Loop: Header=BB6_142 Depth=2
	s_delay_alu instid0(SALU_CYCLE_1) | instskip(SKIP_3) | instid1(VALU_DEP_1)
	s_or_b32 exec_lo, exec_lo, s25
	v_and_b32_e32 v150, 0xff, v128
	s_mov_b32 s11, 0
	s_mov_b32 s26, exec_lo
                                        ; implicit-def: $sgpr25
	v_cmpx_lt_i16_e64 0x7f, v150
	s_xor_b32 s26, exec_lo, s26
	s_cbranch_execnz .LBB6_2669
; %bb.1864:                             ;   in Loop: Header=BB6_142 Depth=2
	s_or_saveexec_b32 s26, s26
	v_mov_b32_e32 v146, s25
	s_xor_b32 exec_lo, exec_lo, s26
	s_cbranch_execnz .LBB6_2672
.LBB6_1865:                             ;   in Loop: Header=BB6_142 Depth=2
	s_or_b32 exec_lo, exec_lo, s26
	s_and_saveexec_b32 s25, s11
	s_cbranch_execz .LBB6_1867
.LBB6_1866:                             ;   in Loop: Header=BB6_142 Depth=2
	v_lshlrev_b32_e32 v128, 8, v128
	s_delay_alu instid0(VALU_DEP_1) | instskip(SKIP_1) | instid1(VALU_DEP_2)
	v_and_b32_e32 v146, 0xff00, v128
	v_bfe_u32 v128, v128, 11, 4
	v_bfe_u32 v164, v146, 8, 3
	s_delay_alu instid0(VALU_DEP_2) | instskip(SKIP_1) | instid1(VALU_DEP_3)
	v_cmp_eq_u32_e32 vcc_lo, 0, v128
	v_lshlrev_b32_e32 v146, 16, v146
	v_clz_i32_u32_e32 v176, v164
	s_delay_alu instid0(VALU_DEP_2) | instskip(NEXT) | instid1(VALU_DEP_2)
	v_and_b32_e32 v146, 0x80000000, v146
	v_min_u32_e32 v176, 32, v176
	s_delay_alu instid0(VALU_DEP_1) | instskip(SKIP_1) | instid1(VALU_DEP_2)
	v_subrev_nc_u32_e32 v182, 28, v176
	v_sub_nc_u32_e32 v176, 29, v176
	v_lshlrev_b32_e32 v150, v182, v150
	s_delay_alu instid0(VALU_DEP_2) | instskip(NEXT) | instid1(VALU_DEP_2)
	v_cndmask_b32_e32 v128, v128, v176, vcc_lo
	v_and_b32_e32 v150, 7, v150
	s_delay_alu instid0(VALU_DEP_2) | instskip(NEXT) | instid1(VALU_DEP_2)
	v_lshl_add_u32 v128, v128, 23, 0x3b800000
	v_cndmask_b32_e32 v150, v164, v150, vcc_lo
	s_delay_alu instid0(VALU_DEP_1) | instskip(NEXT) | instid1(VALU_DEP_1)
	v_lshlrev_b32_e32 v150, 20, v150
	v_or3_b32 v146, v146, v128, v150
.LBB6_1867:                             ;   in Loop: Header=BB6_142 Depth=2
	s_or_b32 exec_lo, exec_lo, s25
	v_lshrrev_b32_e32 v128, 24, v12
	s_mov_b32 s11, 0
	s_mov_b32 s26, exec_lo
                                        ; implicit-def: $sgpr25
	s_delay_alu instid0(VALU_DEP_1)
	v_cmpx_lt_i16_e64 0x7f, v128
	s_xor_b32 s26, exec_lo, s26
	s_cbranch_execnz .LBB6_2673
; %bb.1868:                             ;   in Loop: Header=BB6_142 Depth=2
	s_or_saveexec_b32 s26, s26
	v_mov_b32_e32 v150, s25
	s_xor_b32 exec_lo, exec_lo, s26
	s_cbranch_execnz .LBB6_2676
.LBB6_1869:                             ;   in Loop: Header=BB6_142 Depth=2
	s_or_b32 exec_lo, exec_lo, s26
	s_and_saveexec_b32 s25, s11
	s_cbranch_execz .LBB6_1871
.LBB6_1870:                             ;   in Loop: Header=BB6_142 Depth=2
	v_bfe_u32 v150, v12, 24, 3
	s_delay_alu instid0(VALU_DEP_1) | instskip(NEXT) | instid1(VALU_DEP_1)
	v_clz_i32_u32_e32 v164, v150
	v_min_u32_e32 v164, 32, v164
	s_delay_alu instid0(VALU_DEP_1) | instskip(SKIP_1) | instid1(VALU_DEP_2)
	v_subrev_nc_u32_e32 v176, 28, v164
	v_sub_nc_u32_e32 v164, 29, v164
	v_lshlrev_b32_e32 v128, v176, v128
	v_bfe_u32 v176, v12, 27, 4
	v_and_b32_e32 v12, 0x80000000, v12
	s_delay_alu instid0(VALU_DEP_3) | instskip(NEXT) | instid1(VALU_DEP_3)
	v_and_b32_e32 v128, 7, v128
	v_cmp_eq_u32_e32 vcc_lo, 0, v176
	v_cndmask_b32_e32 v164, v176, v164, vcc_lo
	s_delay_alu instid0(VALU_DEP_3) | instskip(NEXT) | instid1(VALU_DEP_2)
	v_cndmask_b32_e32 v128, v150, v128, vcc_lo
	v_lshl_add_u32 v150, v164, 23, 0x3b800000
	s_delay_alu instid0(VALU_DEP_2) | instskip(NEXT) | instid1(VALU_DEP_1)
	v_lshlrev_b32_e32 v128, 20, v128
	v_or3_b32 v150, v12, v150, v128
.LBB6_1871:                             ;   in Loop: Header=BB6_142 Depth=2
	s_or_b32 exec_lo, exec_lo, s25
	s_delay_alu instid0(VALU_DEP_1) | instskip(NEXT) | instid1(VALU_DEP_1)
	v_add_f32_e32 v128, v146, v150
	v_and_b32_e32 v12, 0x7f800000, v128
	s_delay_alu instid0(VALU_DEP_1)
	v_cmp_ne_u32_e32 vcc_lo, 0x7f800000, v12
	v_mov_b32_e32 v12, 0x80
	s_and_saveexec_b32 s25, vcc_lo
	s_cbranch_execz .LBB6_1879
; %bb.1872:                             ;   in Loop: Header=BB6_142 Depth=2
	v_mov_b32_e32 v12, 0
	s_mov_b32 s26, exec_lo
	v_cmpx_ne_u32_e32 0, v128
	s_cbranch_execz .LBB6_1878
; %bb.1873:                             ;   in Loop: Header=BB6_142 Depth=2
	v_bfe_u32 v12, v128, 23, 8
	v_and_b32_e32 v146, 0x7fffff, v128
	s_delay_alu instid0(VALU_DEP_2) | instskip(SKIP_1) | instid1(VALU_DEP_3)
	v_sub_nc_u32_e32 v150, 0x78, v12
	v_cmp_gt_u32_e32 vcc_lo, 0x79, v12
	v_or_b32_e32 v164, 0x800000, v146
	s_delay_alu instid0(VALU_DEP_3) | instskip(SKIP_2) | instid1(VALU_DEP_3)
	v_cndmask_b32_e32 v150, 0, v150, vcc_lo
	v_cmp_eq_u32_e32 vcc_lo, 0, v12
	v_add_nc_u32_e32 v12, 0xffffff89, v12
	v_cndmask_b32_e64 v150, v150, 0x77, vcc_lo
	v_cndmask_b32_e32 v146, v164, v146, vcc_lo
	s_delay_alu instid0(VALU_DEP_3) | instskip(NEXT) | instid1(VALU_DEP_3)
	v_cndmask_b32_e64 v12, v12, 0xffffff8a, vcc_lo
	v_lshl_add_u32 v164, 0x100000, v150, -1
	s_delay_alu instid0(VALU_DEP_3) | instskip(SKIP_1) | instid1(VALU_DEP_4)
	v_lshrrev_b32_e32 v176, v150, v146
	v_lshlrev_b32_e64 v42, v150, 0x80000
	v_add_nc_u32_e32 v150, v150, v12
	s_delay_alu instid0(VALU_DEP_4) | instskip(NEXT) | instid1(VALU_DEP_4)
	v_and_b32_e32 v146, v164, v146
	v_bfe_u32 v182, v176, 20, 1
	s_delay_alu instid0(VALU_DEP_2) | instskip(NEXT) | instid1(VALU_DEP_2)
	v_cmp_eq_u32_e64 s11, v146, v42
	v_add_nc_u32_e32 v164, -1, v182
	s_delay_alu instid0(VALU_DEP_1) | instskip(SKIP_2) | instid1(VALU_DEP_2)
	v_cndmask_b32_e64 v146, 0, v164, s11
	v_lshrrev_b32_e32 v164, 23, v176
	s_mov_b32 s11, exec_lo
	v_add_nc_u32_e32 v146, v146, v176
	s_delay_alu instid0(VALU_DEP_2) | instskip(NEXT) | instid1(VALU_DEP_2)
	v_xor_b32_e32 v164, 1, v164
	v_and_b32_e32 v12, 0xfffff, v146
	s_delay_alu instid0(VALU_DEP_1) | instskip(NEXT) | instid1(VALU_DEP_3)
	v_add_nc_u32_e32 v146, v12, v176
                                        ; implicit-def: $vgpr12
	v_cmpx_ne_u32_e64 v150, v164
	s_xor_b32 s11, exec_lo, s11
; %bb.1874:                             ;   in Loop: Header=BB6_142 Depth=2
	s_delay_alu instid0(VALU_DEP_2) | instskip(SKIP_2) | instid1(VALU_DEP_2)
	v_cmp_lt_u32_e32 vcc_lo, 0xffffff, v146
	v_sub_nc_u32_e32 v12, v150, v164
	v_cndmask_b32_e64 v150, 0, 1, vcc_lo
	v_add_co_ci_u32_e32 v12, vcc_lo, 0, v12, vcc_lo
	s_delay_alu instid0(VALU_DEP_2)
	v_lshrrev_b32_e32 v146, v150, v146
; %bb.1875:                             ;   in Loop: Header=BB6_142 Depth=2
	s_and_not1_saveexec_b32 s11, s11
; %bb.1876:                             ;   in Loop: Header=BB6_142 Depth=2
	s_delay_alu instid0(VALU_DEP_1)
	v_bfe_u32 v12, v146, 23, 1
; %bb.1877:                             ;   in Loop: Header=BB6_142 Depth=2
	s_or_b32 exec_lo, exec_lo, s11
	v_lshrrev_b32_e32 v146, 20, v146
	s_delay_alu instid0(VALU_DEP_2) | instskip(SKIP_2) | instid1(VALU_DEP_4)
	v_cmp_gt_i32_e32 vcc_lo, 16, v12
	v_lshrrev_b32_e32 v128, 24, v128
	v_min_i32_e32 v150, 15, v12
	v_cndmask_b32_e32 v146, 7, v146, vcc_lo
	s_delay_alu instid0(VALU_DEP_3) | instskip(NEXT) | instid1(VALU_DEP_3)
	v_and_b32_e32 v128, 0x80, v128
	v_lshlrev_b32_e32 v150, 3, v150
	s_delay_alu instid0(VALU_DEP_3) | instskip(SKIP_1) | instid1(VALU_DEP_2)
	v_and_b32_e32 v164, 7, v146
	v_or_b32_e32 v12, v12, v146
	v_or3_b32 v128, v150, v128, v164
	s_delay_alu instid0(VALU_DEP_2) | instskip(NEXT) | instid1(VALU_DEP_2)
	v_cmp_ne_u32_e32 vcc_lo, 0, v12
	v_cndmask_b32_e32 v12, 0, v128, vcc_lo
.LBB6_1878:                             ;   in Loop: Header=BB6_142 Depth=2
	s_or_b32 exec_lo, exec_lo, s26
.LBB6_1879:                             ;   in Loop: Header=BB6_142 Depth=2
	s_delay_alu instid0(SALU_CYCLE_1) | instskip(SKIP_3) | instid1(VALU_DEP_1)
	s_or_b32 exec_lo, exec_lo, s25
	v_or_b32_e32 v132, v132, v119
	s_mov_b32 s11, 0
	s_mov_b32 s26, exec_lo
                                        ; implicit-def: $sgpr25
	v_and_b32_e32 v128, 0xff, v132
	s_delay_alu instid0(VALU_DEP_1)
	v_cmpx_lt_i16_e64 0x7f, v128
	s_xor_b32 s26, exec_lo, s26
	s_cbranch_execnz .LBB6_2677
; %bb.1880:                             ;   in Loop: Header=BB6_142 Depth=2
	s_or_saveexec_b32 s26, s26
	v_mov_b32_e32 v119, s25
	s_xor_b32 exec_lo, exec_lo, s26
	s_cbranch_execnz .LBB6_2680
.LBB6_1881:                             ;   in Loop: Header=BB6_142 Depth=2
	s_or_b32 exec_lo, exec_lo, s26
	s_and_saveexec_b32 s25, s11
	s_cbranch_execz .LBB6_1883
.LBB6_1882:                             ;   in Loop: Header=BB6_142 Depth=2
	v_and_b32_e32 v119, 7, v132
	v_bfe_u32 v150, v132, 3, 4
	s_delay_alu instid0(VALU_DEP_2) | instskip(NEXT) | instid1(VALU_DEP_2)
	v_clz_i32_u32_e32 v128, v119
	v_cmp_eq_u32_e32 vcc_lo, 0, v150
	s_delay_alu instid0(VALU_DEP_2) | instskip(NEXT) | instid1(VALU_DEP_1)
	v_min_u32_e32 v128, 32, v128
	v_subrev_nc_u32_e32 v146, 28, v128
	v_sub_nc_u32_e32 v128, 29, v128
	s_delay_alu instid0(VALU_DEP_2) | instskip(NEXT) | instid1(VALU_DEP_1)
	v_lshlrev_b32_e32 v146, v146, v132
	v_and_b32_e32 v146, 7, v146
	s_delay_alu instid0(VALU_DEP_1) | instskip(NEXT) | instid1(VALU_DEP_4)
	v_dual_cndmask_b32 v119, v119, v146 :: v_dual_lshlrev_b32 v164, 24, v132
	v_cndmask_b32_e32 v128, v150, v128, vcc_lo
	s_delay_alu instid0(VALU_DEP_2) | instskip(NEXT) | instid1(VALU_DEP_3)
	v_and_b32_e32 v146, 0x80000000, v164
	v_lshlrev_b32_e32 v119, 20, v119
	s_delay_alu instid0(VALU_DEP_3) | instskip(NEXT) | instid1(VALU_DEP_1)
	v_lshl_add_u32 v128, v128, 23, 0x3b800000
	v_or3_b32 v119, v146, v128, v119
.LBB6_1883:                             ;   in Loop: Header=BB6_142 Depth=2
	s_or_b32 exec_lo, exec_lo, s25
	v_and_b32_e32 v146, 0xff, v13
	s_mov_b32 s11, 0
	s_mov_b32 s26, exec_lo
                                        ; implicit-def: $sgpr25
	s_delay_alu instid0(VALU_DEP_1)
	v_cmpx_lt_i16_e64 0x7f, v146
	s_xor_b32 s26, exec_lo, s26
	s_cbranch_execnz .LBB6_2681
; %bb.1884:                             ;   in Loop: Header=BB6_142 Depth=2
	s_or_saveexec_b32 s26, s26
	v_mov_b32_e32 v128, s25
	s_xor_b32 exec_lo, exec_lo, s26
	s_cbranch_execnz .LBB6_2684
.LBB6_1885:                             ;   in Loop: Header=BB6_142 Depth=2
	s_or_b32 exec_lo, exec_lo, s26
	s_and_saveexec_b32 s25, s11
	s_cbranch_execz .LBB6_1887
.LBB6_1886:                             ;   in Loop: Header=BB6_142 Depth=2
	v_and_b32_e32 v128, 7, v13
	v_bfe_u32 v164, v13, 3, 4
	v_lshlrev_b32_e32 v176, 24, v13
	s_delay_alu instid0(VALU_DEP_3) | instskip(NEXT) | instid1(VALU_DEP_3)
	v_clz_i32_u32_e32 v146, v128
	v_cmp_eq_u32_e32 vcc_lo, 0, v164
	s_delay_alu instid0(VALU_DEP_2) | instskip(NEXT) | instid1(VALU_DEP_1)
	v_min_u32_e32 v146, 32, v146
	v_subrev_nc_u32_e32 v150, 28, v146
	v_sub_nc_u32_e32 v146, 29, v146
	s_delay_alu instid0(VALU_DEP_2) | instskip(NEXT) | instid1(VALU_DEP_2)
	v_lshlrev_b32_e32 v150, v150, v13
	v_cndmask_b32_e32 v146, v164, v146, vcc_lo
	s_delay_alu instid0(VALU_DEP_2) | instskip(NEXT) | instid1(VALU_DEP_2)
	v_and_b32_e32 v150, 7, v150
	v_lshl_add_u32 v146, v146, 23, 0x3b800000
	s_delay_alu instid0(VALU_DEP_2) | instskip(SKIP_1) | instid1(VALU_DEP_2)
	v_cndmask_b32_e32 v128, v128, v150, vcc_lo
	v_and_b32_e32 v150, 0x80000000, v176
	v_lshlrev_b32_e32 v128, 20, v128
	s_delay_alu instid0(VALU_DEP_1)
	v_or3_b32 v128, v150, v146, v128
.LBB6_1887:                             ;   in Loop: Header=BB6_142 Depth=2
	s_or_b32 exec_lo, exec_lo, s25
	s_delay_alu instid0(VALU_DEP_1) | instskip(NEXT) | instid1(VALU_DEP_1)
	v_add_f32_e32 v128, v119, v128
	v_and_b32_e32 v119, 0x7f800000, v128
	s_delay_alu instid0(VALU_DEP_1)
	v_cmp_ne_u32_e32 vcc_lo, 0x7f800000, v119
	v_mov_b32_e32 v119, 0x80
	s_and_saveexec_b32 s25, vcc_lo
	s_cbranch_execz .LBB6_1895
; %bb.1888:                             ;   in Loop: Header=BB6_142 Depth=2
	v_mov_b32_e32 v119, 0
	s_mov_b32 s26, exec_lo
	v_cmpx_ne_u32_e32 0, v128
	s_cbranch_execz .LBB6_1894
; %bb.1889:                             ;   in Loop: Header=BB6_142 Depth=2
	v_bfe_u32 v119, v128, 23, 8
	v_and_b32_e32 v146, 0x7fffff, v128
	s_delay_alu instid0(VALU_DEP_2) | instskip(SKIP_1) | instid1(VALU_DEP_3)
	v_sub_nc_u32_e32 v150, 0x78, v119
	v_cmp_gt_u32_e32 vcc_lo, 0x79, v119
	v_or_b32_e32 v164, 0x800000, v146
	s_delay_alu instid0(VALU_DEP_3) | instskip(SKIP_2) | instid1(VALU_DEP_3)
	v_cndmask_b32_e32 v150, 0, v150, vcc_lo
	v_cmp_eq_u32_e32 vcc_lo, 0, v119
	v_add_nc_u32_e32 v119, 0xffffff89, v119
	v_cndmask_b32_e64 v150, v150, 0x77, vcc_lo
	v_cndmask_b32_e32 v146, v164, v146, vcc_lo
	s_delay_alu instid0(VALU_DEP_3) | instskip(NEXT) | instid1(VALU_DEP_3)
	v_cndmask_b32_e64 v119, v119, 0xffffff8a, vcc_lo
	v_lshl_add_u32 v164, 0x100000, v150, -1
	s_delay_alu instid0(VALU_DEP_3) | instskip(SKIP_1) | instid1(VALU_DEP_4)
	v_lshrrev_b32_e32 v176, v150, v146
	v_lshlrev_b32_e64 v42, v150, 0x80000
	v_add_nc_u32_e32 v150, v150, v119
	s_delay_alu instid0(VALU_DEP_4) | instskip(NEXT) | instid1(VALU_DEP_4)
	v_and_b32_e32 v146, v164, v146
	v_bfe_u32 v182, v176, 20, 1
	s_delay_alu instid0(VALU_DEP_2) | instskip(NEXT) | instid1(VALU_DEP_2)
	v_cmp_eq_u32_e64 s11, v146, v42
	v_add_nc_u32_e32 v164, -1, v182
	s_delay_alu instid0(VALU_DEP_1) | instskip(SKIP_2) | instid1(VALU_DEP_2)
	v_cndmask_b32_e64 v146, 0, v164, s11
	v_lshrrev_b32_e32 v164, 23, v176
	s_mov_b32 s11, exec_lo
	v_add_nc_u32_e32 v146, v146, v176
	s_delay_alu instid0(VALU_DEP_2) | instskip(NEXT) | instid1(VALU_DEP_2)
	v_xor_b32_e32 v164, 1, v164
	v_and_b32_e32 v119, 0xfffff, v146
	s_delay_alu instid0(VALU_DEP_1) | instskip(NEXT) | instid1(VALU_DEP_3)
	v_add_nc_u32_e32 v146, v119, v176
                                        ; implicit-def: $vgpr119
	v_cmpx_ne_u32_e64 v150, v164
	s_xor_b32 s11, exec_lo, s11
; %bb.1890:                             ;   in Loop: Header=BB6_142 Depth=2
	s_delay_alu instid0(VALU_DEP_2) | instskip(SKIP_2) | instid1(VALU_DEP_2)
	v_cmp_lt_u32_e32 vcc_lo, 0xffffff, v146
	v_sub_nc_u32_e32 v119, v150, v164
	v_cndmask_b32_e64 v150, 0, 1, vcc_lo
	v_add_co_ci_u32_e32 v119, vcc_lo, 0, v119, vcc_lo
	s_delay_alu instid0(VALU_DEP_2)
	v_lshrrev_b32_e32 v146, v150, v146
; %bb.1891:                             ;   in Loop: Header=BB6_142 Depth=2
	s_and_not1_saveexec_b32 s11, s11
; %bb.1892:                             ;   in Loop: Header=BB6_142 Depth=2
	s_delay_alu instid0(VALU_DEP_1)
	v_bfe_u32 v119, v146, 23, 1
; %bb.1893:                             ;   in Loop: Header=BB6_142 Depth=2
	s_or_b32 exec_lo, exec_lo, s11
	v_lshrrev_b32_e32 v146, 20, v146
	s_delay_alu instid0(VALU_DEP_2) | instskip(SKIP_2) | instid1(VALU_DEP_4)
	v_cmp_gt_i32_e32 vcc_lo, 16, v119
	v_lshrrev_b32_e32 v128, 24, v128
	v_min_i32_e32 v150, 15, v119
	v_cndmask_b32_e32 v146, 7, v146, vcc_lo
	s_delay_alu instid0(VALU_DEP_3) | instskip(NEXT) | instid1(VALU_DEP_3)
	v_and_b32_e32 v128, 0x80, v128
	v_lshlrev_b32_e32 v150, 3, v150
	s_delay_alu instid0(VALU_DEP_3) | instskip(SKIP_1) | instid1(VALU_DEP_2)
	v_and_b32_e32 v164, 7, v146
	v_or_b32_e32 v119, v119, v146
	v_or3_b32 v128, v150, v128, v164
	s_delay_alu instid0(VALU_DEP_2) | instskip(NEXT) | instid1(VALU_DEP_2)
	v_cmp_ne_u32_e32 vcc_lo, 0, v119
	v_cndmask_b32_e32 v119, 0, v128, vcc_lo
.LBB6_1894:                             ;   in Loop: Header=BB6_142 Depth=2
	s_or_b32 exec_lo, exec_lo, s26
.LBB6_1895:                             ;   in Loop: Header=BB6_142 Depth=2
	s_delay_alu instid0(SALU_CYCLE_1) | instskip(SKIP_3) | instid1(VALU_DEP_1)
	s_or_b32 exec_lo, exec_lo, s25
	v_lshrrev_b16 v146, 8, v132
	s_mov_b32 s11, 0
	s_mov_b32 s26, exec_lo
                                        ; implicit-def: $sgpr25
	v_cmpx_lt_i16_e64 0x7f, v146
	s_xor_b32 s26, exec_lo, s26
	s_cbranch_execnz .LBB6_2685
; %bb.1896:                             ;   in Loop: Header=BB6_142 Depth=2
	s_or_saveexec_b32 s26, s26
	v_mov_b32_e32 v128, s25
	s_xor_b32 exec_lo, exec_lo, s26
	s_cbranch_execnz .LBB6_2688
.LBB6_1897:                             ;   in Loop: Header=BB6_142 Depth=2
	s_or_b32 exec_lo, exec_lo, s26
	s_and_saveexec_b32 s25, s11
	s_cbranch_execz .LBB6_1899
.LBB6_1898:                             ;   in Loop: Header=BB6_142 Depth=2
	v_and_b32_e32 v128, 0xffff, v146
	v_lshlrev_b32_e32 v146, 24, v146
	s_delay_alu instid0(VALU_DEP_2) | instskip(NEXT) | instid1(VALU_DEP_2)
	v_and_b32_e32 v150, 7, v128
	v_and_b32_e32 v146, 0x80000000, v146
	s_delay_alu instid0(VALU_DEP_2) | instskip(NEXT) | instid1(VALU_DEP_1)
	v_clz_i32_u32_e32 v164, v150
	v_min_u32_e32 v164, 32, v164
	s_delay_alu instid0(VALU_DEP_1) | instskip(SKIP_1) | instid1(VALU_DEP_2)
	v_subrev_nc_u32_e32 v176, 28, v164
	v_sub_nc_u32_e32 v164, 29, v164
	v_lshlrev_b32_e32 v176, v176, v128
	v_bfe_u32 v128, v128, 3, 4
	s_delay_alu instid0(VALU_DEP_2) | instskip(NEXT) | instid1(VALU_DEP_2)
	v_and_b32_e32 v176, 7, v176
	v_cmp_eq_u32_e32 vcc_lo, 0, v128
	v_cndmask_b32_e32 v128, v128, v164, vcc_lo
	s_delay_alu instid0(VALU_DEP_3) | instskip(NEXT) | instid1(VALU_DEP_2)
	v_cndmask_b32_e32 v150, v150, v176, vcc_lo
	v_lshl_add_u32 v128, v128, 23, 0x3b800000
	s_delay_alu instid0(VALU_DEP_2) | instskip(NEXT) | instid1(VALU_DEP_1)
	v_lshlrev_b32_e32 v150, 20, v150
	v_or3_b32 v128, v146, v128, v150
.LBB6_1899:                             ;   in Loop: Header=BB6_142 Depth=2
	s_or_b32 exec_lo, exec_lo, s25
	v_lshrrev_b16 v146, 8, v13
	s_mov_b32 s11, 0
	s_mov_b32 s26, exec_lo
                                        ; implicit-def: $sgpr25
	s_delay_alu instid0(VALU_DEP_1)
	v_cmpx_lt_i16_e64 0x7f, v146
	s_xor_b32 s26, exec_lo, s26
	s_cbranch_execnz .LBB6_2689
; %bb.1900:                             ;   in Loop: Header=BB6_142 Depth=2
	s_or_saveexec_b32 s26, s26
	v_mov_b32_e32 v150, s25
	s_xor_b32 exec_lo, exec_lo, s26
	s_cbranch_execnz .LBB6_2692
.LBB6_1901:                             ;   in Loop: Header=BB6_142 Depth=2
	s_or_b32 exec_lo, exec_lo, s26
	s_and_saveexec_b32 s25, s11
	s_cbranch_execz .LBB6_1903
.LBB6_1902:                             ;   in Loop: Header=BB6_142 Depth=2
	v_and_b32_e32 v150, 0xffff, v146
	v_lshlrev_b32_e32 v146, 24, v146
	s_delay_alu instid0(VALU_DEP_2) | instskip(NEXT) | instid1(VALU_DEP_2)
	v_and_b32_e32 v164, 7, v150
	v_and_b32_e32 v146, 0x80000000, v146
	s_delay_alu instid0(VALU_DEP_2) | instskip(NEXT) | instid1(VALU_DEP_1)
	v_clz_i32_u32_e32 v176, v164
	v_min_u32_e32 v176, 32, v176
	s_delay_alu instid0(VALU_DEP_1) | instskip(SKIP_1) | instid1(VALU_DEP_2)
	v_subrev_nc_u32_e32 v182, 28, v176
	v_sub_nc_u32_e32 v176, 29, v176
	v_lshlrev_b32_e32 v182, v182, v150
	v_bfe_u32 v150, v150, 3, 4
	s_delay_alu instid0(VALU_DEP_2) | instskip(NEXT) | instid1(VALU_DEP_2)
	v_and_b32_e32 v182, 7, v182
	v_cmp_eq_u32_e32 vcc_lo, 0, v150
	v_cndmask_b32_e32 v150, v150, v176, vcc_lo
	s_delay_alu instid0(VALU_DEP_3) | instskip(NEXT) | instid1(VALU_DEP_2)
	v_cndmask_b32_e32 v164, v164, v182, vcc_lo
	v_lshl_add_u32 v150, v150, 23, 0x3b800000
	s_delay_alu instid0(VALU_DEP_2) | instskip(NEXT) | instid1(VALU_DEP_1)
	v_lshlrev_b32_e32 v164, 20, v164
	v_or3_b32 v150, v146, v150, v164
.LBB6_1903:                             ;   in Loop: Header=BB6_142 Depth=2
	s_or_b32 exec_lo, exec_lo, s25
	s_delay_alu instid0(VALU_DEP_1) | instskip(NEXT) | instid1(VALU_DEP_1)
	v_add_f32_e32 v146, v128, v150
	v_and_b32_e32 v128, 0x7f800000, v146
	s_delay_alu instid0(VALU_DEP_1)
	v_cmp_ne_u32_e32 vcc_lo, 0x7f800000, v128
	v_mov_b32_e32 v128, 0x8000
	s_and_saveexec_b32 s25, vcc_lo
	s_cbranch_execz .LBB6_1911
; %bb.1904:                             ;   in Loop: Header=BB6_142 Depth=2
	v_mov_b32_e32 v128, 0
	s_mov_b32 s26, exec_lo
	v_cmpx_ne_u32_e32 0, v146
	s_cbranch_execz .LBB6_1910
; %bb.1905:                             ;   in Loop: Header=BB6_142 Depth=2
	v_bfe_u32 v128, v146, 23, 8
	v_and_b32_e32 v150, 0x7fffff, v146
	s_delay_alu instid0(VALU_DEP_2) | instskip(SKIP_1) | instid1(VALU_DEP_3)
	v_sub_nc_u32_e32 v164, 0x78, v128
	v_cmp_gt_u32_e32 vcc_lo, 0x79, v128
	v_or_b32_e32 v176, 0x800000, v150
	s_delay_alu instid0(VALU_DEP_3) | instskip(SKIP_2) | instid1(VALU_DEP_3)
	v_cndmask_b32_e32 v164, 0, v164, vcc_lo
	v_cmp_eq_u32_e32 vcc_lo, 0, v128
	v_add_nc_u32_e32 v128, 0xffffff89, v128
	v_cndmask_b32_e64 v164, v164, 0x77, vcc_lo
	v_cndmask_b32_e32 v150, v176, v150, vcc_lo
	s_delay_alu instid0(VALU_DEP_3) | instskip(NEXT) | instid1(VALU_DEP_3)
	v_cndmask_b32_e64 v128, v128, 0xffffff8a, vcc_lo
	v_lshl_add_u32 v176, 0x100000, v164, -1
	s_delay_alu instid0(VALU_DEP_3) | instskip(SKIP_1) | instid1(VALU_DEP_4)
	v_lshrrev_b32_e32 v182, v164, v150
	v_lshlrev_b32_e64 v56, v164, 0x80000
	v_add_nc_u32_e32 v164, v164, v128
	s_delay_alu instid0(VALU_DEP_4) | instskip(NEXT) | instid1(VALU_DEP_4)
	v_and_b32_e32 v150, v176, v150
	v_bfe_u32 v42, v182, 20, 1
	s_delay_alu instid0(VALU_DEP_2) | instskip(NEXT) | instid1(VALU_DEP_2)
	v_cmp_eq_u32_e64 s11, v150, v56
	v_add_nc_u32_e32 v176, -1, v42
	s_delay_alu instid0(VALU_DEP_1) | instskip(SKIP_2) | instid1(VALU_DEP_2)
	v_cndmask_b32_e64 v150, 0, v176, s11
	v_lshrrev_b32_e32 v176, 23, v182
	s_mov_b32 s11, exec_lo
	v_add_nc_u32_e32 v150, v150, v182
	s_delay_alu instid0(VALU_DEP_2) | instskip(NEXT) | instid1(VALU_DEP_2)
	v_xor_b32_e32 v176, 1, v176
	v_and_b32_e32 v128, 0xfffff, v150
	s_delay_alu instid0(VALU_DEP_1) | instskip(NEXT) | instid1(VALU_DEP_3)
	v_add_nc_u32_e32 v150, v128, v182
                                        ; implicit-def: $vgpr128
	v_cmpx_ne_u32_e64 v164, v176
	s_xor_b32 s11, exec_lo, s11
; %bb.1906:                             ;   in Loop: Header=BB6_142 Depth=2
	s_delay_alu instid0(VALU_DEP_2) | instskip(SKIP_2) | instid1(VALU_DEP_2)
	v_cmp_lt_u32_e32 vcc_lo, 0xffffff, v150
	v_sub_nc_u32_e32 v128, v164, v176
	v_cndmask_b32_e64 v164, 0, 1, vcc_lo
	v_add_co_ci_u32_e32 v128, vcc_lo, 0, v128, vcc_lo
	s_delay_alu instid0(VALU_DEP_2)
	v_lshrrev_b32_e32 v150, v164, v150
; %bb.1907:                             ;   in Loop: Header=BB6_142 Depth=2
	s_and_not1_saveexec_b32 s11, s11
; %bb.1908:                             ;   in Loop: Header=BB6_142 Depth=2
	s_delay_alu instid0(VALU_DEP_1)
	v_bfe_u32 v128, v150, 23, 1
; %bb.1909:                             ;   in Loop: Header=BB6_142 Depth=2
	s_or_b32 exec_lo, exec_lo, s11
	v_lshrrev_b32_e32 v150, 20, v150
	s_delay_alu instid0(VALU_DEP_2) | instskip(SKIP_2) | instid1(VALU_DEP_3)
	v_min_i32_e32 v164, 15, v128
	v_cmp_gt_i32_e32 vcc_lo, 16, v128
	v_lshrrev_b32_e32 v146, 24, v146
	v_lshlrev_b32_e32 v164, 3, v164
	v_cndmask_b32_e32 v150, 7, v150, vcc_lo
	s_delay_alu instid0(VALU_DEP_3) | instskip(NEXT) | instid1(VALU_DEP_3)
	v_and_b32_e32 v146, 0x80, v146
	v_and_b32_e32 v164, 0xf8, v164
	s_delay_alu instid0(VALU_DEP_3) | instskip(SKIP_1) | instid1(VALU_DEP_2)
	v_and_b32_e32 v176, 7, v150
	v_or_b32_e32 v128, v128, v150
	v_or3_b32 v146, v146, v164, v176
	s_delay_alu instid0(VALU_DEP_2) | instskip(NEXT) | instid1(VALU_DEP_2)
	v_cmp_ne_u32_e32 vcc_lo, 0, v128
	v_lshlrev_b32_e32 v146, 8, v146
	s_delay_alu instid0(VALU_DEP_1)
	v_cndmask_b32_e32 v128, 0, v146, vcc_lo
.LBB6_1910:                             ;   in Loop: Header=BB6_142 Depth=2
	s_or_b32 exec_lo, exec_lo, s26
.LBB6_1911:                             ;   in Loop: Header=BB6_142 Depth=2
	s_delay_alu instid0(SALU_CYCLE_1) | instskip(SKIP_3) | instid1(VALU_DEP_1)
	s_or_b32 exec_lo, exec_lo, s25
	v_or_b32_e32 v129, v129, v117
	s_mov_b32 s11, 0
	s_mov_b32 s26, exec_lo
                                        ; implicit-def: $sgpr25
	v_and_b32_e32 v146, 0xff, v129
	s_delay_alu instid0(VALU_DEP_1)
	v_cmpx_lt_i16_e64 0x7f, v146
	s_xor_b32 s26, exec_lo, s26
	s_cbranch_execnz .LBB6_2693
; %bb.1912:                             ;   in Loop: Header=BB6_142 Depth=2
	s_or_saveexec_b32 s26, s26
	v_mov_b32_e32 v117, s25
	s_xor_b32 exec_lo, exec_lo, s26
	s_cbranch_execnz .LBB6_2696
.LBB6_1913:                             ;   in Loop: Header=BB6_142 Depth=2
	s_or_b32 exec_lo, exec_lo, s26
	v_lshl_or_b32 v129, v129, 16, v132
	s_and_saveexec_b32 s25, s11
	s_cbranch_execz .LBB6_1915
.LBB6_1914:                             ;   in Loop: Header=BB6_142 Depth=2
	s_delay_alu instid0(VALU_DEP_1) | instskip(SKIP_1) | instid1(VALU_DEP_2)
	v_bfe_u32 v117, v129, 16, 3
	v_lshrrev_b32_e32 v146, 16, v129
	v_clz_i32_u32_e32 v132, v117
	s_delay_alu instid0(VALU_DEP_1) | instskip(NEXT) | instid1(VALU_DEP_1)
	v_min_u32_e32 v132, 32, v132
	v_subrev_nc_u32_e32 v150, 28, v132
	v_sub_nc_u32_e32 v132, 29, v132
	s_delay_alu instid0(VALU_DEP_2) | instskip(SKIP_1) | instid1(VALU_DEP_2)
	v_lshlrev_b32_e32 v146, v150, v146
	v_bfe_u32 v150, v129, 19, 4
	v_and_b32_e32 v146, 7, v146
	s_delay_alu instid0(VALU_DEP_2) | instskip(NEXT) | instid1(VALU_DEP_2)
	v_cmp_eq_u32_e32 vcc_lo, 0, v150
	v_dual_cndmask_b32 v117, v117, v146 :: v_dual_lshlrev_b32 v164, 8, v129
	v_cndmask_b32_e32 v132, v150, v132, vcc_lo
	s_delay_alu instid0(VALU_DEP_2) | instskip(NEXT) | instid1(VALU_DEP_3)
	v_and_b32_e32 v146, 0x80000000, v164
	v_lshlrev_b32_e32 v117, 20, v117
	s_delay_alu instid0(VALU_DEP_3) | instskip(NEXT) | instid1(VALU_DEP_1)
	v_lshl_add_u32 v132, v132, 23, 0x3b800000
	v_or3_b32 v117, v146, v132, v117
.LBB6_1915:                             ;   in Loop: Header=BB6_142 Depth=2
	s_or_b32 exec_lo, exec_lo, s25
	v_lshrrev_b32_e32 v132, 16, v13
	s_mov_b32 s11, 0
	s_mov_b32 s26, exec_lo
                                        ; implicit-def: $sgpr25
	s_delay_alu instid0(VALU_DEP_1) | instskip(NEXT) | instid1(VALU_DEP_1)
	v_and_b32_e32 v150, 0xff, v132
	v_cmpx_lt_i16_e64 0x7f, v150
	s_xor_b32 s26, exec_lo, s26
	s_cbranch_execnz .LBB6_2697
; %bb.1916:                             ;   in Loop: Header=BB6_142 Depth=2
	s_or_saveexec_b32 s26, s26
	v_mov_b32_e32 v146, s25
	s_xor_b32 exec_lo, exec_lo, s26
	s_cbranch_execnz .LBB6_2700
.LBB6_1917:                             ;   in Loop: Header=BB6_142 Depth=2
	s_or_b32 exec_lo, exec_lo, s26
	s_and_saveexec_b32 s25, s11
	s_cbranch_execz .LBB6_1919
.LBB6_1918:                             ;   in Loop: Header=BB6_142 Depth=2
	v_bfe_u32 v146, v13, 16, 3
	v_lshlrev_b32_e32 v176, 8, v13
	s_delay_alu instid0(VALU_DEP_2) | instskip(NEXT) | instid1(VALU_DEP_1)
	v_clz_i32_u32_e32 v150, v146
	v_min_u32_e32 v150, 32, v150
	s_delay_alu instid0(VALU_DEP_1) | instskip(SKIP_1) | instid1(VALU_DEP_2)
	v_subrev_nc_u32_e32 v164, 28, v150
	v_sub_nc_u32_e32 v150, 29, v150
	v_lshlrev_b32_e32 v132, v164, v132
	v_bfe_u32 v164, v13, 19, 4
	s_delay_alu instid0(VALU_DEP_2) | instskip(NEXT) | instid1(VALU_DEP_2)
	v_and_b32_e32 v132, 7, v132
	v_cmp_eq_u32_e32 vcc_lo, 0, v164
	v_cndmask_b32_e32 v150, v164, v150, vcc_lo
	s_delay_alu instid0(VALU_DEP_3) | instskip(SKIP_1) | instid1(VALU_DEP_3)
	v_cndmask_b32_e32 v132, v146, v132, vcc_lo
	v_and_b32_e32 v146, 0x80000000, v176
	v_lshl_add_u32 v150, v150, 23, 0x3b800000
	s_delay_alu instid0(VALU_DEP_3) | instskip(NEXT) | instid1(VALU_DEP_1)
	v_lshlrev_b32_e32 v132, 20, v132
	v_or3_b32 v146, v146, v150, v132
.LBB6_1919:                             ;   in Loop: Header=BB6_142 Depth=2
	s_or_b32 exec_lo, exec_lo, s25
	s_delay_alu instid0(VALU_DEP_1) | instskip(NEXT) | instid1(VALU_DEP_1)
	v_add_f32_e32 v132, v117, v146
	v_and_b32_e32 v117, 0x7f800000, v132
	s_delay_alu instid0(VALU_DEP_1)
	v_cmp_ne_u32_e32 vcc_lo, 0x7f800000, v117
	v_mov_b32_e32 v117, 0x80
	s_and_saveexec_b32 s25, vcc_lo
	s_cbranch_execz .LBB6_1927
; %bb.1920:                             ;   in Loop: Header=BB6_142 Depth=2
	v_mov_b32_e32 v117, 0
	s_mov_b32 s26, exec_lo
	v_cmpx_ne_u32_e32 0, v132
	s_cbranch_execz .LBB6_1926
; %bb.1921:                             ;   in Loop: Header=BB6_142 Depth=2
	v_bfe_u32 v117, v132, 23, 8
	v_and_b32_e32 v146, 0x7fffff, v132
	s_delay_alu instid0(VALU_DEP_2) | instskip(SKIP_1) | instid1(VALU_DEP_3)
	v_sub_nc_u32_e32 v150, 0x78, v117
	v_cmp_gt_u32_e32 vcc_lo, 0x79, v117
	v_or_b32_e32 v164, 0x800000, v146
	s_delay_alu instid0(VALU_DEP_3) | instskip(SKIP_2) | instid1(VALU_DEP_3)
	v_cndmask_b32_e32 v150, 0, v150, vcc_lo
	v_cmp_eq_u32_e32 vcc_lo, 0, v117
	v_add_nc_u32_e32 v117, 0xffffff89, v117
	v_cndmask_b32_e64 v150, v150, 0x77, vcc_lo
	v_cndmask_b32_e32 v146, v164, v146, vcc_lo
	s_delay_alu instid0(VALU_DEP_3) | instskip(NEXT) | instid1(VALU_DEP_3)
	v_cndmask_b32_e64 v117, v117, 0xffffff8a, vcc_lo
	v_lshl_add_u32 v164, 0x100000, v150, -1
	s_delay_alu instid0(VALU_DEP_3) | instskip(SKIP_1) | instid1(VALU_DEP_4)
	v_lshrrev_b32_e32 v176, v150, v146
	v_lshlrev_b32_e64 v42, v150, 0x80000
	v_add_nc_u32_e32 v150, v150, v117
	s_delay_alu instid0(VALU_DEP_4) | instskip(NEXT) | instid1(VALU_DEP_4)
	v_and_b32_e32 v146, v164, v146
	v_bfe_u32 v182, v176, 20, 1
	s_delay_alu instid0(VALU_DEP_2) | instskip(NEXT) | instid1(VALU_DEP_2)
	v_cmp_eq_u32_e64 s11, v146, v42
	v_add_nc_u32_e32 v164, -1, v182
	s_delay_alu instid0(VALU_DEP_1) | instskip(SKIP_2) | instid1(VALU_DEP_2)
	v_cndmask_b32_e64 v146, 0, v164, s11
	v_lshrrev_b32_e32 v164, 23, v176
	s_mov_b32 s11, exec_lo
	v_add_nc_u32_e32 v146, v146, v176
	s_delay_alu instid0(VALU_DEP_2) | instskip(NEXT) | instid1(VALU_DEP_2)
	v_xor_b32_e32 v164, 1, v164
	v_and_b32_e32 v117, 0xfffff, v146
	s_delay_alu instid0(VALU_DEP_1) | instskip(NEXT) | instid1(VALU_DEP_3)
	v_add_nc_u32_e32 v146, v117, v176
                                        ; implicit-def: $vgpr117
	v_cmpx_ne_u32_e64 v150, v164
	s_xor_b32 s11, exec_lo, s11
; %bb.1922:                             ;   in Loop: Header=BB6_142 Depth=2
	s_delay_alu instid0(VALU_DEP_2) | instskip(SKIP_2) | instid1(VALU_DEP_2)
	v_cmp_lt_u32_e32 vcc_lo, 0xffffff, v146
	v_sub_nc_u32_e32 v117, v150, v164
	v_cndmask_b32_e64 v150, 0, 1, vcc_lo
	v_add_co_ci_u32_e32 v117, vcc_lo, 0, v117, vcc_lo
	s_delay_alu instid0(VALU_DEP_2)
	v_lshrrev_b32_e32 v146, v150, v146
; %bb.1923:                             ;   in Loop: Header=BB6_142 Depth=2
	s_and_not1_saveexec_b32 s11, s11
; %bb.1924:                             ;   in Loop: Header=BB6_142 Depth=2
	s_delay_alu instid0(VALU_DEP_1)
	v_bfe_u32 v117, v146, 23, 1
; %bb.1925:                             ;   in Loop: Header=BB6_142 Depth=2
	s_or_b32 exec_lo, exec_lo, s11
	v_lshrrev_b32_e32 v146, 20, v146
	s_delay_alu instid0(VALU_DEP_2) | instskip(SKIP_2) | instid1(VALU_DEP_3)
	v_min_i32_e32 v150, 15, v117
	v_cmp_gt_i32_e32 vcc_lo, 16, v117
	v_lshrrev_b32_e32 v132, 24, v132
	v_lshlrev_b32_e32 v150, 3, v150
	v_cndmask_b32_e32 v146, 7, v146, vcc_lo
	s_delay_alu instid0(VALU_DEP_3) | instskip(NEXT) | instid1(VALU_DEP_3)
	v_and_b32_e32 v132, 0x80, v132
	v_and_b32_e32 v150, 0xf8, v150
	s_delay_alu instid0(VALU_DEP_3) | instskip(SKIP_1) | instid1(VALU_DEP_2)
	v_and_b32_e32 v164, 7, v146
	v_or_b32_e32 v117, v117, v146
	v_or3_b32 v132, v150, v132, v164
	s_delay_alu instid0(VALU_DEP_2) | instskip(NEXT) | instid1(VALU_DEP_2)
	v_cmp_ne_u32_e32 vcc_lo, 0, v117
	v_cndmask_b32_e32 v117, 0, v132, vcc_lo
.LBB6_1926:                             ;   in Loop: Header=BB6_142 Depth=2
	s_or_b32 exec_lo, exec_lo, s26
.LBB6_1927:                             ;   in Loop: Header=BB6_142 Depth=2
	s_delay_alu instid0(SALU_CYCLE_1) | instskip(SKIP_3) | instid1(VALU_DEP_1)
	s_or_b32 exec_lo, exec_lo, s25
	v_lshrrev_b32_e32 v146, 24, v129
	s_mov_b32 s11, 0
	s_mov_b32 s26, exec_lo
                                        ; implicit-def: $sgpr25
	v_cmpx_lt_i16_e64 0x7f, v146
	s_xor_b32 s26, exec_lo, s26
	s_cbranch_execnz .LBB6_2701
; %bb.1928:                             ;   in Loop: Header=BB6_142 Depth=2
	s_or_saveexec_b32 s26, s26
	v_mov_b32_e32 v132, s25
	s_xor_b32 exec_lo, exec_lo, s26
	s_cbranch_execnz .LBB6_2704
.LBB6_1929:                             ;   in Loop: Header=BB6_142 Depth=2
	s_or_b32 exec_lo, exec_lo, s26
	s_and_saveexec_b32 s25, s11
	s_cbranch_execz .LBB6_1931
.LBB6_1930:                             ;   in Loop: Header=BB6_142 Depth=2
	v_bfe_u32 v132, v129, 24, 3
	s_delay_alu instid0(VALU_DEP_1) | instskip(NEXT) | instid1(VALU_DEP_1)
	v_clz_i32_u32_e32 v150, v132
	v_min_u32_e32 v150, 32, v150
	s_delay_alu instid0(VALU_DEP_1) | instskip(SKIP_1) | instid1(VALU_DEP_2)
	v_subrev_nc_u32_e32 v164, 28, v150
	v_sub_nc_u32_e32 v150, 29, v150
	v_lshlrev_b32_e32 v146, v164, v146
	v_bfe_u32 v164, v129, 27, 4
	v_and_b32_e32 v129, 0x80000000, v129
	s_delay_alu instid0(VALU_DEP_3) | instskip(NEXT) | instid1(VALU_DEP_3)
	v_and_b32_e32 v146, 7, v146
	v_cmp_eq_u32_e32 vcc_lo, 0, v164
	v_cndmask_b32_e32 v150, v164, v150, vcc_lo
	s_delay_alu instid0(VALU_DEP_3) | instskip(NEXT) | instid1(VALU_DEP_2)
	v_cndmask_b32_e32 v132, v132, v146, vcc_lo
	v_lshl_add_u32 v146, v150, 23, 0x3b800000
	s_delay_alu instid0(VALU_DEP_2) | instskip(NEXT) | instid1(VALU_DEP_1)
	v_lshlrev_b32_e32 v132, 20, v132
	v_or3_b32 v132, v129, v146, v132
.LBB6_1931:                             ;   in Loop: Header=BB6_142 Depth=2
	s_or_b32 exec_lo, exec_lo, s25
	v_lshrrev_b32_e32 v129, 24, v13
	s_mov_b32 s11, 0
	s_mov_b32 s26, exec_lo
                                        ; implicit-def: $sgpr25
	s_delay_alu instid0(VALU_DEP_1)
	v_cmpx_lt_i16_e64 0x7f, v129
	s_xor_b32 s26, exec_lo, s26
	s_cbranch_execnz .LBB6_2705
; %bb.1932:                             ;   in Loop: Header=BB6_142 Depth=2
	s_or_saveexec_b32 s26, s26
	v_mov_b32_e32 v146, s25
	s_xor_b32 exec_lo, exec_lo, s26
	s_cbranch_execnz .LBB6_2708
.LBB6_1933:                             ;   in Loop: Header=BB6_142 Depth=2
	s_or_b32 exec_lo, exec_lo, s26
	s_and_saveexec_b32 s25, s11
	s_cbranch_execz .LBB6_1935
.LBB6_1934:                             ;   in Loop: Header=BB6_142 Depth=2
	v_bfe_u32 v146, v13, 24, 3
	s_delay_alu instid0(VALU_DEP_1) | instskip(NEXT) | instid1(VALU_DEP_1)
	v_clz_i32_u32_e32 v150, v146
	v_min_u32_e32 v150, 32, v150
	s_delay_alu instid0(VALU_DEP_1) | instskip(SKIP_1) | instid1(VALU_DEP_2)
	v_subrev_nc_u32_e32 v164, 28, v150
	v_sub_nc_u32_e32 v150, 29, v150
	v_lshlrev_b32_e32 v129, v164, v129
	v_bfe_u32 v164, v13, 27, 4
	v_and_b32_e32 v13, 0x80000000, v13
	s_delay_alu instid0(VALU_DEP_2) | instskip(NEXT) | instid1(VALU_DEP_4)
	v_cmp_eq_u32_e32 vcc_lo, 0, v164
	v_dual_cndmask_b32 v150, v164, v150 :: v_dual_and_b32 v129, 7, v129
	s_delay_alu instid0(VALU_DEP_1) | instskip(NEXT) | instid1(VALU_DEP_2)
	v_cndmask_b32_e32 v129, v146, v129, vcc_lo
	v_lshl_add_u32 v146, v150, 23, 0x3b800000
	s_delay_alu instid0(VALU_DEP_2) | instskip(NEXT) | instid1(VALU_DEP_1)
	v_lshlrev_b32_e32 v129, 20, v129
	v_or3_b32 v146, v13, v146, v129
.LBB6_1935:                             ;   in Loop: Header=BB6_142 Depth=2
	s_or_b32 exec_lo, exec_lo, s25
	s_delay_alu instid0(VALU_DEP_1) | instskip(NEXT) | instid1(VALU_DEP_1)
	v_add_f32_e32 v129, v132, v146
	v_and_b32_e32 v13, 0x7f800000, v129
	s_delay_alu instid0(VALU_DEP_1)
	v_cmp_ne_u32_e32 vcc_lo, 0x7f800000, v13
	v_mov_b32_e32 v13, 0x8000
	s_and_saveexec_b32 s25, vcc_lo
	s_cbranch_execz .LBB6_141
; %bb.1936:                             ;   in Loop: Header=BB6_142 Depth=2
	v_mov_b32_e32 v13, 0
	s_mov_b32 s26, exec_lo
	v_cmpx_ne_u32_e32 0, v129
	s_cbranch_execz .LBB6_140
; %bb.1937:                             ;   in Loop: Header=BB6_142 Depth=2
	v_bfe_u32 v13, v129, 23, 8
	v_and_b32_e32 v132, 0x7fffff, v129
	s_delay_alu instid0(VALU_DEP_2) | instskip(SKIP_1) | instid1(VALU_DEP_3)
	v_sub_nc_u32_e32 v146, 0x78, v13
	v_cmp_gt_u32_e32 vcc_lo, 0x79, v13
	v_or_b32_e32 v150, 0x800000, v132
	s_delay_alu instid0(VALU_DEP_3) | instskip(SKIP_2) | instid1(VALU_DEP_3)
	v_cndmask_b32_e32 v146, 0, v146, vcc_lo
	v_cmp_eq_u32_e32 vcc_lo, 0, v13
	v_add_nc_u32_e32 v13, 0xffffff89, v13
	v_cndmask_b32_e64 v146, v146, 0x77, vcc_lo
	v_cndmask_b32_e32 v132, v150, v132, vcc_lo
	s_delay_alu instid0(VALU_DEP_3) | instskip(NEXT) | instid1(VALU_DEP_3)
	v_cndmask_b32_e64 v13, v13, 0xffffff8a, vcc_lo
	v_lshl_add_u32 v150, 0x100000, v146, -1
	s_delay_alu instid0(VALU_DEP_3) | instskip(SKIP_1) | instid1(VALU_DEP_4)
	v_lshrrev_b32_e32 v164, v146, v132
	v_lshlrev_b32_e64 v182, v146, 0x80000
	v_add_nc_u32_e32 v146, v146, v13
	s_delay_alu instid0(VALU_DEP_4) | instskip(NEXT) | instid1(VALU_DEP_4)
	v_and_b32_e32 v132, v150, v132
	v_bfe_u32 v176, v164, 20, 1
	s_delay_alu instid0(VALU_DEP_2) | instskip(NEXT) | instid1(VALU_DEP_2)
	v_cmp_eq_u32_e64 s11, v132, v182
	v_add_nc_u32_e32 v150, -1, v176
	s_delay_alu instid0(VALU_DEP_1) | instskip(SKIP_2) | instid1(VALU_DEP_2)
	v_cndmask_b32_e64 v132, 0, v150, s11
	v_lshrrev_b32_e32 v150, 23, v164
	s_mov_b32 s11, exec_lo
	v_add_nc_u32_e32 v132, v132, v164
	s_delay_alu instid0(VALU_DEP_2) | instskip(NEXT) | instid1(VALU_DEP_2)
	v_xor_b32_e32 v150, 1, v150
	v_and_b32_e32 v13, 0xfffff, v132
	s_delay_alu instid0(VALU_DEP_1) | instskip(NEXT) | instid1(VALU_DEP_3)
	v_add_nc_u32_e32 v132, v13, v164
                                        ; implicit-def: $vgpr13
	v_cmpx_ne_u32_e64 v146, v150
	s_xor_b32 s11, exec_lo, s11
; %bb.1938:                             ;   in Loop: Header=BB6_142 Depth=2
	s_delay_alu instid0(VALU_DEP_2) | instskip(SKIP_2) | instid1(VALU_DEP_2)
	v_cmp_lt_u32_e32 vcc_lo, 0xffffff, v132
	v_sub_nc_u32_e32 v13, v146, v150
	v_cndmask_b32_e64 v146, 0, 1, vcc_lo
	v_add_co_ci_u32_e32 v13, vcc_lo, 0, v13, vcc_lo
	s_delay_alu instid0(VALU_DEP_2)
	v_lshrrev_b32_e32 v132, v146, v132
; %bb.1939:                             ;   in Loop: Header=BB6_142 Depth=2
	s_and_not1_saveexec_b32 s11, s11
	s_cbranch_execz .LBB6_139
; %bb.1940:                             ;   in Loop: Header=BB6_142 Depth=2
	s_delay_alu instid0(VALU_DEP_1)
	v_bfe_u32 v13, v132, 23, 1
	s_branch .LBB6_139
.LBB6_1941:                             ;   in Loop: Header=BB6_142 Depth=2
	s_mov_b32 s11, -1
	s_mov_b32 s28, exec_lo
                                        ; implicit-def: $sgpr26
	v_cmpx_eq_u16_e32 0x80, v15
; %bb.1942:                             ;   in Loop: Header=BB6_142 Depth=2
	s_mov_b32 s26, 0x7f800001
	s_xor_b32 s11, exec_lo, -1
; %bb.1943:                             ;   in Loop: Header=BB6_142 Depth=2
	s_or_b32 exec_lo, exec_lo, s28
	s_delay_alu instid0(SALU_CYCLE_1)
	s_and_b32 s11, s11, exec_lo
                                        ; implicit-def: $vgpr15
	s_or_saveexec_b32 s27, s27
	v_mov_b32_e32 v14, s26
	s_xor_b32 exec_lo, exec_lo, s27
	s_cbranch_execz .LBB6_153
.LBB6_1944:                             ;   in Loop: Header=BB6_142 Depth=2
	v_cmp_ne_u16_e32 vcc_lo, 0, v15
	v_mov_b32_e32 v14, 0
	s_and_not1_b32 s11, s11, exec_lo
	s_and_b32 s26, vcc_lo, exec_lo
	s_delay_alu instid0(SALU_CYCLE_1)
	s_or_b32 s11, s11, s26
	s_or_b32 exec_lo, exec_lo, s27
	s_and_saveexec_b32 s26, s11
	s_cbranch_execnz .LBB6_154
	s_branch .LBB6_155
.LBB6_1945:                             ;   in Loop: Header=BB6_142 Depth=2
	s_mov_b32 s11, -1
	s_mov_b32 s28, exec_lo
                                        ; implicit-def: $sgpr26
	v_cmpx_eq_u16_e32 0x80, v14
; %bb.1946:                             ;   in Loop: Header=BB6_142 Depth=2
	s_mov_b32 s26, 0x7f800001
	s_xor_b32 s11, exec_lo, -1
; %bb.1947:                             ;   in Loop: Header=BB6_142 Depth=2
	s_or_b32 exec_lo, exec_lo, s28
	s_delay_alu instid0(SALU_CYCLE_1)
	s_and_b32 s11, s11, exec_lo
	s_or_saveexec_b32 s27, s27
	v_mov_b32_e32 v15, s26
	s_xor_b32 exec_lo, exec_lo, s27
	s_cbranch_execz .LBB6_165
.LBB6_1948:                             ;   in Loop: Header=BB6_142 Depth=2
	v_cmp_ne_u16_e32 vcc_lo, 0, v14
	v_mov_b32_e32 v15, 0
	s_and_not1_b32 s11, s11, exec_lo
	s_and_b32 s26, vcc_lo, exec_lo
	s_delay_alu instid0(SALU_CYCLE_1)
	s_or_b32 s11, s11, s26
	s_or_b32 exec_lo, exec_lo, s27
	s_and_saveexec_b32 s26, s11
	s_cbranch_execnz .LBB6_166
	s_branch .LBB6_167
.LBB6_1949:                             ;   in Loop: Header=BB6_142 Depth=2
	s_mov_b32 s11, -1
	s_mov_b32 s28, exec_lo
                                        ; implicit-def: $sgpr26
	v_cmpx_eq_u16_e32 0x80, v16
; %bb.1950:                             ;   in Loop: Header=BB6_142 Depth=2
	s_mov_b32 s26, 0x7f800001
	s_xor_b32 s11, exec_lo, -1
; %bb.1951:                             ;   in Loop: Header=BB6_142 Depth=2
	s_or_b32 exec_lo, exec_lo, s28
	s_delay_alu instid0(SALU_CYCLE_1)
	s_and_b32 s11, s11, exec_lo
                                        ; implicit-def: $vgpr16
	s_or_saveexec_b32 s27, s27
	v_mov_b32_e32 v15, s26
	s_xor_b32 exec_lo, exec_lo, s27
	s_cbranch_execz .LBB6_177
.LBB6_1952:                             ;   in Loop: Header=BB6_142 Depth=2
	v_cmp_ne_u16_e32 vcc_lo, 0, v16
	v_mov_b32_e32 v15, 0
	s_and_not1_b32 s11, s11, exec_lo
	s_and_b32 s26, vcc_lo, exec_lo
	s_delay_alu instid0(SALU_CYCLE_1)
	s_or_b32 s11, s11, s26
	s_or_b32 exec_lo, exec_lo, s27
	s_and_saveexec_b32 s26, s11
	s_cbranch_execnz .LBB6_178
	s_branch .LBB6_179
.LBB6_1953:                             ;   in Loop: Header=BB6_142 Depth=2
	s_mov_b32 s11, -1
	s_mov_b32 s28, exec_lo
                                        ; implicit-def: $sgpr26
	v_cmpx_eq_u16_e32 0x80, v14
; %bb.1954:                             ;   in Loop: Header=BB6_142 Depth=2
	s_mov_b32 s26, 0x7f800001
	s_xor_b32 s11, exec_lo, -1
; %bb.1955:                             ;   in Loop: Header=BB6_142 Depth=2
	s_or_b32 exec_lo, exec_lo, s28
	s_delay_alu instid0(SALU_CYCLE_1)
	s_and_b32 s11, s11, exec_lo
	s_or_saveexec_b32 s27, s27
	v_mov_b32_e32 v15, s26
	s_xor_b32 exec_lo, exec_lo, s27
	s_cbranch_execz .LBB6_189
.LBB6_1956:                             ;   in Loop: Header=BB6_142 Depth=2
	v_cmp_ne_u16_e32 vcc_lo, 0, v14
	v_mov_b32_e32 v15, 0
	s_and_not1_b32 s11, s11, exec_lo
	s_and_b32 s26, vcc_lo, exec_lo
	s_delay_alu instid0(SALU_CYCLE_1)
	s_or_b32 s11, s11, s26
	s_or_b32 exec_lo, exec_lo, s27
	s_and_saveexec_b32 s26, s11
	s_cbranch_execnz .LBB6_190
	s_branch .LBB6_191
.LBB6_1957:                             ;   in Loop: Header=BB6_142 Depth=2
	s_mov_b32 s11, -1
	s_mov_b32 s28, exec_lo
                                        ; implicit-def: $sgpr26
	v_cmpx_eq_u16_e32 0x80, v14
; %bb.1958:                             ;   in Loop: Header=BB6_142 Depth=2
	s_mov_b32 s26, 0x7f800001
	s_xor_b32 s11, exec_lo, -1
; %bb.1959:                             ;   in Loop: Header=BB6_142 Depth=2
	s_or_b32 exec_lo, exec_lo, s28
	s_delay_alu instid0(SALU_CYCLE_1)
	s_and_b32 s11, s11, exec_lo
                                        ; implicit-def: $vgpr14
	s_or_saveexec_b32 s27, s27
	v_mov_b32_e32 v10, s26
	s_xor_b32 exec_lo, exec_lo, s27
	s_cbranch_execz .LBB6_201
.LBB6_1960:                             ;   in Loop: Header=BB6_142 Depth=2
	v_cmp_ne_u16_e32 vcc_lo, 0, v14
	v_mov_b32_e32 v10, 0
	s_and_not1_b32 s11, s11, exec_lo
	s_and_b32 s26, vcc_lo, exec_lo
	s_delay_alu instid0(SALU_CYCLE_1)
	s_or_b32 s11, s11, s26
	s_or_b32 exec_lo, exec_lo, s27
	s_and_saveexec_b32 s26, s11
	s_cbranch_execnz .LBB6_202
	s_branch .LBB6_203
.LBB6_1961:                             ;   in Loop: Header=BB6_142 Depth=2
	s_mov_b32 s11, -1
	s_mov_b32 s28, exec_lo
                                        ; implicit-def: $sgpr26
	v_cmpx_eq_u16_e32 0x80, v10
; %bb.1962:                             ;   in Loop: Header=BB6_142 Depth=2
	s_mov_b32 s26, 0x7f800001
	s_xor_b32 s11, exec_lo, -1
; %bb.1963:                             ;   in Loop: Header=BB6_142 Depth=2
	s_or_b32 exec_lo, exec_lo, s28
	s_delay_alu instid0(SALU_CYCLE_1)
	s_and_b32 s11, s11, exec_lo
	s_or_saveexec_b32 s27, s27
	v_mov_b32_e32 v14, s26
	s_xor_b32 exec_lo, exec_lo, s27
	s_cbranch_execz .LBB6_213
.LBB6_1964:                             ;   in Loop: Header=BB6_142 Depth=2
	v_cmp_ne_u16_e32 vcc_lo, 0, v10
	v_mov_b32_e32 v14, 0
	s_and_not1_b32 s11, s11, exec_lo
	s_and_b32 s26, vcc_lo, exec_lo
	s_delay_alu instid0(SALU_CYCLE_1)
	s_or_b32 s11, s11, s26
	s_or_b32 exec_lo, exec_lo, s27
	s_and_saveexec_b32 s26, s11
	s_cbranch_execnz .LBB6_214
	s_branch .LBB6_215
.LBB6_1965:                             ;   in Loop: Header=BB6_142 Depth=2
	s_mov_b32 s11, -1
	s_mov_b32 s28, exec_lo
                                        ; implicit-def: $sgpr26
	v_cmpx_eq_u16_e32 0x80, v15
; %bb.1966:                             ;   in Loop: Header=BB6_142 Depth=2
	s_mov_b32 s26, 0x7f800001
	s_xor_b32 s11, exec_lo, -1
; %bb.1967:                             ;   in Loop: Header=BB6_142 Depth=2
	s_or_b32 exec_lo, exec_lo, s28
	s_delay_alu instid0(SALU_CYCLE_1)
	s_and_b32 s11, s11, exec_lo
                                        ; implicit-def: $vgpr15
	s_or_saveexec_b32 s27, s27
	v_mov_b32_e32 v14, s26
	s_xor_b32 exec_lo, exec_lo, s27
	s_cbranch_execz .LBB6_225
.LBB6_1968:                             ;   in Loop: Header=BB6_142 Depth=2
	v_cmp_ne_u16_e32 vcc_lo, 0, v15
	v_mov_b32_e32 v14, 0
	s_and_not1_b32 s11, s11, exec_lo
	s_and_b32 s26, vcc_lo, exec_lo
	s_delay_alu instid0(SALU_CYCLE_1)
	s_or_b32 s11, s11, s26
	s_or_b32 exec_lo, exec_lo, s27
	s_and_saveexec_b32 s26, s11
	s_cbranch_execnz .LBB6_226
	s_branch .LBB6_227
.LBB6_1969:                             ;   in Loop: Header=BB6_142 Depth=2
	s_mov_b32 s11, -1
	s_mov_b32 s28, exec_lo
                                        ; implicit-def: $sgpr26
	v_cmpx_eq_u16_e32 0x80, v10
; %bb.1970:                             ;   in Loop: Header=BB6_142 Depth=2
	s_mov_b32 s26, 0x7f800001
	s_xor_b32 s11, exec_lo, -1
; %bb.1971:                             ;   in Loop: Header=BB6_142 Depth=2
	s_or_b32 exec_lo, exec_lo, s28
	s_delay_alu instid0(SALU_CYCLE_1)
	s_and_b32 s11, s11, exec_lo
	s_or_saveexec_b32 s27, s27
	v_mov_b32_e32 v14, s26
	s_xor_b32 exec_lo, exec_lo, s27
	s_cbranch_execz .LBB6_237
.LBB6_1972:                             ;   in Loop: Header=BB6_142 Depth=2
	v_cmp_ne_u16_e32 vcc_lo, 0, v10
	v_mov_b32_e32 v14, 0
	s_and_not1_b32 s11, s11, exec_lo
	s_and_b32 s26, vcc_lo, exec_lo
	s_delay_alu instid0(SALU_CYCLE_1)
	s_or_b32 s11, s11, s26
	s_or_b32 exec_lo, exec_lo, s27
	s_and_saveexec_b32 s26, s11
	s_cbranch_execnz .LBB6_238
	s_branch .LBB6_239
.LBB6_1973:                             ;   in Loop: Header=BB6_142 Depth=2
	s_mov_b32 s11, -1
	s_mov_b32 s28, exec_lo
                                        ; implicit-def: $sgpr26
	v_cmpx_eq_u16_e32 0x80, v11
; %bb.1974:                             ;   in Loop: Header=BB6_142 Depth=2
	s_mov_b32 s26, 0x7f800001
	s_xor_b32 s11, exec_lo, -1
; %bb.1975:                             ;   in Loop: Header=BB6_142 Depth=2
	s_or_b32 exec_lo, exec_lo, s28
	s_delay_alu instid0(SALU_CYCLE_1)
	s_and_b32 s11, s11, exec_lo
                                        ; implicit-def: $vgpr11
	s_or_saveexec_b32 s27, s27
	v_mov_b32_e32 v10, s26
	s_xor_b32 exec_lo, exec_lo, s27
	s_cbranch_execz .LBB6_249
.LBB6_1976:                             ;   in Loop: Header=BB6_142 Depth=2
	v_cmp_ne_u16_e32 vcc_lo, 0, v11
	v_mov_b32_e32 v10, 0
	s_and_not1_b32 s11, s11, exec_lo
	s_and_b32 s26, vcc_lo, exec_lo
	s_delay_alu instid0(SALU_CYCLE_1)
	s_or_b32 s11, s11, s26
	s_or_b32 exec_lo, exec_lo, s27
	s_and_saveexec_b32 s26, s11
	s_cbranch_execnz .LBB6_250
	s_branch .LBB6_251
.LBB6_1977:                             ;   in Loop: Header=BB6_142 Depth=2
	s_mov_b32 s11, -1
	s_mov_b32 s28, exec_lo
                                        ; implicit-def: $sgpr26
	v_cmpx_eq_u16_e32 0x80, v10
; %bb.1978:                             ;   in Loop: Header=BB6_142 Depth=2
	s_mov_b32 s26, 0x7f800001
	s_xor_b32 s11, exec_lo, -1
; %bb.1979:                             ;   in Loop: Header=BB6_142 Depth=2
	s_or_b32 exec_lo, exec_lo, s28
	s_delay_alu instid0(SALU_CYCLE_1)
	s_and_b32 s11, s11, exec_lo
	s_or_saveexec_b32 s27, s27
	v_mov_b32_e32 v11, s26
	s_xor_b32 exec_lo, exec_lo, s27
	s_cbranch_execz .LBB6_261
.LBB6_1980:                             ;   in Loop: Header=BB6_142 Depth=2
	v_cmp_ne_u16_e32 vcc_lo, 0, v10
	v_mov_b32_e32 v11, 0
	s_and_not1_b32 s11, s11, exec_lo
	s_and_b32 s26, vcc_lo, exec_lo
	s_delay_alu instid0(SALU_CYCLE_1)
	s_or_b32 s11, s11, s26
	s_or_b32 exec_lo, exec_lo, s27
	s_and_saveexec_b32 s26, s11
	s_cbranch_execnz .LBB6_262
	s_branch .LBB6_263
.LBB6_1981:                             ;   in Loop: Header=BB6_142 Depth=2
	s_mov_b32 s11, -1
	s_mov_b32 s28, exec_lo
                                        ; implicit-def: $sgpr26
	v_cmpx_eq_u16_e32 0x80, v14
; %bb.1982:                             ;   in Loop: Header=BB6_142 Depth=2
	s_mov_b32 s26, 0x7f800001
	s_xor_b32 s11, exec_lo, -1
; %bb.1983:                             ;   in Loop: Header=BB6_142 Depth=2
	s_or_b32 exec_lo, exec_lo, s28
	s_delay_alu instid0(SALU_CYCLE_1)
	s_and_b32 s11, s11, exec_lo
                                        ; implicit-def: $vgpr14
	s_or_saveexec_b32 s27, s27
	v_mov_b32_e32 v11, s26
	s_xor_b32 exec_lo, exec_lo, s27
	s_cbranch_execz .LBB6_273
.LBB6_1984:                             ;   in Loop: Header=BB6_142 Depth=2
	v_cmp_ne_u16_e32 vcc_lo, 0, v14
	v_mov_b32_e32 v11, 0
	s_and_not1_b32 s11, s11, exec_lo
	s_and_b32 s26, vcc_lo, exec_lo
	s_delay_alu instid0(SALU_CYCLE_1)
	s_or_b32 s11, s11, s26
	s_or_b32 exec_lo, exec_lo, s27
	s_and_saveexec_b32 s26, s11
	s_cbranch_execnz .LBB6_274
	s_branch .LBB6_275
.LBB6_1985:                             ;   in Loop: Header=BB6_142 Depth=2
	s_mov_b32 s11, -1
	s_mov_b32 s28, exec_lo
                                        ; implicit-def: $sgpr26
	v_cmpx_eq_u16_e32 0x80, v10
; %bb.1986:                             ;   in Loop: Header=BB6_142 Depth=2
	s_mov_b32 s26, 0x7f800001
	s_xor_b32 s11, exec_lo, -1
; %bb.1987:                             ;   in Loop: Header=BB6_142 Depth=2
	s_or_b32 exec_lo, exec_lo, s28
	s_delay_alu instid0(SALU_CYCLE_1)
	s_and_b32 s11, s11, exec_lo
	s_or_saveexec_b32 s27, s27
	v_mov_b32_e32 v11, s26
	s_xor_b32 exec_lo, exec_lo, s27
	s_cbranch_execz .LBB6_285
.LBB6_1988:                             ;   in Loop: Header=BB6_142 Depth=2
	v_cmp_ne_u16_e32 vcc_lo, 0, v10
	v_mov_b32_e32 v11, 0
	s_and_not1_b32 s11, s11, exec_lo
	s_and_b32 s26, vcc_lo, exec_lo
	s_delay_alu instid0(SALU_CYCLE_1)
	s_or_b32 s11, s11, s26
	s_or_b32 exec_lo, exec_lo, s27
	s_and_saveexec_b32 s26, s11
	s_cbranch_execnz .LBB6_286
	s_branch .LBB6_287
.LBB6_1989:                             ;   in Loop: Header=BB6_142 Depth=2
	s_mov_b32 s11, -1
	s_mov_b32 s28, exec_lo
                                        ; implicit-def: $sgpr26
	v_cmpx_eq_u16_e32 0x80, v11
; %bb.1990:                             ;   in Loop: Header=BB6_142 Depth=2
	s_mov_b32 s26, 0x7f800001
	s_xor_b32 s11, exec_lo, -1
; %bb.1991:                             ;   in Loop: Header=BB6_142 Depth=2
	s_or_b32 exec_lo, exec_lo, s28
	s_delay_alu instid0(SALU_CYCLE_1)
	s_and_b32 s11, s11, exec_lo
                                        ; implicit-def: $vgpr11
	s_or_saveexec_b32 s27, s27
	v_mov_b32_e32 v10, s26
	s_xor_b32 exec_lo, exec_lo, s27
	s_cbranch_execz .LBB6_297
.LBB6_1992:                             ;   in Loop: Header=BB6_142 Depth=2
	v_cmp_ne_u16_e32 vcc_lo, 0, v11
	v_mov_b32_e32 v10, 0
	s_and_not1_b32 s11, s11, exec_lo
	s_and_b32 s26, vcc_lo, exec_lo
	s_delay_alu instid0(SALU_CYCLE_1)
	s_or_b32 s11, s11, s26
	s_or_b32 exec_lo, exec_lo, s27
	s_and_saveexec_b32 s26, s11
	s_cbranch_execnz .LBB6_298
	s_branch .LBB6_299
.LBB6_1993:                             ;   in Loop: Header=BB6_142 Depth=2
	s_mov_b32 s11, -1
	s_mov_b32 s28, exec_lo
                                        ; implicit-def: $sgpr26
	v_cmpx_eq_u16_e32 0x80, v10
; %bb.1994:                             ;   in Loop: Header=BB6_142 Depth=2
	s_mov_b32 s26, 0x7f800001
	s_xor_b32 s11, exec_lo, -1
; %bb.1995:                             ;   in Loop: Header=BB6_142 Depth=2
	s_or_b32 exec_lo, exec_lo, s28
	s_delay_alu instid0(SALU_CYCLE_1)
	s_and_b32 s11, s11, exec_lo
	s_or_saveexec_b32 s27, s27
	v_mov_b32_e32 v11, s26
	s_xor_b32 exec_lo, exec_lo, s27
	s_cbranch_execz .LBB6_309
.LBB6_1996:                             ;   in Loop: Header=BB6_142 Depth=2
	v_cmp_ne_u16_e32 vcc_lo, 0, v10
	v_mov_b32_e32 v11, 0
	s_and_not1_b32 s11, s11, exec_lo
	s_and_b32 s26, vcc_lo, exec_lo
	s_delay_alu instid0(SALU_CYCLE_1)
	s_or_b32 s11, s11, s26
	s_or_b32 exec_lo, exec_lo, s27
	s_and_saveexec_b32 s26, s11
	s_cbranch_execnz .LBB6_310
	s_branch .LBB6_311
.LBB6_1997:                             ;   in Loop: Header=BB6_142 Depth=2
	s_mov_b32 s11, -1
	s_mov_b32 s28, exec_lo
                                        ; implicit-def: $sgpr26
	v_cmpx_eq_u16_e32 0x80, v12
; %bb.1998:                             ;   in Loop: Header=BB6_142 Depth=2
	s_mov_b32 s26, 0x7f800001
	s_xor_b32 s11, exec_lo, -1
; %bb.1999:                             ;   in Loop: Header=BB6_142 Depth=2
	s_or_b32 exec_lo, exec_lo, s28
	s_delay_alu instid0(SALU_CYCLE_1)
	s_and_b32 s11, s11, exec_lo
                                        ; implicit-def: $vgpr12
	s_or_saveexec_b32 s27, s27
	v_mov_b32_e32 v11, s26
	s_xor_b32 exec_lo, exec_lo, s27
	s_cbranch_execz .LBB6_321
.LBB6_2000:                             ;   in Loop: Header=BB6_142 Depth=2
	v_cmp_ne_u16_e32 vcc_lo, 0, v12
	v_mov_b32_e32 v11, 0
	s_and_not1_b32 s11, s11, exec_lo
	s_and_b32 s26, vcc_lo, exec_lo
	s_delay_alu instid0(SALU_CYCLE_1)
	s_or_b32 s11, s11, s26
	s_or_b32 exec_lo, exec_lo, s27
	s_and_saveexec_b32 s26, s11
	s_cbranch_execnz .LBB6_322
	s_branch .LBB6_323
.LBB6_2001:                             ;   in Loop: Header=BB6_142 Depth=2
	s_mov_b32 s11, -1
	s_mov_b32 s28, exec_lo
                                        ; implicit-def: $sgpr26
	v_cmpx_eq_u16_e32 0x80, v10
; %bb.2002:                             ;   in Loop: Header=BB6_142 Depth=2
	s_mov_b32 s26, 0x7f800001
	s_xor_b32 s11, exec_lo, -1
; %bb.2003:                             ;   in Loop: Header=BB6_142 Depth=2
	s_or_b32 exec_lo, exec_lo, s28
	s_delay_alu instid0(SALU_CYCLE_1)
	s_and_b32 s11, s11, exec_lo
	s_or_saveexec_b32 s27, s27
	v_mov_b32_e32 v11, s26
	s_xor_b32 exec_lo, exec_lo, s27
	s_cbranch_execz .LBB6_333
.LBB6_2004:                             ;   in Loop: Header=BB6_142 Depth=2
	v_cmp_ne_u16_e32 vcc_lo, 0, v10
	v_mov_b32_e32 v11, 0
	s_and_not1_b32 s11, s11, exec_lo
	s_and_b32 s26, vcc_lo, exec_lo
	s_delay_alu instid0(SALU_CYCLE_1)
	s_or_b32 s11, s11, s26
	s_or_b32 exec_lo, exec_lo, s27
	s_and_saveexec_b32 s26, s11
	s_cbranch_execnz .LBB6_334
	s_branch .LBB6_335
.LBB6_2005:                             ;   in Loop: Header=BB6_142 Depth=2
	s_mov_b32 s11, -1
	s_mov_b32 s28, exec_lo
                                        ; implicit-def: $sgpr26
	v_cmpx_eq_u16_e32 0x80, v15
; %bb.2006:                             ;   in Loop: Header=BB6_142 Depth=2
	s_mov_b32 s26, 0x7f800001
	s_xor_b32 s11, exec_lo, -1
; %bb.2007:                             ;   in Loop: Header=BB6_142 Depth=2
	s_or_b32 exec_lo, exec_lo, s28
	s_delay_alu instid0(SALU_CYCLE_1)
	s_and_b32 s11, s11, exec_lo
                                        ; implicit-def: $vgpr15
	s_or_saveexec_b32 s27, s27
	v_mov_b32_e32 v14, s26
	s_xor_b32 exec_lo, exec_lo, s27
	s_cbranch_execz .LBB6_345
.LBB6_2008:                             ;   in Loop: Header=BB6_142 Depth=2
	v_cmp_ne_u16_e32 vcc_lo, 0, v15
	v_mov_b32_e32 v14, 0
	s_and_not1_b32 s11, s11, exec_lo
	s_and_b32 s26, vcc_lo, exec_lo
	s_delay_alu instid0(SALU_CYCLE_1)
	s_or_b32 s11, s11, s26
	s_or_b32 exec_lo, exec_lo, s27
	s_and_saveexec_b32 s26, s11
	s_cbranch_execnz .LBB6_346
	s_branch .LBB6_347
.LBB6_2009:                             ;   in Loop: Header=BB6_142 Depth=2
	s_mov_b32 s11, -1
	s_mov_b32 s28, exec_lo
                                        ; implicit-def: $sgpr26
	v_cmpx_eq_u16_e32 0x80, v14
; %bb.2010:                             ;   in Loop: Header=BB6_142 Depth=2
	s_mov_b32 s26, 0x7f800001
	s_xor_b32 s11, exec_lo, -1
; %bb.2011:                             ;   in Loop: Header=BB6_142 Depth=2
	s_or_b32 exec_lo, exec_lo, s28
	s_delay_alu instid0(SALU_CYCLE_1)
	s_and_b32 s11, s11, exec_lo
	s_or_saveexec_b32 s27, s27
	v_mov_b32_e32 v15, s26
	s_xor_b32 exec_lo, exec_lo, s27
	s_cbranch_execz .LBB6_357
.LBB6_2012:                             ;   in Loop: Header=BB6_142 Depth=2
	v_cmp_ne_u16_e32 vcc_lo, 0, v14
	v_mov_b32_e32 v15, 0
	s_and_not1_b32 s11, s11, exec_lo
	s_and_b32 s26, vcc_lo, exec_lo
	s_delay_alu instid0(SALU_CYCLE_1)
	s_or_b32 s11, s11, s26
	s_or_b32 exec_lo, exec_lo, s27
	s_and_saveexec_b32 s26, s11
	s_cbranch_execnz .LBB6_358
	s_branch .LBB6_359
.LBB6_2013:                             ;   in Loop: Header=BB6_142 Depth=2
	s_mov_b32 s11, -1
	s_mov_b32 s28, exec_lo
                                        ; implicit-def: $sgpr26
	v_cmpx_eq_u16_e32 0x80, v16
; %bb.2014:                             ;   in Loop: Header=BB6_142 Depth=2
	s_mov_b32 s26, 0x7f800001
	s_xor_b32 s11, exec_lo, -1
; %bb.2015:                             ;   in Loop: Header=BB6_142 Depth=2
	s_or_b32 exec_lo, exec_lo, s28
	s_delay_alu instid0(SALU_CYCLE_1)
	s_and_b32 s11, s11, exec_lo
                                        ; implicit-def: $vgpr16
	s_or_saveexec_b32 s27, s27
	v_mov_b32_e32 v15, s26
	s_xor_b32 exec_lo, exec_lo, s27
	s_cbranch_execz .LBB6_369
.LBB6_2016:                             ;   in Loop: Header=BB6_142 Depth=2
	v_cmp_ne_u16_e32 vcc_lo, 0, v16
	v_mov_b32_e32 v15, 0
	s_and_not1_b32 s11, s11, exec_lo
	s_and_b32 s26, vcc_lo, exec_lo
	s_delay_alu instid0(SALU_CYCLE_1)
	s_or_b32 s11, s11, s26
	s_or_b32 exec_lo, exec_lo, s27
	s_and_saveexec_b32 s26, s11
	s_cbranch_execnz .LBB6_370
	s_branch .LBB6_371
.LBB6_2017:                             ;   in Loop: Header=BB6_142 Depth=2
	s_mov_b32 s11, -1
	s_mov_b32 s28, exec_lo
                                        ; implicit-def: $sgpr26
	v_cmpx_eq_u16_e32 0x80, v14
; %bb.2018:                             ;   in Loop: Header=BB6_142 Depth=2
	s_mov_b32 s26, 0x7f800001
	s_xor_b32 s11, exec_lo, -1
; %bb.2019:                             ;   in Loop: Header=BB6_142 Depth=2
	s_or_b32 exec_lo, exec_lo, s28
	s_delay_alu instid0(SALU_CYCLE_1)
	s_and_b32 s11, s11, exec_lo
	s_or_saveexec_b32 s27, s27
	v_mov_b32_e32 v15, s26
	s_xor_b32 exec_lo, exec_lo, s27
	s_cbranch_execz .LBB6_381
.LBB6_2020:                             ;   in Loop: Header=BB6_142 Depth=2
	v_cmp_ne_u16_e32 vcc_lo, 0, v14
	v_mov_b32_e32 v15, 0
	s_and_not1_b32 s11, s11, exec_lo
	s_and_b32 s26, vcc_lo, exec_lo
	s_delay_alu instid0(SALU_CYCLE_1)
	s_or_b32 s11, s11, s26
	s_or_b32 exec_lo, exec_lo, s27
	s_and_saveexec_b32 s26, s11
	s_cbranch_execnz .LBB6_382
	s_branch .LBB6_383
.LBB6_2021:                             ;   in Loop: Header=BB6_142 Depth=2
	s_mov_b32 s11, -1
	s_mov_b32 s28, exec_lo
                                        ; implicit-def: $sgpr26
	v_cmpx_eq_u16_e32 0x80, v14
; %bb.2022:                             ;   in Loop: Header=BB6_142 Depth=2
	s_mov_b32 s26, 0x7f800001
	s_xor_b32 s11, exec_lo, -1
; %bb.2023:                             ;   in Loop: Header=BB6_142 Depth=2
	s_or_b32 exec_lo, exec_lo, s28
	s_delay_alu instid0(SALU_CYCLE_1)
	s_and_b32 s11, s11, exec_lo
                                        ; implicit-def: $vgpr14
	s_or_saveexec_b32 s27, s27
	v_mov_b32_e32 v10, s26
	s_xor_b32 exec_lo, exec_lo, s27
	s_cbranch_execz .LBB6_393
.LBB6_2024:                             ;   in Loop: Header=BB6_142 Depth=2
	v_cmp_ne_u16_e32 vcc_lo, 0, v14
	v_mov_b32_e32 v10, 0
	s_and_not1_b32 s11, s11, exec_lo
	s_and_b32 s26, vcc_lo, exec_lo
	s_delay_alu instid0(SALU_CYCLE_1)
	s_or_b32 s11, s11, s26
	s_or_b32 exec_lo, exec_lo, s27
	s_and_saveexec_b32 s26, s11
	s_cbranch_execnz .LBB6_394
	s_branch .LBB6_395
.LBB6_2025:                             ;   in Loop: Header=BB6_142 Depth=2
	s_mov_b32 s11, -1
	s_mov_b32 s28, exec_lo
                                        ; implicit-def: $sgpr26
	v_cmpx_eq_u16_e32 0x80, v10
; %bb.2026:                             ;   in Loop: Header=BB6_142 Depth=2
	s_mov_b32 s26, 0x7f800001
	s_xor_b32 s11, exec_lo, -1
; %bb.2027:                             ;   in Loop: Header=BB6_142 Depth=2
	s_or_b32 exec_lo, exec_lo, s28
	s_delay_alu instid0(SALU_CYCLE_1)
	s_and_b32 s11, s11, exec_lo
	s_or_saveexec_b32 s27, s27
	v_mov_b32_e32 v14, s26
	s_xor_b32 exec_lo, exec_lo, s27
	s_cbranch_execz .LBB6_405
.LBB6_2028:                             ;   in Loop: Header=BB6_142 Depth=2
	v_cmp_ne_u16_e32 vcc_lo, 0, v10
	v_mov_b32_e32 v14, 0
	s_and_not1_b32 s11, s11, exec_lo
	s_and_b32 s26, vcc_lo, exec_lo
	s_delay_alu instid0(SALU_CYCLE_1)
	s_or_b32 s11, s11, s26
	s_or_b32 exec_lo, exec_lo, s27
	s_and_saveexec_b32 s26, s11
	s_cbranch_execnz .LBB6_406
	s_branch .LBB6_407
.LBB6_2029:                             ;   in Loop: Header=BB6_142 Depth=2
	s_mov_b32 s11, -1
	s_mov_b32 s28, exec_lo
                                        ; implicit-def: $sgpr26
	v_cmpx_eq_u16_e32 0x80, v15
; %bb.2030:                             ;   in Loop: Header=BB6_142 Depth=2
	s_mov_b32 s26, 0x7f800001
	s_xor_b32 s11, exec_lo, -1
; %bb.2031:                             ;   in Loop: Header=BB6_142 Depth=2
	s_or_b32 exec_lo, exec_lo, s28
	s_delay_alu instid0(SALU_CYCLE_1)
	s_and_b32 s11, s11, exec_lo
                                        ; implicit-def: $vgpr15
	s_or_saveexec_b32 s27, s27
	v_mov_b32_e32 v14, s26
	s_xor_b32 exec_lo, exec_lo, s27
	s_cbranch_execz .LBB6_417
.LBB6_2032:                             ;   in Loop: Header=BB6_142 Depth=2
	v_cmp_ne_u16_e32 vcc_lo, 0, v15
	v_mov_b32_e32 v14, 0
	s_and_not1_b32 s11, s11, exec_lo
	s_and_b32 s26, vcc_lo, exec_lo
	s_delay_alu instid0(SALU_CYCLE_1)
	s_or_b32 s11, s11, s26
	s_or_b32 exec_lo, exec_lo, s27
	s_and_saveexec_b32 s26, s11
	s_cbranch_execnz .LBB6_418
	s_branch .LBB6_419
.LBB6_2033:                             ;   in Loop: Header=BB6_142 Depth=2
	s_mov_b32 s11, -1
	s_mov_b32 s28, exec_lo
                                        ; implicit-def: $sgpr26
	v_cmpx_eq_u16_e32 0x80, v10
; %bb.2034:                             ;   in Loop: Header=BB6_142 Depth=2
	s_mov_b32 s26, 0x7f800001
	s_xor_b32 s11, exec_lo, -1
; %bb.2035:                             ;   in Loop: Header=BB6_142 Depth=2
	s_or_b32 exec_lo, exec_lo, s28
	s_delay_alu instid0(SALU_CYCLE_1)
	s_and_b32 s11, s11, exec_lo
	s_or_saveexec_b32 s27, s27
	v_mov_b32_e32 v14, s26
	s_xor_b32 exec_lo, exec_lo, s27
	s_cbranch_execz .LBB6_429
.LBB6_2036:                             ;   in Loop: Header=BB6_142 Depth=2
	v_cmp_ne_u16_e32 vcc_lo, 0, v10
	v_mov_b32_e32 v14, 0
	s_and_not1_b32 s11, s11, exec_lo
	s_and_b32 s26, vcc_lo, exec_lo
	s_delay_alu instid0(SALU_CYCLE_1)
	s_or_b32 s11, s11, s26
	s_or_b32 exec_lo, exec_lo, s27
	s_and_saveexec_b32 s26, s11
	s_cbranch_execnz .LBB6_430
	s_branch .LBB6_431
.LBB6_2037:                             ;   in Loop: Header=BB6_142 Depth=2
	s_mov_b32 s11, -1
	s_mov_b32 s28, exec_lo
                                        ; implicit-def: $sgpr26
	v_cmpx_eq_u16_e32 0x80, v11
; %bb.2038:                             ;   in Loop: Header=BB6_142 Depth=2
	s_mov_b32 s26, 0x7f800001
	s_xor_b32 s11, exec_lo, -1
; %bb.2039:                             ;   in Loop: Header=BB6_142 Depth=2
	s_or_b32 exec_lo, exec_lo, s28
	s_delay_alu instid0(SALU_CYCLE_1)
	s_and_b32 s11, s11, exec_lo
                                        ; implicit-def: $vgpr11
	s_or_saveexec_b32 s27, s27
	v_mov_b32_e32 v10, s26
	s_xor_b32 exec_lo, exec_lo, s27
	s_cbranch_execz .LBB6_441
.LBB6_2040:                             ;   in Loop: Header=BB6_142 Depth=2
	v_cmp_ne_u16_e32 vcc_lo, 0, v11
	v_mov_b32_e32 v10, 0
	s_and_not1_b32 s11, s11, exec_lo
	s_and_b32 s26, vcc_lo, exec_lo
	s_delay_alu instid0(SALU_CYCLE_1)
	s_or_b32 s11, s11, s26
	s_or_b32 exec_lo, exec_lo, s27
	s_and_saveexec_b32 s26, s11
	s_cbranch_execnz .LBB6_442
	s_branch .LBB6_443
.LBB6_2041:                             ;   in Loop: Header=BB6_142 Depth=2
	s_mov_b32 s11, -1
	s_mov_b32 s28, exec_lo
                                        ; implicit-def: $sgpr26
	v_cmpx_eq_u16_e32 0x80, v10
; %bb.2042:                             ;   in Loop: Header=BB6_142 Depth=2
	s_mov_b32 s26, 0x7f800001
	s_xor_b32 s11, exec_lo, -1
; %bb.2043:                             ;   in Loop: Header=BB6_142 Depth=2
	s_or_b32 exec_lo, exec_lo, s28
	s_delay_alu instid0(SALU_CYCLE_1)
	s_and_b32 s11, s11, exec_lo
	s_or_saveexec_b32 s27, s27
	v_mov_b32_e32 v11, s26
	s_xor_b32 exec_lo, exec_lo, s27
	s_cbranch_execz .LBB6_453
.LBB6_2044:                             ;   in Loop: Header=BB6_142 Depth=2
	v_cmp_ne_u16_e32 vcc_lo, 0, v10
	v_mov_b32_e32 v11, 0
	s_and_not1_b32 s11, s11, exec_lo
	s_and_b32 s26, vcc_lo, exec_lo
	s_delay_alu instid0(SALU_CYCLE_1)
	s_or_b32 s11, s11, s26
	s_or_b32 exec_lo, exec_lo, s27
	s_and_saveexec_b32 s26, s11
	s_cbranch_execnz .LBB6_454
	s_branch .LBB6_455
.LBB6_2045:                             ;   in Loop: Header=BB6_142 Depth=2
	s_mov_b32 s11, -1
	s_mov_b32 s28, exec_lo
                                        ; implicit-def: $sgpr26
	v_cmpx_eq_u16_e32 0x80, v14
; %bb.2046:                             ;   in Loop: Header=BB6_142 Depth=2
	s_mov_b32 s26, 0x7f800001
	s_xor_b32 s11, exec_lo, -1
; %bb.2047:                             ;   in Loop: Header=BB6_142 Depth=2
	s_or_b32 exec_lo, exec_lo, s28
	s_delay_alu instid0(SALU_CYCLE_1)
	s_and_b32 s11, s11, exec_lo
                                        ; implicit-def: $vgpr14
	s_or_saveexec_b32 s27, s27
	v_mov_b32_e32 v11, s26
	s_xor_b32 exec_lo, exec_lo, s27
	s_cbranch_execz .LBB6_465
.LBB6_2048:                             ;   in Loop: Header=BB6_142 Depth=2
	v_cmp_ne_u16_e32 vcc_lo, 0, v14
	v_mov_b32_e32 v11, 0
	s_and_not1_b32 s11, s11, exec_lo
	s_and_b32 s26, vcc_lo, exec_lo
	s_delay_alu instid0(SALU_CYCLE_1)
	s_or_b32 s11, s11, s26
	s_or_b32 exec_lo, exec_lo, s27
	s_and_saveexec_b32 s26, s11
	s_cbranch_execnz .LBB6_466
	s_branch .LBB6_467
.LBB6_2049:                             ;   in Loop: Header=BB6_142 Depth=2
	s_mov_b32 s11, -1
	s_mov_b32 s28, exec_lo
                                        ; implicit-def: $sgpr26
	v_cmpx_eq_u16_e32 0x80, v10
; %bb.2050:                             ;   in Loop: Header=BB6_142 Depth=2
	s_mov_b32 s26, 0x7f800001
	s_xor_b32 s11, exec_lo, -1
; %bb.2051:                             ;   in Loop: Header=BB6_142 Depth=2
	s_or_b32 exec_lo, exec_lo, s28
	s_delay_alu instid0(SALU_CYCLE_1)
	s_and_b32 s11, s11, exec_lo
	s_or_saveexec_b32 s27, s27
	v_mov_b32_e32 v11, s26
	s_xor_b32 exec_lo, exec_lo, s27
	s_cbranch_execz .LBB6_477
.LBB6_2052:                             ;   in Loop: Header=BB6_142 Depth=2
	v_cmp_ne_u16_e32 vcc_lo, 0, v10
	v_mov_b32_e32 v11, 0
	s_and_not1_b32 s11, s11, exec_lo
	s_and_b32 s26, vcc_lo, exec_lo
	s_delay_alu instid0(SALU_CYCLE_1)
	s_or_b32 s11, s11, s26
	s_or_b32 exec_lo, exec_lo, s27
	s_and_saveexec_b32 s26, s11
	s_cbranch_execnz .LBB6_478
	s_branch .LBB6_479
.LBB6_2053:                             ;   in Loop: Header=BB6_142 Depth=2
	s_mov_b32 s11, -1
	s_mov_b32 s28, exec_lo
                                        ; implicit-def: $sgpr26
	v_cmpx_eq_u16_e32 0x80, v11
; %bb.2054:                             ;   in Loop: Header=BB6_142 Depth=2
	s_mov_b32 s26, 0x7f800001
	s_xor_b32 s11, exec_lo, -1
; %bb.2055:                             ;   in Loop: Header=BB6_142 Depth=2
	s_or_b32 exec_lo, exec_lo, s28
	s_delay_alu instid0(SALU_CYCLE_1)
	s_and_b32 s11, s11, exec_lo
                                        ; implicit-def: $vgpr11
	s_or_saveexec_b32 s27, s27
	v_mov_b32_e32 v10, s26
	s_xor_b32 exec_lo, exec_lo, s27
	s_cbranch_execz .LBB6_489
.LBB6_2056:                             ;   in Loop: Header=BB6_142 Depth=2
	v_cmp_ne_u16_e32 vcc_lo, 0, v11
	v_mov_b32_e32 v10, 0
	s_and_not1_b32 s11, s11, exec_lo
	s_and_b32 s26, vcc_lo, exec_lo
	s_delay_alu instid0(SALU_CYCLE_1)
	s_or_b32 s11, s11, s26
	s_or_b32 exec_lo, exec_lo, s27
	s_and_saveexec_b32 s26, s11
	s_cbranch_execnz .LBB6_490
	s_branch .LBB6_491
.LBB6_2057:                             ;   in Loop: Header=BB6_142 Depth=2
	s_mov_b32 s11, -1
	s_mov_b32 s28, exec_lo
                                        ; implicit-def: $sgpr26
	v_cmpx_eq_u16_e32 0x80, v10
; %bb.2058:                             ;   in Loop: Header=BB6_142 Depth=2
	s_mov_b32 s26, 0x7f800001
	s_xor_b32 s11, exec_lo, -1
; %bb.2059:                             ;   in Loop: Header=BB6_142 Depth=2
	s_or_b32 exec_lo, exec_lo, s28
	s_delay_alu instid0(SALU_CYCLE_1)
	s_and_b32 s11, s11, exec_lo
	s_or_saveexec_b32 s27, s27
	v_mov_b32_e32 v11, s26
	s_xor_b32 exec_lo, exec_lo, s27
	s_cbranch_execz .LBB6_501
.LBB6_2060:                             ;   in Loop: Header=BB6_142 Depth=2
	v_cmp_ne_u16_e32 vcc_lo, 0, v10
	v_mov_b32_e32 v11, 0
	s_and_not1_b32 s11, s11, exec_lo
	s_and_b32 s26, vcc_lo, exec_lo
	s_delay_alu instid0(SALU_CYCLE_1)
	s_or_b32 s11, s11, s26
	s_or_b32 exec_lo, exec_lo, s27
	s_and_saveexec_b32 s26, s11
	s_cbranch_execnz .LBB6_502
	s_branch .LBB6_503
.LBB6_2061:                             ;   in Loop: Header=BB6_142 Depth=2
	s_mov_b32 s11, -1
	s_mov_b32 s28, exec_lo
                                        ; implicit-def: $sgpr26
	v_cmpx_eq_u16_e32 0x80, v12
; %bb.2062:                             ;   in Loop: Header=BB6_142 Depth=2
	s_mov_b32 s26, 0x7f800001
	s_xor_b32 s11, exec_lo, -1
; %bb.2063:                             ;   in Loop: Header=BB6_142 Depth=2
	s_or_b32 exec_lo, exec_lo, s28
	s_delay_alu instid0(SALU_CYCLE_1)
	s_and_b32 s11, s11, exec_lo
                                        ; implicit-def: $vgpr12
	s_or_saveexec_b32 s27, s27
	v_mov_b32_e32 v11, s26
	s_xor_b32 exec_lo, exec_lo, s27
	s_cbranch_execz .LBB6_513
.LBB6_2064:                             ;   in Loop: Header=BB6_142 Depth=2
	v_cmp_ne_u16_e32 vcc_lo, 0, v12
	v_mov_b32_e32 v11, 0
	s_and_not1_b32 s11, s11, exec_lo
	s_and_b32 s26, vcc_lo, exec_lo
	s_delay_alu instid0(SALU_CYCLE_1)
	s_or_b32 s11, s11, s26
	s_or_b32 exec_lo, exec_lo, s27
	s_and_saveexec_b32 s26, s11
	s_cbranch_execnz .LBB6_514
	s_branch .LBB6_515
.LBB6_2065:                             ;   in Loop: Header=BB6_142 Depth=2
	s_mov_b32 s11, -1
	s_mov_b32 s28, exec_lo
                                        ; implicit-def: $sgpr26
	v_cmpx_eq_u16_e32 0x80, v10
; %bb.2066:                             ;   in Loop: Header=BB6_142 Depth=2
	s_mov_b32 s26, 0x7f800001
	s_xor_b32 s11, exec_lo, -1
; %bb.2067:                             ;   in Loop: Header=BB6_142 Depth=2
	s_or_b32 exec_lo, exec_lo, s28
	s_delay_alu instid0(SALU_CYCLE_1)
	s_and_b32 s11, s11, exec_lo
	s_or_saveexec_b32 s27, s27
	v_mov_b32_e32 v11, s26
	s_xor_b32 exec_lo, exec_lo, s27
	s_cbranch_execz .LBB6_525
.LBB6_2068:                             ;   in Loop: Header=BB6_142 Depth=2
	v_cmp_ne_u16_e32 vcc_lo, 0, v10
	v_mov_b32_e32 v11, 0
	s_and_not1_b32 s11, s11, exec_lo
	s_and_b32 s26, vcc_lo, exec_lo
	s_delay_alu instid0(SALU_CYCLE_1)
	s_or_b32 s11, s11, s26
	s_or_b32 exec_lo, exec_lo, s27
	s_and_saveexec_b32 s26, s11
	s_cbranch_execnz .LBB6_526
	s_branch .LBB6_527
.LBB6_2069:                             ;   in Loop: Header=BB6_142 Depth=2
	s_mov_b32 s11, -1
	s_mov_b32 s28, exec_lo
                                        ; implicit-def: $sgpr26
	v_cmpx_eq_u16_e32 0x80, v15
; %bb.2070:                             ;   in Loop: Header=BB6_142 Depth=2
	s_mov_b32 s26, 0x7f800001
	s_xor_b32 s11, exec_lo, -1
; %bb.2071:                             ;   in Loop: Header=BB6_142 Depth=2
	s_or_b32 exec_lo, exec_lo, s28
	s_delay_alu instid0(SALU_CYCLE_1)
	s_and_b32 s11, s11, exec_lo
                                        ; implicit-def: $vgpr15
	s_or_saveexec_b32 s27, s27
	v_mov_b32_e32 v14, s26
	s_xor_b32 exec_lo, exec_lo, s27
	s_cbranch_execz .LBB6_537
.LBB6_2072:                             ;   in Loop: Header=BB6_142 Depth=2
	v_cmp_ne_u16_e32 vcc_lo, 0, v15
	v_mov_b32_e32 v14, 0
	s_and_not1_b32 s11, s11, exec_lo
	s_and_b32 s26, vcc_lo, exec_lo
	s_delay_alu instid0(SALU_CYCLE_1)
	s_or_b32 s11, s11, s26
	s_or_b32 exec_lo, exec_lo, s27
	s_and_saveexec_b32 s26, s11
	s_cbranch_execnz .LBB6_538
	s_branch .LBB6_539
.LBB6_2073:                             ;   in Loop: Header=BB6_142 Depth=2
	s_mov_b32 s11, -1
	s_mov_b32 s28, exec_lo
                                        ; implicit-def: $sgpr26
	v_cmpx_eq_u16_e32 0x80, v14
; %bb.2074:                             ;   in Loop: Header=BB6_142 Depth=2
	s_mov_b32 s26, 0x7f800001
	s_xor_b32 s11, exec_lo, -1
; %bb.2075:                             ;   in Loop: Header=BB6_142 Depth=2
	s_or_b32 exec_lo, exec_lo, s28
	s_delay_alu instid0(SALU_CYCLE_1)
	s_and_b32 s11, s11, exec_lo
	s_or_saveexec_b32 s27, s27
	v_mov_b32_e32 v15, s26
	s_xor_b32 exec_lo, exec_lo, s27
	s_cbranch_execz .LBB6_549
.LBB6_2076:                             ;   in Loop: Header=BB6_142 Depth=2
	v_cmp_ne_u16_e32 vcc_lo, 0, v14
	v_mov_b32_e32 v15, 0
	s_and_not1_b32 s11, s11, exec_lo
	s_and_b32 s26, vcc_lo, exec_lo
	s_delay_alu instid0(SALU_CYCLE_1)
	s_or_b32 s11, s11, s26
	s_or_b32 exec_lo, exec_lo, s27
	s_and_saveexec_b32 s26, s11
	s_cbranch_execnz .LBB6_550
	s_branch .LBB6_551
.LBB6_2077:                             ;   in Loop: Header=BB6_142 Depth=2
	s_mov_b32 s11, -1
	s_mov_b32 s28, exec_lo
                                        ; implicit-def: $sgpr26
	v_cmpx_eq_u16_e32 0x80, v16
; %bb.2078:                             ;   in Loop: Header=BB6_142 Depth=2
	s_mov_b32 s26, 0x7f800001
	s_xor_b32 s11, exec_lo, -1
; %bb.2079:                             ;   in Loop: Header=BB6_142 Depth=2
	s_or_b32 exec_lo, exec_lo, s28
	s_delay_alu instid0(SALU_CYCLE_1)
	s_and_b32 s11, s11, exec_lo
                                        ; implicit-def: $vgpr16
	s_or_saveexec_b32 s27, s27
	v_mov_b32_e32 v15, s26
	s_xor_b32 exec_lo, exec_lo, s27
	s_cbranch_execz .LBB6_561
.LBB6_2080:                             ;   in Loop: Header=BB6_142 Depth=2
	v_cmp_ne_u16_e32 vcc_lo, 0, v16
	v_mov_b32_e32 v15, 0
	s_and_not1_b32 s11, s11, exec_lo
	s_and_b32 s26, vcc_lo, exec_lo
	s_delay_alu instid0(SALU_CYCLE_1)
	s_or_b32 s11, s11, s26
	s_or_b32 exec_lo, exec_lo, s27
	s_and_saveexec_b32 s26, s11
	s_cbranch_execnz .LBB6_562
	s_branch .LBB6_563
.LBB6_2081:                             ;   in Loop: Header=BB6_142 Depth=2
	s_mov_b32 s11, -1
	s_mov_b32 s28, exec_lo
                                        ; implicit-def: $sgpr26
	v_cmpx_eq_u16_e32 0x80, v14
; %bb.2082:                             ;   in Loop: Header=BB6_142 Depth=2
	s_mov_b32 s26, 0x7f800001
	s_xor_b32 s11, exec_lo, -1
; %bb.2083:                             ;   in Loop: Header=BB6_142 Depth=2
	s_or_b32 exec_lo, exec_lo, s28
	s_delay_alu instid0(SALU_CYCLE_1)
	s_and_b32 s11, s11, exec_lo
	s_or_saveexec_b32 s27, s27
	v_mov_b32_e32 v15, s26
	s_xor_b32 exec_lo, exec_lo, s27
	s_cbranch_execz .LBB6_573
.LBB6_2084:                             ;   in Loop: Header=BB6_142 Depth=2
	v_cmp_ne_u16_e32 vcc_lo, 0, v14
	v_mov_b32_e32 v15, 0
	s_and_not1_b32 s11, s11, exec_lo
	s_and_b32 s26, vcc_lo, exec_lo
	s_delay_alu instid0(SALU_CYCLE_1)
	s_or_b32 s11, s11, s26
	s_or_b32 exec_lo, exec_lo, s27
	s_and_saveexec_b32 s26, s11
	s_cbranch_execnz .LBB6_574
	s_branch .LBB6_575
.LBB6_2085:                             ;   in Loop: Header=BB6_142 Depth=2
	s_mov_b32 s11, -1
	s_mov_b32 s28, exec_lo
                                        ; implicit-def: $sgpr26
	v_cmpx_eq_u16_e32 0x80, v14
; %bb.2086:                             ;   in Loop: Header=BB6_142 Depth=2
	s_mov_b32 s26, 0x7f800001
	s_xor_b32 s11, exec_lo, -1
; %bb.2087:                             ;   in Loop: Header=BB6_142 Depth=2
	s_or_b32 exec_lo, exec_lo, s28
	s_delay_alu instid0(SALU_CYCLE_1)
	s_and_b32 s11, s11, exec_lo
                                        ; implicit-def: $vgpr14
	s_or_saveexec_b32 s27, s27
	v_mov_b32_e32 v10, s26
	s_xor_b32 exec_lo, exec_lo, s27
	s_cbranch_execz .LBB6_585
.LBB6_2088:                             ;   in Loop: Header=BB6_142 Depth=2
	v_cmp_ne_u16_e32 vcc_lo, 0, v14
	v_mov_b32_e32 v10, 0
	s_and_not1_b32 s11, s11, exec_lo
	s_and_b32 s26, vcc_lo, exec_lo
	s_delay_alu instid0(SALU_CYCLE_1)
	s_or_b32 s11, s11, s26
	s_or_b32 exec_lo, exec_lo, s27
	s_and_saveexec_b32 s26, s11
	s_cbranch_execnz .LBB6_586
	s_branch .LBB6_587
.LBB6_2089:                             ;   in Loop: Header=BB6_142 Depth=2
	s_mov_b32 s11, -1
	s_mov_b32 s28, exec_lo
                                        ; implicit-def: $sgpr26
	v_cmpx_eq_u16_e32 0x80, v10
; %bb.2090:                             ;   in Loop: Header=BB6_142 Depth=2
	s_mov_b32 s26, 0x7f800001
	s_xor_b32 s11, exec_lo, -1
; %bb.2091:                             ;   in Loop: Header=BB6_142 Depth=2
	s_or_b32 exec_lo, exec_lo, s28
	s_delay_alu instid0(SALU_CYCLE_1)
	s_and_b32 s11, s11, exec_lo
	s_or_saveexec_b32 s27, s27
	v_mov_b32_e32 v14, s26
	s_xor_b32 exec_lo, exec_lo, s27
	s_cbranch_execz .LBB6_597
.LBB6_2092:                             ;   in Loop: Header=BB6_142 Depth=2
	v_cmp_ne_u16_e32 vcc_lo, 0, v10
	v_mov_b32_e32 v14, 0
	s_and_not1_b32 s11, s11, exec_lo
	s_and_b32 s26, vcc_lo, exec_lo
	s_delay_alu instid0(SALU_CYCLE_1)
	s_or_b32 s11, s11, s26
	s_or_b32 exec_lo, exec_lo, s27
	s_and_saveexec_b32 s26, s11
	s_cbranch_execnz .LBB6_598
	s_branch .LBB6_599
.LBB6_2093:                             ;   in Loop: Header=BB6_142 Depth=2
	s_mov_b32 s11, -1
	s_mov_b32 s28, exec_lo
                                        ; implicit-def: $sgpr26
	v_cmpx_eq_u16_e32 0x80, v15
; %bb.2094:                             ;   in Loop: Header=BB6_142 Depth=2
	s_mov_b32 s26, 0x7f800001
	s_xor_b32 s11, exec_lo, -1
; %bb.2095:                             ;   in Loop: Header=BB6_142 Depth=2
	s_or_b32 exec_lo, exec_lo, s28
	s_delay_alu instid0(SALU_CYCLE_1)
	s_and_b32 s11, s11, exec_lo
                                        ; implicit-def: $vgpr15
	s_or_saveexec_b32 s27, s27
	v_mov_b32_e32 v14, s26
	s_xor_b32 exec_lo, exec_lo, s27
	s_cbranch_execz .LBB6_609
.LBB6_2096:                             ;   in Loop: Header=BB6_142 Depth=2
	v_cmp_ne_u16_e32 vcc_lo, 0, v15
	v_mov_b32_e32 v14, 0
	s_and_not1_b32 s11, s11, exec_lo
	s_and_b32 s26, vcc_lo, exec_lo
	s_delay_alu instid0(SALU_CYCLE_1)
	s_or_b32 s11, s11, s26
	s_or_b32 exec_lo, exec_lo, s27
	s_and_saveexec_b32 s26, s11
	s_cbranch_execnz .LBB6_610
	s_branch .LBB6_611
.LBB6_2097:                             ;   in Loop: Header=BB6_142 Depth=2
	s_mov_b32 s11, -1
	s_mov_b32 s28, exec_lo
                                        ; implicit-def: $sgpr26
	v_cmpx_eq_u16_e32 0x80, v10
; %bb.2098:                             ;   in Loop: Header=BB6_142 Depth=2
	s_mov_b32 s26, 0x7f800001
	s_xor_b32 s11, exec_lo, -1
; %bb.2099:                             ;   in Loop: Header=BB6_142 Depth=2
	s_or_b32 exec_lo, exec_lo, s28
	s_delay_alu instid0(SALU_CYCLE_1)
	s_and_b32 s11, s11, exec_lo
	s_or_saveexec_b32 s27, s27
	v_mov_b32_e32 v14, s26
	s_xor_b32 exec_lo, exec_lo, s27
	s_cbranch_execz .LBB6_621
.LBB6_2100:                             ;   in Loop: Header=BB6_142 Depth=2
	v_cmp_ne_u16_e32 vcc_lo, 0, v10
	v_mov_b32_e32 v14, 0
	s_and_not1_b32 s11, s11, exec_lo
	s_and_b32 s26, vcc_lo, exec_lo
	s_delay_alu instid0(SALU_CYCLE_1)
	s_or_b32 s11, s11, s26
	s_or_b32 exec_lo, exec_lo, s27
	s_and_saveexec_b32 s26, s11
	s_cbranch_execnz .LBB6_622
	s_branch .LBB6_623
.LBB6_2101:                             ;   in Loop: Header=BB6_142 Depth=2
	s_mov_b32 s11, -1
	s_mov_b32 s28, exec_lo
                                        ; implicit-def: $sgpr26
	v_cmpx_eq_u16_e32 0x80, v11
; %bb.2102:                             ;   in Loop: Header=BB6_142 Depth=2
	s_mov_b32 s26, 0x7f800001
	s_xor_b32 s11, exec_lo, -1
; %bb.2103:                             ;   in Loop: Header=BB6_142 Depth=2
	s_or_b32 exec_lo, exec_lo, s28
	s_delay_alu instid0(SALU_CYCLE_1)
	s_and_b32 s11, s11, exec_lo
                                        ; implicit-def: $vgpr11
	s_or_saveexec_b32 s27, s27
	v_mov_b32_e32 v10, s26
	s_xor_b32 exec_lo, exec_lo, s27
	s_cbranch_execz .LBB6_633
.LBB6_2104:                             ;   in Loop: Header=BB6_142 Depth=2
	v_cmp_ne_u16_e32 vcc_lo, 0, v11
	v_mov_b32_e32 v10, 0
	s_and_not1_b32 s11, s11, exec_lo
	s_and_b32 s26, vcc_lo, exec_lo
	s_delay_alu instid0(SALU_CYCLE_1)
	s_or_b32 s11, s11, s26
	s_or_b32 exec_lo, exec_lo, s27
	s_and_saveexec_b32 s26, s11
	s_cbranch_execnz .LBB6_634
	s_branch .LBB6_635
.LBB6_2105:                             ;   in Loop: Header=BB6_142 Depth=2
	s_mov_b32 s11, -1
	s_mov_b32 s28, exec_lo
                                        ; implicit-def: $sgpr26
	v_cmpx_eq_u16_e32 0x80, v10
; %bb.2106:                             ;   in Loop: Header=BB6_142 Depth=2
	s_mov_b32 s26, 0x7f800001
	s_xor_b32 s11, exec_lo, -1
; %bb.2107:                             ;   in Loop: Header=BB6_142 Depth=2
	s_or_b32 exec_lo, exec_lo, s28
	s_delay_alu instid0(SALU_CYCLE_1)
	s_and_b32 s11, s11, exec_lo
	s_or_saveexec_b32 s27, s27
	v_mov_b32_e32 v11, s26
	s_xor_b32 exec_lo, exec_lo, s27
	s_cbranch_execz .LBB6_645
.LBB6_2108:                             ;   in Loop: Header=BB6_142 Depth=2
	v_cmp_ne_u16_e32 vcc_lo, 0, v10
	v_mov_b32_e32 v11, 0
	s_and_not1_b32 s11, s11, exec_lo
	s_and_b32 s26, vcc_lo, exec_lo
	s_delay_alu instid0(SALU_CYCLE_1)
	s_or_b32 s11, s11, s26
	s_or_b32 exec_lo, exec_lo, s27
	s_and_saveexec_b32 s26, s11
	s_cbranch_execnz .LBB6_646
	s_branch .LBB6_647
.LBB6_2109:                             ;   in Loop: Header=BB6_142 Depth=2
	s_mov_b32 s11, -1
	s_mov_b32 s28, exec_lo
                                        ; implicit-def: $sgpr26
	v_cmpx_eq_u16_e32 0x80, v14
; %bb.2110:                             ;   in Loop: Header=BB6_142 Depth=2
	s_mov_b32 s26, 0x7f800001
	s_xor_b32 s11, exec_lo, -1
; %bb.2111:                             ;   in Loop: Header=BB6_142 Depth=2
	s_or_b32 exec_lo, exec_lo, s28
	s_delay_alu instid0(SALU_CYCLE_1)
	s_and_b32 s11, s11, exec_lo
                                        ; implicit-def: $vgpr14
	s_or_saveexec_b32 s27, s27
	v_mov_b32_e32 v11, s26
	s_xor_b32 exec_lo, exec_lo, s27
	s_cbranch_execz .LBB6_657
.LBB6_2112:                             ;   in Loop: Header=BB6_142 Depth=2
	v_cmp_ne_u16_e32 vcc_lo, 0, v14
	v_mov_b32_e32 v11, 0
	s_and_not1_b32 s11, s11, exec_lo
	s_and_b32 s26, vcc_lo, exec_lo
	s_delay_alu instid0(SALU_CYCLE_1)
	s_or_b32 s11, s11, s26
	s_or_b32 exec_lo, exec_lo, s27
	s_and_saveexec_b32 s26, s11
	s_cbranch_execnz .LBB6_658
	s_branch .LBB6_659
.LBB6_2113:                             ;   in Loop: Header=BB6_142 Depth=2
	s_mov_b32 s11, -1
	s_mov_b32 s28, exec_lo
                                        ; implicit-def: $sgpr26
	v_cmpx_eq_u16_e32 0x80, v10
; %bb.2114:                             ;   in Loop: Header=BB6_142 Depth=2
	s_mov_b32 s26, 0x7f800001
	s_xor_b32 s11, exec_lo, -1
; %bb.2115:                             ;   in Loop: Header=BB6_142 Depth=2
	s_or_b32 exec_lo, exec_lo, s28
	s_delay_alu instid0(SALU_CYCLE_1)
	s_and_b32 s11, s11, exec_lo
	s_or_saveexec_b32 s27, s27
	v_mov_b32_e32 v11, s26
	s_xor_b32 exec_lo, exec_lo, s27
	s_cbranch_execz .LBB6_669
.LBB6_2116:                             ;   in Loop: Header=BB6_142 Depth=2
	v_cmp_ne_u16_e32 vcc_lo, 0, v10
	v_mov_b32_e32 v11, 0
	s_and_not1_b32 s11, s11, exec_lo
	s_and_b32 s26, vcc_lo, exec_lo
	s_delay_alu instid0(SALU_CYCLE_1)
	s_or_b32 s11, s11, s26
	s_or_b32 exec_lo, exec_lo, s27
	s_and_saveexec_b32 s26, s11
	s_cbranch_execnz .LBB6_670
	s_branch .LBB6_671
.LBB6_2117:                             ;   in Loop: Header=BB6_142 Depth=2
	s_mov_b32 s11, -1
	s_mov_b32 s28, exec_lo
                                        ; implicit-def: $sgpr26
	v_cmpx_eq_u16_e32 0x80, v11
; %bb.2118:                             ;   in Loop: Header=BB6_142 Depth=2
	s_mov_b32 s26, 0x7f800001
	s_xor_b32 s11, exec_lo, -1
; %bb.2119:                             ;   in Loop: Header=BB6_142 Depth=2
	s_or_b32 exec_lo, exec_lo, s28
	s_delay_alu instid0(SALU_CYCLE_1)
	s_and_b32 s11, s11, exec_lo
                                        ; implicit-def: $vgpr11
	s_or_saveexec_b32 s27, s27
	v_mov_b32_e32 v10, s26
	s_xor_b32 exec_lo, exec_lo, s27
	s_cbranch_execz .LBB6_681
.LBB6_2120:                             ;   in Loop: Header=BB6_142 Depth=2
	v_cmp_ne_u16_e32 vcc_lo, 0, v11
	v_mov_b32_e32 v10, 0
	s_and_not1_b32 s11, s11, exec_lo
	s_and_b32 s26, vcc_lo, exec_lo
	s_delay_alu instid0(SALU_CYCLE_1)
	s_or_b32 s11, s11, s26
	s_or_b32 exec_lo, exec_lo, s27
	s_and_saveexec_b32 s26, s11
	s_cbranch_execnz .LBB6_682
	s_branch .LBB6_683
.LBB6_2121:                             ;   in Loop: Header=BB6_142 Depth=2
	s_mov_b32 s11, -1
	s_mov_b32 s28, exec_lo
                                        ; implicit-def: $sgpr26
	v_cmpx_eq_u16_e32 0x80, v10
; %bb.2122:                             ;   in Loop: Header=BB6_142 Depth=2
	s_mov_b32 s26, 0x7f800001
	s_xor_b32 s11, exec_lo, -1
; %bb.2123:                             ;   in Loop: Header=BB6_142 Depth=2
	s_or_b32 exec_lo, exec_lo, s28
	s_delay_alu instid0(SALU_CYCLE_1)
	s_and_b32 s11, s11, exec_lo
	s_or_saveexec_b32 s27, s27
	v_mov_b32_e32 v11, s26
	s_xor_b32 exec_lo, exec_lo, s27
	s_cbranch_execz .LBB6_693
.LBB6_2124:                             ;   in Loop: Header=BB6_142 Depth=2
	v_cmp_ne_u16_e32 vcc_lo, 0, v10
	v_mov_b32_e32 v11, 0
	s_and_not1_b32 s11, s11, exec_lo
	s_and_b32 s26, vcc_lo, exec_lo
	s_delay_alu instid0(SALU_CYCLE_1)
	s_or_b32 s11, s11, s26
	s_or_b32 exec_lo, exec_lo, s27
	s_and_saveexec_b32 s26, s11
	s_cbranch_execnz .LBB6_694
	s_branch .LBB6_695
.LBB6_2125:                             ;   in Loop: Header=BB6_142 Depth=2
	s_mov_b32 s11, -1
	s_mov_b32 s28, exec_lo
                                        ; implicit-def: $sgpr26
	v_cmpx_eq_u16_e32 0x80, v12
; %bb.2126:                             ;   in Loop: Header=BB6_142 Depth=2
	s_mov_b32 s26, 0x7f800001
	s_xor_b32 s11, exec_lo, -1
; %bb.2127:                             ;   in Loop: Header=BB6_142 Depth=2
	s_or_b32 exec_lo, exec_lo, s28
	s_delay_alu instid0(SALU_CYCLE_1)
	s_and_b32 s11, s11, exec_lo
                                        ; implicit-def: $vgpr12
	s_or_saveexec_b32 s27, s27
	v_mov_b32_e32 v11, s26
	s_xor_b32 exec_lo, exec_lo, s27
	s_cbranch_execz .LBB6_705
.LBB6_2128:                             ;   in Loop: Header=BB6_142 Depth=2
	v_cmp_ne_u16_e32 vcc_lo, 0, v12
	v_mov_b32_e32 v11, 0
	s_and_not1_b32 s11, s11, exec_lo
	s_and_b32 s26, vcc_lo, exec_lo
	s_delay_alu instid0(SALU_CYCLE_1)
	s_or_b32 s11, s11, s26
	s_or_b32 exec_lo, exec_lo, s27
	s_and_saveexec_b32 s26, s11
	s_cbranch_execnz .LBB6_706
	s_branch .LBB6_707
.LBB6_2129:                             ;   in Loop: Header=BB6_142 Depth=2
	s_mov_b32 s11, -1
	s_mov_b32 s28, exec_lo
                                        ; implicit-def: $sgpr26
	v_cmpx_eq_u16_e32 0x80, v10
; %bb.2130:                             ;   in Loop: Header=BB6_142 Depth=2
	s_mov_b32 s26, 0x7f800001
	s_xor_b32 s11, exec_lo, -1
; %bb.2131:                             ;   in Loop: Header=BB6_142 Depth=2
	s_or_b32 exec_lo, exec_lo, s28
	s_delay_alu instid0(SALU_CYCLE_1)
	s_and_b32 s11, s11, exec_lo
	s_or_saveexec_b32 s27, s27
	v_mov_b32_e32 v11, s26
	s_xor_b32 exec_lo, exec_lo, s27
	s_cbranch_execz .LBB6_717
.LBB6_2132:                             ;   in Loop: Header=BB6_142 Depth=2
	v_cmp_ne_u16_e32 vcc_lo, 0, v10
	v_mov_b32_e32 v11, 0
	s_and_not1_b32 s11, s11, exec_lo
	s_and_b32 s26, vcc_lo, exec_lo
	s_delay_alu instid0(SALU_CYCLE_1)
	s_or_b32 s11, s11, s26
	s_or_b32 exec_lo, exec_lo, s27
	s_and_saveexec_b32 s26, s11
	s_cbranch_execnz .LBB6_718
	s_branch .LBB6_719
.LBB6_2133:                             ;   in Loop: Header=BB6_142 Depth=2
	s_mov_b32 s11, -1
	s_mov_b32 s28, exec_lo
                                        ; implicit-def: $sgpr26
	v_cmpx_eq_u16_e32 0x80, v15
; %bb.2134:                             ;   in Loop: Header=BB6_142 Depth=2
	s_mov_b32 s26, 0x7f800001
	s_xor_b32 s11, exec_lo, -1
; %bb.2135:                             ;   in Loop: Header=BB6_142 Depth=2
	s_or_b32 exec_lo, exec_lo, s28
	s_delay_alu instid0(SALU_CYCLE_1)
	s_and_b32 s11, s11, exec_lo
                                        ; implicit-def: $vgpr15
	s_or_saveexec_b32 s27, s27
	v_mov_b32_e32 v14, s26
	s_xor_b32 exec_lo, exec_lo, s27
	s_cbranch_execz .LBB6_729
.LBB6_2136:                             ;   in Loop: Header=BB6_142 Depth=2
	v_cmp_ne_u16_e32 vcc_lo, 0, v15
	v_mov_b32_e32 v14, 0
	s_and_not1_b32 s11, s11, exec_lo
	s_and_b32 s26, vcc_lo, exec_lo
	s_delay_alu instid0(SALU_CYCLE_1)
	s_or_b32 s11, s11, s26
	s_or_b32 exec_lo, exec_lo, s27
	s_and_saveexec_b32 s26, s11
	s_cbranch_execnz .LBB6_730
	s_branch .LBB6_731
.LBB6_2137:                             ;   in Loop: Header=BB6_142 Depth=2
	s_mov_b32 s11, -1
	s_mov_b32 s28, exec_lo
                                        ; implicit-def: $sgpr26
	v_cmpx_eq_u16_e32 0x80, v14
; %bb.2138:                             ;   in Loop: Header=BB6_142 Depth=2
	s_mov_b32 s26, 0x7f800001
	s_xor_b32 s11, exec_lo, -1
; %bb.2139:                             ;   in Loop: Header=BB6_142 Depth=2
	s_or_b32 exec_lo, exec_lo, s28
	s_delay_alu instid0(SALU_CYCLE_1)
	s_and_b32 s11, s11, exec_lo
	s_or_saveexec_b32 s27, s27
	v_mov_b32_e32 v15, s26
	s_xor_b32 exec_lo, exec_lo, s27
	s_cbranch_execz .LBB6_741
.LBB6_2140:                             ;   in Loop: Header=BB6_142 Depth=2
	v_cmp_ne_u16_e32 vcc_lo, 0, v14
	v_mov_b32_e32 v15, 0
	s_and_not1_b32 s11, s11, exec_lo
	s_and_b32 s26, vcc_lo, exec_lo
	s_delay_alu instid0(SALU_CYCLE_1)
	s_or_b32 s11, s11, s26
	s_or_b32 exec_lo, exec_lo, s27
	s_and_saveexec_b32 s26, s11
	s_cbranch_execnz .LBB6_742
	s_branch .LBB6_743
.LBB6_2141:                             ;   in Loop: Header=BB6_142 Depth=2
	s_mov_b32 s11, -1
	s_mov_b32 s28, exec_lo
                                        ; implicit-def: $sgpr26
	v_cmpx_eq_u16_e32 0x80, v16
; %bb.2142:                             ;   in Loop: Header=BB6_142 Depth=2
	s_mov_b32 s26, 0x7f800001
	s_xor_b32 s11, exec_lo, -1
; %bb.2143:                             ;   in Loop: Header=BB6_142 Depth=2
	s_or_b32 exec_lo, exec_lo, s28
	s_delay_alu instid0(SALU_CYCLE_1)
	s_and_b32 s11, s11, exec_lo
                                        ; implicit-def: $vgpr16
	s_or_saveexec_b32 s27, s27
	v_mov_b32_e32 v15, s26
	s_xor_b32 exec_lo, exec_lo, s27
	s_cbranch_execz .LBB6_753
.LBB6_2144:                             ;   in Loop: Header=BB6_142 Depth=2
	v_cmp_ne_u16_e32 vcc_lo, 0, v16
	v_mov_b32_e32 v15, 0
	s_and_not1_b32 s11, s11, exec_lo
	s_and_b32 s26, vcc_lo, exec_lo
	s_delay_alu instid0(SALU_CYCLE_1)
	s_or_b32 s11, s11, s26
	s_or_b32 exec_lo, exec_lo, s27
	s_and_saveexec_b32 s26, s11
	s_cbranch_execnz .LBB6_754
	s_branch .LBB6_755
.LBB6_2145:                             ;   in Loop: Header=BB6_142 Depth=2
	s_mov_b32 s11, -1
	s_mov_b32 s28, exec_lo
                                        ; implicit-def: $sgpr26
	v_cmpx_eq_u16_e32 0x80, v14
; %bb.2146:                             ;   in Loop: Header=BB6_142 Depth=2
	s_mov_b32 s26, 0x7f800001
	s_xor_b32 s11, exec_lo, -1
; %bb.2147:                             ;   in Loop: Header=BB6_142 Depth=2
	s_or_b32 exec_lo, exec_lo, s28
	s_delay_alu instid0(SALU_CYCLE_1)
	s_and_b32 s11, s11, exec_lo
	s_or_saveexec_b32 s27, s27
	v_mov_b32_e32 v15, s26
	s_xor_b32 exec_lo, exec_lo, s27
	s_cbranch_execz .LBB6_765
.LBB6_2148:                             ;   in Loop: Header=BB6_142 Depth=2
	v_cmp_ne_u16_e32 vcc_lo, 0, v14
	v_mov_b32_e32 v15, 0
	s_and_not1_b32 s11, s11, exec_lo
	s_and_b32 s26, vcc_lo, exec_lo
	s_delay_alu instid0(SALU_CYCLE_1)
	s_or_b32 s11, s11, s26
	s_or_b32 exec_lo, exec_lo, s27
	s_and_saveexec_b32 s26, s11
	s_cbranch_execnz .LBB6_766
	s_branch .LBB6_767
.LBB6_2149:                             ;   in Loop: Header=BB6_142 Depth=2
	s_mov_b32 s11, -1
	s_mov_b32 s28, exec_lo
                                        ; implicit-def: $sgpr26
	v_cmpx_eq_u16_e32 0x80, v14
; %bb.2150:                             ;   in Loop: Header=BB6_142 Depth=2
	s_mov_b32 s26, 0x7f800001
	s_xor_b32 s11, exec_lo, -1
; %bb.2151:                             ;   in Loop: Header=BB6_142 Depth=2
	s_or_b32 exec_lo, exec_lo, s28
	s_delay_alu instid0(SALU_CYCLE_1)
	s_and_b32 s11, s11, exec_lo
                                        ; implicit-def: $vgpr14
	s_or_saveexec_b32 s27, s27
	v_mov_b32_e32 v10, s26
	s_xor_b32 exec_lo, exec_lo, s27
	s_cbranch_execz .LBB6_777
.LBB6_2152:                             ;   in Loop: Header=BB6_142 Depth=2
	v_cmp_ne_u16_e32 vcc_lo, 0, v14
	v_mov_b32_e32 v10, 0
	s_and_not1_b32 s11, s11, exec_lo
	s_and_b32 s26, vcc_lo, exec_lo
	s_delay_alu instid0(SALU_CYCLE_1)
	s_or_b32 s11, s11, s26
	s_or_b32 exec_lo, exec_lo, s27
	s_and_saveexec_b32 s26, s11
	s_cbranch_execnz .LBB6_778
	s_branch .LBB6_779
.LBB6_2153:                             ;   in Loop: Header=BB6_142 Depth=2
	s_mov_b32 s11, -1
	s_mov_b32 s28, exec_lo
                                        ; implicit-def: $sgpr26
	v_cmpx_eq_u16_e32 0x80, v10
; %bb.2154:                             ;   in Loop: Header=BB6_142 Depth=2
	s_mov_b32 s26, 0x7f800001
	s_xor_b32 s11, exec_lo, -1
; %bb.2155:                             ;   in Loop: Header=BB6_142 Depth=2
	s_or_b32 exec_lo, exec_lo, s28
	s_delay_alu instid0(SALU_CYCLE_1)
	s_and_b32 s11, s11, exec_lo
	s_or_saveexec_b32 s27, s27
	v_mov_b32_e32 v14, s26
	s_xor_b32 exec_lo, exec_lo, s27
	s_cbranch_execz .LBB6_789
.LBB6_2156:                             ;   in Loop: Header=BB6_142 Depth=2
	v_cmp_ne_u16_e32 vcc_lo, 0, v10
	v_mov_b32_e32 v14, 0
	s_and_not1_b32 s11, s11, exec_lo
	s_and_b32 s26, vcc_lo, exec_lo
	s_delay_alu instid0(SALU_CYCLE_1)
	s_or_b32 s11, s11, s26
	s_or_b32 exec_lo, exec_lo, s27
	s_and_saveexec_b32 s26, s11
	s_cbranch_execnz .LBB6_790
	s_branch .LBB6_791
.LBB6_2157:                             ;   in Loop: Header=BB6_142 Depth=2
	s_mov_b32 s11, -1
	s_mov_b32 s28, exec_lo
                                        ; implicit-def: $sgpr26
	v_cmpx_eq_u16_e32 0x80, v15
; %bb.2158:                             ;   in Loop: Header=BB6_142 Depth=2
	s_mov_b32 s26, 0x7f800001
	s_xor_b32 s11, exec_lo, -1
; %bb.2159:                             ;   in Loop: Header=BB6_142 Depth=2
	s_or_b32 exec_lo, exec_lo, s28
	s_delay_alu instid0(SALU_CYCLE_1)
	s_and_b32 s11, s11, exec_lo
                                        ; implicit-def: $vgpr15
	s_or_saveexec_b32 s27, s27
	v_mov_b32_e32 v14, s26
	s_xor_b32 exec_lo, exec_lo, s27
	s_cbranch_execz .LBB6_801
.LBB6_2160:                             ;   in Loop: Header=BB6_142 Depth=2
	v_cmp_ne_u16_e32 vcc_lo, 0, v15
	v_mov_b32_e32 v14, 0
	s_and_not1_b32 s11, s11, exec_lo
	s_and_b32 s26, vcc_lo, exec_lo
	s_delay_alu instid0(SALU_CYCLE_1)
	s_or_b32 s11, s11, s26
	s_or_b32 exec_lo, exec_lo, s27
	s_and_saveexec_b32 s26, s11
	s_cbranch_execnz .LBB6_802
	s_branch .LBB6_803
.LBB6_2161:                             ;   in Loop: Header=BB6_142 Depth=2
	s_mov_b32 s11, -1
	s_mov_b32 s28, exec_lo
                                        ; implicit-def: $sgpr26
	v_cmpx_eq_u16_e32 0x80, v10
; %bb.2162:                             ;   in Loop: Header=BB6_142 Depth=2
	s_mov_b32 s26, 0x7f800001
	s_xor_b32 s11, exec_lo, -1
; %bb.2163:                             ;   in Loop: Header=BB6_142 Depth=2
	s_or_b32 exec_lo, exec_lo, s28
	s_delay_alu instid0(SALU_CYCLE_1)
	s_and_b32 s11, s11, exec_lo
	s_or_saveexec_b32 s27, s27
	v_mov_b32_e32 v14, s26
	s_xor_b32 exec_lo, exec_lo, s27
	s_cbranch_execz .LBB6_813
.LBB6_2164:                             ;   in Loop: Header=BB6_142 Depth=2
	v_cmp_ne_u16_e32 vcc_lo, 0, v10
	v_mov_b32_e32 v14, 0
	s_and_not1_b32 s11, s11, exec_lo
	s_and_b32 s26, vcc_lo, exec_lo
	s_delay_alu instid0(SALU_CYCLE_1)
	s_or_b32 s11, s11, s26
	s_or_b32 exec_lo, exec_lo, s27
	s_and_saveexec_b32 s26, s11
	s_cbranch_execnz .LBB6_814
	s_branch .LBB6_815
.LBB6_2165:                             ;   in Loop: Header=BB6_142 Depth=2
	s_mov_b32 s11, -1
	s_mov_b32 s28, exec_lo
                                        ; implicit-def: $sgpr26
	v_cmpx_eq_u16_e32 0x80, v11
; %bb.2166:                             ;   in Loop: Header=BB6_142 Depth=2
	s_mov_b32 s26, 0x7f800001
	s_xor_b32 s11, exec_lo, -1
; %bb.2167:                             ;   in Loop: Header=BB6_142 Depth=2
	s_or_b32 exec_lo, exec_lo, s28
	s_delay_alu instid0(SALU_CYCLE_1)
	s_and_b32 s11, s11, exec_lo
                                        ; implicit-def: $vgpr11
	s_or_saveexec_b32 s27, s27
	v_mov_b32_e32 v10, s26
	s_xor_b32 exec_lo, exec_lo, s27
	s_cbranch_execz .LBB6_825
.LBB6_2168:                             ;   in Loop: Header=BB6_142 Depth=2
	v_cmp_ne_u16_e32 vcc_lo, 0, v11
	v_mov_b32_e32 v10, 0
	s_and_not1_b32 s11, s11, exec_lo
	s_and_b32 s26, vcc_lo, exec_lo
	s_delay_alu instid0(SALU_CYCLE_1)
	s_or_b32 s11, s11, s26
	s_or_b32 exec_lo, exec_lo, s27
	s_and_saveexec_b32 s26, s11
	s_cbranch_execnz .LBB6_826
	s_branch .LBB6_827
.LBB6_2169:                             ;   in Loop: Header=BB6_142 Depth=2
	s_mov_b32 s11, -1
	s_mov_b32 s28, exec_lo
                                        ; implicit-def: $sgpr26
	v_cmpx_eq_u16_e32 0x80, v10
; %bb.2170:                             ;   in Loop: Header=BB6_142 Depth=2
	s_mov_b32 s26, 0x7f800001
	s_xor_b32 s11, exec_lo, -1
; %bb.2171:                             ;   in Loop: Header=BB6_142 Depth=2
	s_or_b32 exec_lo, exec_lo, s28
	s_delay_alu instid0(SALU_CYCLE_1)
	s_and_b32 s11, s11, exec_lo
	s_or_saveexec_b32 s27, s27
	v_mov_b32_e32 v11, s26
	s_xor_b32 exec_lo, exec_lo, s27
	s_cbranch_execz .LBB6_837
.LBB6_2172:                             ;   in Loop: Header=BB6_142 Depth=2
	v_cmp_ne_u16_e32 vcc_lo, 0, v10
	v_mov_b32_e32 v11, 0
	s_and_not1_b32 s11, s11, exec_lo
	s_and_b32 s26, vcc_lo, exec_lo
	s_delay_alu instid0(SALU_CYCLE_1)
	s_or_b32 s11, s11, s26
	s_or_b32 exec_lo, exec_lo, s27
	s_and_saveexec_b32 s26, s11
	s_cbranch_execnz .LBB6_838
	s_branch .LBB6_839
.LBB6_2173:                             ;   in Loop: Header=BB6_142 Depth=2
	s_mov_b32 s11, -1
	s_mov_b32 s28, exec_lo
                                        ; implicit-def: $sgpr26
	v_cmpx_eq_u16_e32 0x80, v14
; %bb.2174:                             ;   in Loop: Header=BB6_142 Depth=2
	s_mov_b32 s26, 0x7f800001
	s_xor_b32 s11, exec_lo, -1
; %bb.2175:                             ;   in Loop: Header=BB6_142 Depth=2
	s_or_b32 exec_lo, exec_lo, s28
	s_delay_alu instid0(SALU_CYCLE_1)
	s_and_b32 s11, s11, exec_lo
                                        ; implicit-def: $vgpr14
	s_or_saveexec_b32 s27, s27
	v_mov_b32_e32 v11, s26
	s_xor_b32 exec_lo, exec_lo, s27
	s_cbranch_execz .LBB6_849
.LBB6_2176:                             ;   in Loop: Header=BB6_142 Depth=2
	v_cmp_ne_u16_e32 vcc_lo, 0, v14
	v_mov_b32_e32 v11, 0
	s_and_not1_b32 s11, s11, exec_lo
	s_and_b32 s26, vcc_lo, exec_lo
	s_delay_alu instid0(SALU_CYCLE_1)
	s_or_b32 s11, s11, s26
	s_or_b32 exec_lo, exec_lo, s27
	s_and_saveexec_b32 s26, s11
	s_cbranch_execnz .LBB6_850
	s_branch .LBB6_851
.LBB6_2177:                             ;   in Loop: Header=BB6_142 Depth=2
	s_mov_b32 s11, -1
	s_mov_b32 s28, exec_lo
                                        ; implicit-def: $sgpr26
	v_cmpx_eq_u16_e32 0x80, v10
; %bb.2178:                             ;   in Loop: Header=BB6_142 Depth=2
	s_mov_b32 s26, 0x7f800001
	s_xor_b32 s11, exec_lo, -1
; %bb.2179:                             ;   in Loop: Header=BB6_142 Depth=2
	s_or_b32 exec_lo, exec_lo, s28
	s_delay_alu instid0(SALU_CYCLE_1)
	s_and_b32 s11, s11, exec_lo
	s_or_saveexec_b32 s27, s27
	v_mov_b32_e32 v11, s26
	s_xor_b32 exec_lo, exec_lo, s27
	s_cbranch_execz .LBB6_861
.LBB6_2180:                             ;   in Loop: Header=BB6_142 Depth=2
	v_cmp_ne_u16_e32 vcc_lo, 0, v10
	v_mov_b32_e32 v11, 0
	s_and_not1_b32 s11, s11, exec_lo
	s_and_b32 s26, vcc_lo, exec_lo
	s_delay_alu instid0(SALU_CYCLE_1)
	s_or_b32 s11, s11, s26
	s_or_b32 exec_lo, exec_lo, s27
	s_and_saveexec_b32 s26, s11
	s_cbranch_execnz .LBB6_862
	s_branch .LBB6_863
.LBB6_2181:                             ;   in Loop: Header=BB6_142 Depth=2
	s_mov_b32 s11, -1
	s_mov_b32 s28, exec_lo
                                        ; implicit-def: $sgpr26
	v_cmpx_eq_u16_e32 0x80, v11
; %bb.2182:                             ;   in Loop: Header=BB6_142 Depth=2
	s_mov_b32 s26, 0x7f800001
	s_xor_b32 s11, exec_lo, -1
; %bb.2183:                             ;   in Loop: Header=BB6_142 Depth=2
	s_or_b32 exec_lo, exec_lo, s28
	s_delay_alu instid0(SALU_CYCLE_1)
	s_and_b32 s11, s11, exec_lo
                                        ; implicit-def: $vgpr11
	s_or_saveexec_b32 s27, s27
	v_mov_b32_e32 v10, s26
	s_xor_b32 exec_lo, exec_lo, s27
	s_cbranch_execz .LBB6_873
.LBB6_2184:                             ;   in Loop: Header=BB6_142 Depth=2
	v_cmp_ne_u16_e32 vcc_lo, 0, v11
	v_mov_b32_e32 v10, 0
	s_and_not1_b32 s11, s11, exec_lo
	s_and_b32 s26, vcc_lo, exec_lo
	s_delay_alu instid0(SALU_CYCLE_1)
	s_or_b32 s11, s11, s26
	s_or_b32 exec_lo, exec_lo, s27
	s_and_saveexec_b32 s26, s11
	s_cbranch_execnz .LBB6_874
	s_branch .LBB6_875
.LBB6_2185:                             ;   in Loop: Header=BB6_142 Depth=2
	s_mov_b32 s11, -1
	s_mov_b32 s28, exec_lo
                                        ; implicit-def: $sgpr26
	v_cmpx_eq_u16_e32 0x80, v10
; %bb.2186:                             ;   in Loop: Header=BB6_142 Depth=2
	s_mov_b32 s26, 0x7f800001
	s_xor_b32 s11, exec_lo, -1
; %bb.2187:                             ;   in Loop: Header=BB6_142 Depth=2
	s_or_b32 exec_lo, exec_lo, s28
	s_delay_alu instid0(SALU_CYCLE_1)
	s_and_b32 s11, s11, exec_lo
	s_or_saveexec_b32 s27, s27
	v_mov_b32_e32 v11, s26
	s_xor_b32 exec_lo, exec_lo, s27
	s_cbranch_execz .LBB6_885
.LBB6_2188:                             ;   in Loop: Header=BB6_142 Depth=2
	v_cmp_ne_u16_e32 vcc_lo, 0, v10
	v_mov_b32_e32 v11, 0
	s_and_not1_b32 s11, s11, exec_lo
	s_and_b32 s26, vcc_lo, exec_lo
	s_delay_alu instid0(SALU_CYCLE_1)
	s_or_b32 s11, s11, s26
	s_or_b32 exec_lo, exec_lo, s27
	s_and_saveexec_b32 s26, s11
	s_cbranch_execnz .LBB6_886
	s_branch .LBB6_887
.LBB6_2189:                             ;   in Loop: Header=BB6_142 Depth=2
	s_mov_b32 s11, -1
	s_mov_b32 s28, exec_lo
                                        ; implicit-def: $sgpr26
	v_cmpx_eq_u16_e32 0x80, v12
; %bb.2190:                             ;   in Loop: Header=BB6_142 Depth=2
	s_mov_b32 s26, 0x7f800001
	s_xor_b32 s11, exec_lo, -1
; %bb.2191:                             ;   in Loop: Header=BB6_142 Depth=2
	s_or_b32 exec_lo, exec_lo, s28
	s_delay_alu instid0(SALU_CYCLE_1)
	s_and_b32 s11, s11, exec_lo
                                        ; implicit-def: $vgpr12
	s_or_saveexec_b32 s27, s27
	v_mov_b32_e32 v11, s26
	s_xor_b32 exec_lo, exec_lo, s27
	s_cbranch_execz .LBB6_897
.LBB6_2192:                             ;   in Loop: Header=BB6_142 Depth=2
	v_cmp_ne_u16_e32 vcc_lo, 0, v12
	v_mov_b32_e32 v11, 0
	s_and_not1_b32 s11, s11, exec_lo
	s_and_b32 s26, vcc_lo, exec_lo
	s_delay_alu instid0(SALU_CYCLE_1)
	s_or_b32 s11, s11, s26
	s_or_b32 exec_lo, exec_lo, s27
	s_and_saveexec_b32 s26, s11
	s_cbranch_execnz .LBB6_898
	s_branch .LBB6_899
.LBB6_2193:                             ;   in Loop: Header=BB6_142 Depth=2
	s_mov_b32 s11, -1
	s_mov_b32 s28, exec_lo
                                        ; implicit-def: $sgpr26
	v_cmpx_eq_u16_e32 0x80, v10
; %bb.2194:                             ;   in Loop: Header=BB6_142 Depth=2
	s_mov_b32 s26, 0x7f800001
	s_xor_b32 s11, exec_lo, -1
; %bb.2195:                             ;   in Loop: Header=BB6_142 Depth=2
	s_or_b32 exec_lo, exec_lo, s28
	s_delay_alu instid0(SALU_CYCLE_1)
	s_and_b32 s11, s11, exec_lo
	s_or_saveexec_b32 s27, s27
	v_mov_b32_e32 v11, s26
	s_xor_b32 exec_lo, exec_lo, s27
	s_cbranch_execz .LBB6_909
.LBB6_2196:                             ;   in Loop: Header=BB6_142 Depth=2
	v_cmp_ne_u16_e32 vcc_lo, 0, v10
	v_mov_b32_e32 v11, 0
	s_and_not1_b32 s11, s11, exec_lo
	s_and_b32 s26, vcc_lo, exec_lo
	s_delay_alu instid0(SALU_CYCLE_1)
	s_or_b32 s11, s11, s26
	s_or_b32 exec_lo, exec_lo, s27
	s_and_saveexec_b32 s26, s11
	s_cbranch_execnz .LBB6_910
	s_branch .LBB6_911
.LBB6_2197:                             ;   in Loop: Header=BB6_142 Depth=2
	s_mov_b32 s11, -1
	s_mov_b32 s27, exec_lo
                                        ; implicit-def: $sgpr25
	v_cmpx_eq_u16_e32 0x80, v93
; %bb.2198:                             ;   in Loop: Header=BB6_142 Depth=2
	s_mov_b32 s25, 0x7f800001
	s_xor_b32 s11, exec_lo, -1
; %bb.2199:                             ;   in Loop: Header=BB6_142 Depth=2
	s_or_b32 exec_lo, exec_lo, s27
	s_delay_alu instid0(SALU_CYCLE_1)
	s_and_b32 s11, s11, exec_lo
                                        ; implicit-def: $vgpr93
	s_or_saveexec_b32 s26, s26
	v_mov_b32_e32 v92, s25
	s_xor_b32 exec_lo, exec_lo, s26
	s_cbranch_execz .LBB6_921
.LBB6_2200:                             ;   in Loop: Header=BB6_142 Depth=2
	v_cmp_ne_u16_e32 vcc_lo, 0, v93
	v_mov_b32_e32 v92, 0
	s_and_not1_b32 s11, s11, exec_lo
	s_and_b32 s25, vcc_lo, exec_lo
	s_delay_alu instid0(SALU_CYCLE_1)
	s_or_b32 s11, s11, s25
	s_or_b32 exec_lo, exec_lo, s26
	s_and_saveexec_b32 s25, s11
	s_cbranch_execnz .LBB6_922
	s_branch .LBB6_923
.LBB6_2201:                             ;   in Loop: Header=BB6_142 Depth=2
	s_mov_b32 s11, -1
	s_mov_b32 s27, exec_lo
                                        ; implicit-def: $sgpr25
	v_cmpx_eq_u16_e32 0x80, v93
; %bb.2202:                             ;   in Loop: Header=BB6_142 Depth=2
	s_mov_b32 s25, 0x7f800001
	s_xor_b32 s11, exec_lo, -1
; %bb.2203:                             ;   in Loop: Header=BB6_142 Depth=2
	s_or_b32 exec_lo, exec_lo, s27
	s_delay_alu instid0(SALU_CYCLE_1)
	s_and_b32 s11, s11, exec_lo
                                        ; implicit-def: $vgpr93
	s_or_saveexec_b32 s26, s26
	v_mov_b32_e32 v116, s25
	s_xor_b32 exec_lo, exec_lo, s26
	s_cbranch_execz .LBB6_925
.LBB6_2204:                             ;   in Loop: Header=BB6_142 Depth=2
	v_cmp_ne_u16_e32 vcc_lo, 0, v93
	v_mov_b32_e32 v116, 0
	s_and_not1_b32 s11, s11, exec_lo
	s_and_b32 s25, vcc_lo, exec_lo
	s_delay_alu instid0(SALU_CYCLE_1)
	s_or_b32 s11, s11, s25
	s_or_b32 exec_lo, exec_lo, s26
	s_and_saveexec_b32 s25, s11
	s_cbranch_execnz .LBB6_926
	s_branch .LBB6_927
.LBB6_2205:                             ;   in Loop: Header=BB6_142 Depth=2
	s_mov_b32 s11, -1
	s_mov_b32 s27, exec_lo
                                        ; implicit-def: $sgpr25
	v_cmpx_eq_u16_e32 0x80, v93
; %bb.2206:                             ;   in Loop: Header=BB6_142 Depth=2
	s_mov_b32 s25, 0x7f800001
	s_xor_b32 s11, exec_lo, -1
; %bb.2207:                             ;   in Loop: Header=BB6_142 Depth=2
	s_or_b32 exec_lo, exec_lo, s27
	s_delay_alu instid0(SALU_CYCLE_1)
	s_and_b32 s11, s11, exec_lo
                                        ; implicit-def: $vgpr93
	s_or_saveexec_b32 s26, s26
	v_mov_b32_e32 v92, s25
	s_xor_b32 exec_lo, exec_lo, s26
	s_cbranch_execz .LBB6_937
.LBB6_2208:                             ;   in Loop: Header=BB6_142 Depth=2
	v_cmp_ne_u16_e32 vcc_lo, 0, v93
	v_mov_b32_e32 v92, 0
	s_and_not1_b32 s11, s11, exec_lo
	s_and_b32 s25, vcc_lo, exec_lo
	s_delay_alu instid0(SALU_CYCLE_1)
	s_or_b32 s11, s11, s25
	s_or_b32 exec_lo, exec_lo, s26
	s_and_saveexec_b32 s25, s11
	s_cbranch_execnz .LBB6_938
	s_branch .LBB6_939
.LBB6_2209:                             ;   in Loop: Header=BB6_142 Depth=2
	s_mov_b32 s11, -1
	s_mov_b32 s27, exec_lo
                                        ; implicit-def: $sgpr25
	v_cmpx_eq_u16_e32 0x80, v118
; %bb.2210:                             ;   in Loop: Header=BB6_142 Depth=2
	s_mov_b32 s25, 0x7f800001
	s_xor_b32 s11, exec_lo, -1
; %bb.2211:                             ;   in Loop: Header=BB6_142 Depth=2
	s_or_b32 exec_lo, exec_lo, s27
	s_delay_alu instid0(SALU_CYCLE_1)
	s_and_b32 s11, s11, exec_lo
	s_or_saveexec_b32 s26, s26
	v_mov_b32_e32 v93, s25
	s_xor_b32 exec_lo, exec_lo, s26
	s_cbranch_execz .LBB6_941
.LBB6_2212:                             ;   in Loop: Header=BB6_142 Depth=2
	v_cmp_ne_u16_e32 vcc_lo, 0, v118
	v_mov_b32_e32 v93, 0
	s_and_not1_b32 s11, s11, exec_lo
	s_and_b32 s25, vcc_lo, exec_lo
	s_delay_alu instid0(SALU_CYCLE_1)
	s_or_b32 s11, s11, s25
	s_or_b32 exec_lo, exec_lo, s26
	s_and_saveexec_b32 s25, s11
	s_cbranch_execnz .LBB6_942
	s_branch .LBB6_943
.LBB6_2213:                             ;   in Loop: Header=BB6_142 Depth=2
	s_mov_b32 s11, -1
	s_mov_b32 s27, exec_lo
                                        ; implicit-def: $sgpr25
	v_cmpx_eq_u16_e32 0x80, v93
; %bb.2214:                             ;   in Loop: Header=BB6_142 Depth=2
	s_mov_b32 s25, 0x7f800001
	s_xor_b32 s11, exec_lo, -1
; %bb.2215:                             ;   in Loop: Header=BB6_142 Depth=2
	s_or_b32 exec_lo, exec_lo, s27
	s_delay_alu instid0(SALU_CYCLE_1)
	s_and_b32 s11, s11, exec_lo
                                        ; implicit-def: $vgpr93
	s_or_saveexec_b32 s26, s26
	v_mov_b32_e32 v92, s25
	s_xor_b32 exec_lo, exec_lo, s26
	s_cbranch_execz .LBB6_953
.LBB6_2216:                             ;   in Loop: Header=BB6_142 Depth=2
	v_cmp_ne_u16_e32 vcc_lo, 0, v93
	v_mov_b32_e32 v92, 0
	s_and_not1_b32 s11, s11, exec_lo
	s_and_b32 s25, vcc_lo, exec_lo
	s_delay_alu instid0(SALU_CYCLE_1)
	s_or_b32 s11, s11, s25
	s_or_b32 exec_lo, exec_lo, s26
	s_and_saveexec_b32 s25, s11
	s_cbranch_execnz .LBB6_954
	s_branch .LBB6_955
.LBB6_2217:                             ;   in Loop: Header=BB6_142 Depth=2
	s_mov_b32 s11, -1
	s_mov_b32 s27, exec_lo
                                        ; implicit-def: $sgpr25
	v_cmpx_eq_u16_e32 0x80, v94
; %bb.2218:                             ;   in Loop: Header=BB6_142 Depth=2
	s_mov_b32 s25, 0x7f800001
	s_xor_b32 s11, exec_lo, -1
; %bb.2219:                             ;   in Loop: Header=BB6_142 Depth=2
	s_or_b32 exec_lo, exec_lo, s27
	s_delay_alu instid0(SALU_CYCLE_1)
	s_and_b32 s11, s11, exec_lo
                                        ; implicit-def: $vgpr94
	s_or_saveexec_b32 s26, s26
	v_mov_b32_e32 v93, s25
	s_xor_b32 exec_lo, exec_lo, s26
	s_cbranch_execz .LBB6_957
.LBB6_2220:                             ;   in Loop: Header=BB6_142 Depth=2
	v_cmp_ne_u16_e32 vcc_lo, 0, v94
	v_mov_b32_e32 v93, 0
	s_and_not1_b32 s11, s11, exec_lo
	s_and_b32 s25, vcc_lo, exec_lo
	s_delay_alu instid0(SALU_CYCLE_1)
	s_or_b32 s11, s11, s25
	s_or_b32 exec_lo, exec_lo, s26
	s_and_saveexec_b32 s25, s11
	s_cbranch_execnz .LBB6_958
	s_branch .LBB6_959
.LBB6_2221:                             ;   in Loop: Header=BB6_142 Depth=2
	s_mov_b32 s11, -1
	s_mov_b32 s27, exec_lo
                                        ; implicit-def: $sgpr25
	v_cmpx_eq_u16_e32 0x80, v93
; %bb.2222:                             ;   in Loop: Header=BB6_142 Depth=2
	s_mov_b32 s25, 0x7f800001
	s_xor_b32 s11, exec_lo, -1
; %bb.2223:                             ;   in Loop: Header=BB6_142 Depth=2
	s_or_b32 exec_lo, exec_lo, s27
	s_delay_alu instid0(SALU_CYCLE_1)
	s_and_b32 s11, s11, exec_lo
	s_or_saveexec_b32 s26, s26
	v_mov_b32_e32 v92, s25
	s_xor_b32 exec_lo, exec_lo, s26
	s_cbranch_execz .LBB6_969
.LBB6_2224:                             ;   in Loop: Header=BB6_142 Depth=2
	v_cmp_ne_u16_e32 vcc_lo, 0, v93
	v_mov_b32_e32 v92, 0
	s_and_not1_b32 s11, s11, exec_lo
	s_and_b32 s25, vcc_lo, exec_lo
	s_delay_alu instid0(SALU_CYCLE_1)
	s_or_b32 s11, s11, s25
	s_or_b32 exec_lo, exec_lo, s26
	s_and_saveexec_b32 s25, s11
	s_cbranch_execnz .LBB6_970
	s_branch .LBB6_971
.LBB6_2225:                             ;   in Loop: Header=BB6_142 Depth=2
	s_mov_b32 s11, -1
	s_mov_b32 s27, exec_lo
                                        ; implicit-def: $sgpr25
	v_cmpx_eq_u16_e64 0x80, v160
; %bb.2226:                             ;   in Loop: Header=BB6_142 Depth=2
	s_mov_b32 s25, 0x7f800001
	s_xor_b32 s11, exec_lo, -1
; %bb.2227:                             ;   in Loop: Header=BB6_142 Depth=2
	s_or_b32 exec_lo, exec_lo, s27
	s_delay_alu instid0(SALU_CYCLE_1)
	s_and_b32 s11, s11, exec_lo
	s_or_saveexec_b32 s26, s26
	v_mov_b32_e32 v93, s25
	s_xor_b32 exec_lo, exec_lo, s26
	s_cbranch_execz .LBB6_973
.LBB6_2228:                             ;   in Loop: Header=BB6_142 Depth=2
	v_cmp_ne_u16_e64 vcc_lo, 0, v160
	v_mov_b32_e32 v93, 0
	s_and_not1_b32 s11, s11, exec_lo
	s_delay_alu instid0(VALU_DEP_2) | instskip(NEXT) | instid1(SALU_CYCLE_1)
	s_and_b32 s25, vcc_lo, exec_lo
	s_or_b32 s11, s11, s25
	s_or_b32 exec_lo, exec_lo, s26
	s_and_saveexec_b32 s25, s11
	s_cbranch_execnz .LBB6_974
	s_branch .LBB6_975
.LBB6_2229:                             ;   in Loop: Header=BB6_142 Depth=2
	s_mov_b32 s11, -1
	s_mov_b32 s27, exec_lo
                                        ; implicit-def: $sgpr25
	v_cmpx_eq_u16_e64 0x80, v160
; %bb.2230:                             ;   in Loop: Header=BB6_142 Depth=2
	s_mov_b32 s25, 0x7f800001
	s_xor_b32 s11, exec_lo, -1
; %bb.2231:                             ;   in Loop: Header=BB6_142 Depth=2
	s_or_b32 exec_lo, exec_lo, s27
	s_delay_alu instid0(SALU_CYCLE_1)
	s_and_b32 s11, s11, exec_lo
                                        ; implicit-def: $vgpr160
	s_or_saveexec_b32 s26, s26
	v_mov_b32_e32 v148, s25
	s_xor_b32 exec_lo, exec_lo, s26
	s_cbranch_execz .LBB6_985
.LBB6_2232:                             ;   in Loop: Header=BB6_142 Depth=2
	v_cmp_ne_u16_e64 vcc_lo, 0, v160
	v_mov_b32_e32 v148, 0
	s_and_not1_b32 s11, s11, exec_lo
	s_delay_alu instid0(VALU_DEP_2) | instskip(NEXT) | instid1(SALU_CYCLE_1)
	s_and_b32 s25, vcc_lo, exec_lo
	s_or_b32 s11, s11, s25
	s_or_b32 exec_lo, exec_lo, s26
	s_and_saveexec_b32 s25, s11
	s_cbranch_execnz .LBB6_986
	s_branch .LBB6_987
.LBB6_2233:                             ;   in Loop: Header=BB6_142 Depth=2
	s_mov_b32 s11, -1
	s_mov_b32 s27, exec_lo
                                        ; implicit-def: $sgpr25
	v_cmpx_eq_u16_e32 0x80, v92
; %bb.2234:                             ;   in Loop: Header=BB6_142 Depth=2
	s_mov_b32 s25, 0x7f800001
	s_xor_b32 s11, exec_lo, -1
; %bb.2235:                             ;   in Loop: Header=BB6_142 Depth=2
	s_or_b32 exec_lo, exec_lo, s27
	s_delay_alu instid0(SALU_CYCLE_1)
	s_and_b32 s11, s11, exec_lo
                                        ; implicit-def: $vgpr92
	s_or_saveexec_b32 s26, s26
	v_mov_b32_e32 v160, s25
	s_xor_b32 exec_lo, exec_lo, s26
	s_cbranch_execz .LBB6_989
.LBB6_2236:                             ;   in Loop: Header=BB6_142 Depth=2
	v_cmp_ne_u16_e32 vcc_lo, 0, v92
	v_mov_b32_e32 v160, 0
	s_and_not1_b32 s11, s11, exec_lo
	s_and_b32 s25, vcc_lo, exec_lo
	s_delay_alu instid0(SALU_CYCLE_1)
	s_or_b32 s11, s11, s25
	s_or_b32 exec_lo, exec_lo, s26
	s_and_saveexec_b32 s25, s11
	s_cbranch_execnz .LBB6_990
	s_branch .LBB6_991
.LBB6_2237:                             ;   in Loop: Header=BB6_142 Depth=2
	s_mov_b32 s11, -1
	s_mov_b32 s27, exec_lo
                                        ; implicit-def: $sgpr25
	v_cmpx_eq_u16_e32 0x80, v92
; %bb.2238:                             ;   in Loop: Header=BB6_142 Depth=2
	s_mov_b32 s25, 0x7f800001
	s_xor_b32 s11, exec_lo, -1
; %bb.2239:                             ;   in Loop: Header=BB6_142 Depth=2
	s_or_b32 exec_lo, exec_lo, s27
	s_delay_alu instid0(SALU_CYCLE_1)
	s_and_b32 s11, s11, exec_lo
	s_or_saveexec_b32 s26, s26
	v_mov_b32_e32 v160, s25
	s_xor_b32 exec_lo, exec_lo, s26
	s_cbranch_execz .LBB6_1001
.LBB6_2240:                             ;   in Loop: Header=BB6_142 Depth=2
	v_cmp_ne_u16_e32 vcc_lo, 0, v92
	v_mov_b32_e32 v160, 0
	s_and_not1_b32 s11, s11, exec_lo
	s_and_b32 s25, vcc_lo, exec_lo
	s_delay_alu instid0(SALU_CYCLE_1)
	s_or_b32 s11, s11, s25
	s_or_b32 exec_lo, exec_lo, s26
	s_and_saveexec_b32 s25, s11
	s_cbranch_execnz .LBB6_1002
	s_branch .LBB6_1003
.LBB6_2241:                             ;   in Loop: Header=BB6_142 Depth=2
	s_mov_b32 s11, -1
	s_mov_b32 s27, exec_lo
                                        ; implicit-def: $sgpr25
	v_cmpx_eq_u16_e32 0x80, v92
; %bb.2242:                             ;   in Loop: Header=BB6_142 Depth=2
	s_mov_b32 s25, 0x7f800001
	s_xor_b32 s11, exec_lo, -1
; %bb.2243:                             ;   in Loop: Header=BB6_142 Depth=2
	s_or_b32 exec_lo, exec_lo, s27
	s_delay_alu instid0(SALU_CYCLE_1)
	s_and_b32 s11, s11, exec_lo
	s_or_saveexec_b32 s26, s26
	v_mov_b32_e32 v93, s25
	s_xor_b32 exec_lo, exec_lo, s26
	s_cbranch_execz .LBB6_1005
.LBB6_2244:                             ;   in Loop: Header=BB6_142 Depth=2
	v_cmp_ne_u16_e32 vcc_lo, 0, v92
	v_mov_b32_e32 v93, 0
	s_and_not1_b32 s11, s11, exec_lo
	s_and_b32 s25, vcc_lo, exec_lo
	s_delay_alu instid0(SALU_CYCLE_1)
	s_or_b32 s11, s11, s25
	s_or_b32 exec_lo, exec_lo, s26
	s_and_saveexec_b32 s25, s11
	s_cbranch_execnz .LBB6_1006
	s_branch .LBB6_1007
.LBB6_2245:                             ;   in Loop: Header=BB6_142 Depth=2
	s_mov_b32 s11, -1
	s_mov_b32 s27, exec_lo
                                        ; implicit-def: $sgpr25
	v_cmpx_eq_u16_e32 0x80, v92
; %bb.2246:                             ;   in Loop: Header=BB6_142 Depth=2
	s_mov_b32 s25, 0x7f800001
	s_xor_b32 s11, exec_lo, -1
; %bb.2247:                             ;   in Loop: Header=BB6_142 Depth=2
	s_or_b32 exec_lo, exec_lo, s27
	s_delay_alu instid0(SALU_CYCLE_1)
	s_and_b32 s11, s11, exec_lo
                                        ; implicit-def: $vgpr92
	s_or_saveexec_b32 s26, s26
	v_mov_b32_e32 v165, s25
	s_xor_b32 exec_lo, exec_lo, s26
	s_cbranch_execz .LBB6_1017
.LBB6_2248:                             ;   in Loop: Header=BB6_142 Depth=2
	v_cmp_ne_u16_e32 vcc_lo, 0, v92
	v_mov_b32_e32 v165, 0
	s_and_not1_b32 s11, s11, exec_lo
	s_and_b32 s25, vcc_lo, exec_lo
	s_delay_alu instid0(SALU_CYCLE_1)
	s_or_b32 s11, s11, s25
	s_or_b32 exec_lo, exec_lo, s26
	v_lshl_or_b32 v90, v90, 16, v91
	s_and_saveexec_b32 s25, s11
	s_cbranch_execnz .LBB6_1018
	s_branch .LBB6_1019
.LBB6_2249:                             ;   in Loop: Header=BB6_142 Depth=2
	s_mov_b32 s11, -1
	s_mov_b32 s27, exec_lo
                                        ; implicit-def: $sgpr25
	v_cmpx_eq_u16_e32 0x80, v93
; %bb.2250:                             ;   in Loop: Header=BB6_142 Depth=2
	s_mov_b32 s25, 0x7f800001
	s_xor_b32 s11, exec_lo, -1
; %bb.2251:                             ;   in Loop: Header=BB6_142 Depth=2
	s_or_b32 exec_lo, exec_lo, s27
	s_delay_alu instid0(SALU_CYCLE_1)
	s_and_b32 s11, s11, exec_lo
                                        ; implicit-def: $vgpr93
	s_or_saveexec_b32 s26, s26
	v_mov_b32_e32 v92, s25
	s_xor_b32 exec_lo, exec_lo, s26
	s_cbranch_execz .LBB6_1021
.LBB6_2252:                             ;   in Loop: Header=BB6_142 Depth=2
	v_cmp_ne_u16_e32 vcc_lo, 0, v93
	v_mov_b32_e32 v92, 0
	s_and_not1_b32 s11, s11, exec_lo
	s_and_b32 s25, vcc_lo, exec_lo
	s_delay_alu instid0(SALU_CYCLE_1)
	s_or_b32 s11, s11, s25
	s_or_b32 exec_lo, exec_lo, s26
	s_and_saveexec_b32 s25, s11
	s_cbranch_execnz .LBB6_1022
	s_branch .LBB6_1023
.LBB6_2253:                             ;   in Loop: Header=BB6_142 Depth=2
	s_mov_b32 s11, -1
	s_mov_b32 s27, exec_lo
                                        ; implicit-def: $sgpr25
	v_cmpx_eq_u16_e32 0x80, v92
; %bb.2254:                             ;   in Loop: Header=BB6_142 Depth=2
	s_mov_b32 s25, 0x7f800001
	s_xor_b32 s11, exec_lo, -1
; %bb.2255:                             ;   in Loop: Header=BB6_142 Depth=2
	s_or_b32 exec_lo, exec_lo, s27
	s_delay_alu instid0(SALU_CYCLE_1)
	s_and_b32 s11, s11, exec_lo
	s_or_saveexec_b32 s26, s26
	v_mov_b32_e32 v91, s25
	s_xor_b32 exec_lo, exec_lo, s26
	s_cbranch_execz .LBB6_1033
.LBB6_2256:                             ;   in Loop: Header=BB6_142 Depth=2
	v_cmp_ne_u16_e32 vcc_lo, 0, v92
	v_mov_b32_e32 v91, 0
	s_and_not1_b32 s11, s11, exec_lo
	s_and_b32 s25, vcc_lo, exec_lo
	s_delay_alu instid0(SALU_CYCLE_1)
	s_or_b32 s11, s11, s25
	s_or_b32 exec_lo, exec_lo, s26
	s_and_saveexec_b32 s25, s11
	s_cbranch_execnz .LBB6_1034
	s_branch .LBB6_1035
.LBB6_2257:                             ;   in Loop: Header=BB6_142 Depth=2
	s_mov_b32 s11, -1
	s_mov_b32 s27, exec_lo
                                        ; implicit-def: $sgpr25
	v_cmpx_eq_u16_e32 0x80, v90
; %bb.2258:                             ;   in Loop: Header=BB6_142 Depth=2
	s_mov_b32 s25, 0x7f800001
	s_xor_b32 s11, exec_lo, -1
; %bb.2259:                             ;   in Loop: Header=BB6_142 Depth=2
	s_or_b32 exec_lo, exec_lo, s27
	s_delay_alu instid0(SALU_CYCLE_1)
	s_and_b32 s11, s11, exec_lo
	s_or_saveexec_b32 s26, s26
	v_mov_b32_e32 v92, s25
	s_xor_b32 exec_lo, exec_lo, s26
	s_cbranch_execz .LBB6_1037
.LBB6_2260:                             ;   in Loop: Header=BB6_142 Depth=2
	v_cmp_ne_u16_e32 vcc_lo, 0, v90
	v_mov_b32_e32 v92, 0
	s_and_not1_b32 s11, s11, exec_lo
	s_and_b32 s25, vcc_lo, exec_lo
	s_delay_alu instid0(SALU_CYCLE_1)
	s_or_b32 s11, s11, s25
	s_or_b32 exec_lo, exec_lo, s26
	s_and_saveexec_b32 s25, s11
	s_cbranch_execnz .LBB6_1038
	s_branch .LBB6_1039
.LBB6_2261:                             ;   in Loop: Header=BB6_142 Depth=2
	s_mov_b32 s11, -1
	s_mov_b32 s27, exec_lo
                                        ; implicit-def: $sgpr25
	v_cmpx_eq_u16_e32 0x80, v91
; %bb.2262:                             ;   in Loop: Header=BB6_142 Depth=2
	s_mov_b32 s25, 0x7f800001
	s_xor_b32 s11, exec_lo, -1
; %bb.2263:                             ;   in Loop: Header=BB6_142 Depth=2
	s_or_b32 exec_lo, exec_lo, s27
	s_delay_alu instid0(SALU_CYCLE_1)
	s_and_b32 s11, s11, exec_lo
                                        ; implicit-def: $vgpr91
	s_or_saveexec_b32 s26, s26
	v_mov_b32_e32 v90, s25
	s_xor_b32 exec_lo, exec_lo, s26
	s_cbranch_execz .LBB6_1049
.LBB6_2264:                             ;   in Loop: Header=BB6_142 Depth=2
	v_cmp_ne_u16_e32 vcc_lo, 0, v91
	v_mov_b32_e32 v90, 0
	s_and_not1_b32 s11, s11, exec_lo
	s_and_b32 s25, vcc_lo, exec_lo
	s_delay_alu instid0(SALU_CYCLE_1)
	s_or_b32 s11, s11, s25
	s_or_b32 exec_lo, exec_lo, s26
	s_and_saveexec_b32 s25, s11
	s_cbranch_execnz .LBB6_1050
	s_branch .LBB6_1051
.LBB6_2265:                             ;   in Loop: Header=BB6_142 Depth=2
	s_mov_b32 s11, -1
	s_mov_b32 s27, exec_lo
                                        ; implicit-def: $sgpr25
	v_cmpx_eq_u16_e32 0x80, v91
; %bb.2266:                             ;   in Loop: Header=BB6_142 Depth=2
	s_mov_b32 s25, 0x7f800001
	s_xor_b32 s11, exec_lo, -1
; %bb.2267:                             ;   in Loop: Header=BB6_142 Depth=2
	s_or_b32 exec_lo, exec_lo, s27
	s_delay_alu instid0(SALU_CYCLE_1)
	s_and_b32 s11, s11, exec_lo
                                        ; implicit-def: $vgpr91
	s_or_saveexec_b32 s26, s26
	v_mov_b32_e32 v179, s25
	s_xor_b32 exec_lo, exec_lo, s26
	s_cbranch_execz .LBB6_1053
.LBB6_2268:                             ;   in Loop: Header=BB6_142 Depth=2
	v_cmp_ne_u16_e32 vcc_lo, 0, v91
	v_mov_b32_e32 v179, 0
	s_and_not1_b32 s11, s11, exec_lo
	s_and_b32 s25, vcc_lo, exec_lo
	s_delay_alu instid0(SALU_CYCLE_1)
	s_or_b32 s11, s11, s25
	s_or_b32 exec_lo, exec_lo, s26
	s_and_saveexec_b32 s25, s11
	s_cbranch_execnz .LBB6_1054
	s_branch .LBB6_1055
.LBB6_2269:                             ;   in Loop: Header=BB6_142 Depth=2
	s_mov_b32 s11, -1
	s_mov_b32 s27, exec_lo
                                        ; implicit-def: $sgpr25
	v_cmpx_eq_u16_e32 0x80, v91
; %bb.2270:                             ;   in Loop: Header=BB6_142 Depth=2
	s_mov_b32 s25, 0x7f800001
	s_xor_b32 s11, exec_lo, -1
; %bb.2271:                             ;   in Loop: Header=BB6_142 Depth=2
	s_or_b32 exec_lo, exec_lo, s27
	s_delay_alu instid0(SALU_CYCLE_1)
	s_and_b32 s11, s11, exec_lo
                                        ; implicit-def: $vgpr91
	s_or_saveexec_b32 s26, s26
	v_mov_b32_e32 v90, s25
	s_xor_b32 exec_lo, exec_lo, s26
	s_cbranch_execz .LBB6_1065
.LBB6_2272:                             ;   in Loop: Header=BB6_142 Depth=2
	v_cmp_ne_u16_e32 vcc_lo, 0, v91
	v_mov_b32_e32 v90, 0
	s_and_not1_b32 s11, s11, exec_lo
	s_and_b32 s25, vcc_lo, exec_lo
	s_delay_alu instid0(SALU_CYCLE_1)
	s_or_b32 s11, s11, s25
	s_or_b32 exec_lo, exec_lo, s26
	s_and_saveexec_b32 s25, s11
	s_cbranch_execnz .LBB6_1066
	s_branch .LBB6_1067
.LBB6_2273:                             ;   in Loop: Header=BB6_142 Depth=2
	s_mov_b32 s11, -1
	s_mov_b32 s27, exec_lo
                                        ; implicit-def: $sgpr25
	v_cmpx_eq_u16_e32 0x80, v40
; %bb.2274:                             ;   in Loop: Header=BB6_142 Depth=2
	s_mov_b32 s25, 0x7f800001
	s_xor_b32 s11, exec_lo, -1
; %bb.2275:                             ;   in Loop: Header=BB6_142 Depth=2
	s_or_b32 exec_lo, exec_lo, s27
	s_delay_alu instid0(SALU_CYCLE_1)
	s_and_b32 s11, s11, exec_lo
	s_or_saveexec_b32 s26, s26
	v_mov_b32_e32 v91, s25
	s_xor_b32 exec_lo, exec_lo, s26
	s_cbranch_execz .LBB6_1069
.LBB6_2276:                             ;   in Loop: Header=BB6_142 Depth=2
	v_cmp_ne_u16_e32 vcc_lo, 0, v40
	v_mov_b32_e32 v91, 0
	s_and_not1_b32 s11, s11, exec_lo
	s_and_b32 s25, vcc_lo, exec_lo
	s_delay_alu instid0(SALU_CYCLE_1)
	s_or_b32 s11, s11, s25
	s_or_b32 exec_lo, exec_lo, s26
	s_and_saveexec_b32 s25, s11
	s_cbranch_execnz .LBB6_1070
	s_branch .LBB6_1071
.LBB6_2277:                             ;   in Loop: Header=BB6_142 Depth=2
	s_mov_b32 s11, -1
	s_mov_b32 s27, exec_lo
                                        ; implicit-def: $sgpr25
	v_cmpx_eq_u16_e32 0x80, v91
; %bb.2278:                             ;   in Loop: Header=BB6_142 Depth=2
	s_mov_b32 s25, 0x7f800001
	s_xor_b32 s11, exec_lo, -1
; %bb.2279:                             ;   in Loop: Header=BB6_142 Depth=2
	s_or_b32 exec_lo, exec_lo, s27
	s_delay_alu instid0(SALU_CYCLE_1)
	s_and_b32 s11, s11, exec_lo
                                        ; implicit-def: $vgpr91
	s_or_saveexec_b32 s26, s26
	v_mov_b32_e32 v90, s25
	s_xor_b32 exec_lo, exec_lo, s26
	s_cbranch_execz .LBB6_1081
.LBB6_2280:                             ;   in Loop: Header=BB6_142 Depth=2
	v_cmp_ne_u16_e32 vcc_lo, 0, v91
	v_mov_b32_e32 v90, 0
	s_and_not1_b32 s11, s11, exec_lo
	s_and_b32 s25, vcc_lo, exec_lo
	s_delay_alu instid0(SALU_CYCLE_1)
	s_or_b32 s11, s11, s25
	s_or_b32 exec_lo, exec_lo, s26
	s_and_saveexec_b32 s25, s11
	s_cbranch_execnz .LBB6_1082
	s_branch .LBB6_1083
.LBB6_2281:                             ;   in Loop: Header=BB6_142 Depth=2
	s_mov_b32 s11, -1
	s_mov_b32 s27, exec_lo
                                        ; implicit-def: $sgpr25
	v_cmpx_eq_u16_e32 0x80, v92
; %bb.2282:                             ;   in Loop: Header=BB6_142 Depth=2
	s_mov_b32 s25, 0x7f800001
	s_xor_b32 s11, exec_lo, -1
; %bb.2283:                             ;   in Loop: Header=BB6_142 Depth=2
	s_or_b32 exec_lo, exec_lo, s27
	s_delay_alu instid0(SALU_CYCLE_1)
	s_and_b32 s11, s11, exec_lo
                                        ; implicit-def: $vgpr92
	s_or_saveexec_b32 s26, s26
	v_mov_b32_e32 v91, s25
	s_xor_b32 exec_lo, exec_lo, s26
	s_cbranch_execz .LBB6_1085
.LBB6_2284:                             ;   in Loop: Header=BB6_142 Depth=2
	v_cmp_ne_u16_e32 vcc_lo, 0, v92
	v_mov_b32_e32 v91, 0
	s_and_not1_b32 s11, s11, exec_lo
	s_and_b32 s25, vcc_lo, exec_lo
	s_delay_alu instid0(SALU_CYCLE_1)
	s_or_b32 s11, s11, s25
	s_or_b32 exec_lo, exec_lo, s26
	s_and_saveexec_b32 s25, s11
	s_cbranch_execnz .LBB6_1086
	s_branch .LBB6_1087
.LBB6_2285:                             ;   in Loop: Header=BB6_142 Depth=2
	s_mov_b32 s11, -1
	s_mov_b32 s27, exec_lo
                                        ; implicit-def: $sgpr25
	v_cmpx_eq_u16_e32 0x80, v91
; %bb.2286:                             ;   in Loop: Header=BB6_142 Depth=2
	s_mov_b32 s25, 0x7f800001
	s_xor_b32 s11, exec_lo, -1
; %bb.2287:                             ;   in Loop: Header=BB6_142 Depth=2
	s_or_b32 exec_lo, exec_lo, s27
	s_delay_alu instid0(SALU_CYCLE_1)
	s_and_b32 s11, s11, exec_lo
	s_or_saveexec_b32 s26, s26
	v_mov_b32_e32 v90, s25
	s_xor_b32 exec_lo, exec_lo, s26
	s_cbranch_execz .LBB6_1097
.LBB6_2288:                             ;   in Loop: Header=BB6_142 Depth=2
	v_cmp_ne_u16_e32 vcc_lo, 0, v91
	v_mov_b32_e32 v90, 0
	s_and_not1_b32 s11, s11, exec_lo
	s_and_b32 s25, vcc_lo, exec_lo
	s_delay_alu instid0(SALU_CYCLE_1)
	s_or_b32 s11, s11, s25
	s_or_b32 exec_lo, exec_lo, s26
	s_and_saveexec_b32 s25, s11
	s_cbranch_execnz .LBB6_1098
	s_branch .LBB6_1099
.LBB6_2289:                             ;   in Loop: Header=BB6_142 Depth=2
	s_mov_b32 s11, -1
	s_mov_b32 s27, exec_lo
                                        ; implicit-def: $sgpr25
	v_cmpx_eq_u16_e32 0x80, v63
; %bb.2290:                             ;   in Loop: Header=BB6_142 Depth=2
	s_mov_b32 s25, 0x7f800001
	s_xor_b32 s11, exec_lo, -1
; %bb.2291:                             ;   in Loop: Header=BB6_142 Depth=2
	s_or_b32 exec_lo, exec_lo, s27
	s_delay_alu instid0(SALU_CYCLE_1)
	s_and_b32 s11, s11, exec_lo
	s_or_saveexec_b32 s26, s26
	v_mov_b32_e32 v91, s25
	s_xor_b32 exec_lo, exec_lo, s26
	s_cbranch_execz .LBB6_1101
.LBB6_2292:                             ;   in Loop: Header=BB6_142 Depth=2
	v_cmp_ne_u16_e32 vcc_lo, 0, v63
	v_mov_b32_e32 v91, 0
	s_and_not1_b32 s11, s11, exec_lo
	s_and_b32 s25, vcc_lo, exec_lo
	s_delay_alu instid0(SALU_CYCLE_1)
	s_or_b32 s11, s11, s25
	s_or_b32 exec_lo, exec_lo, s26
	s_and_saveexec_b32 s25, s11
	s_cbranch_execnz .LBB6_1102
	s_branch .LBB6_1103
.LBB6_2293:                             ;   in Loop: Header=BB6_142 Depth=2
	s_mov_b32 s11, -1
	s_mov_b32 s27, exec_lo
                                        ; implicit-def: $sgpr25
	v_cmpx_eq_u16_e32 0x80, v63
; %bb.2294:                             ;   in Loop: Header=BB6_142 Depth=2
	s_mov_b32 s25, 0x7f800001
	s_xor_b32 s11, exec_lo, -1
; %bb.2295:                             ;   in Loop: Header=BB6_142 Depth=2
	s_or_b32 exec_lo, exec_lo, s27
	s_delay_alu instid0(SALU_CYCLE_1)
	s_and_b32 s11, s11, exec_lo
                                        ; implicit-def: $vgpr63
	s_or_saveexec_b32 s26, s26
	v_mov_b32_e32 v61, s25
	s_xor_b32 exec_lo, exec_lo, s26
	s_cbranch_execz .LBB6_1113
.LBB6_2296:                             ;   in Loop: Header=BB6_142 Depth=2
	v_cmp_ne_u16_e32 vcc_lo, 0, v63
	v_mov_b32_e32 v61, 0
	s_and_not1_b32 s11, s11, exec_lo
	s_and_b32 s25, vcc_lo, exec_lo
	s_delay_alu instid0(SALU_CYCLE_1)
	s_or_b32 s11, s11, s25
	s_or_b32 exec_lo, exec_lo, s26
	s_and_saveexec_b32 s25, s11
	s_cbranch_execnz .LBB6_1114
	s_branch .LBB6_1115
.LBB6_2297:                             ;   in Loop: Header=BB6_142 Depth=2
	s_mov_b32 s11, -1
	s_mov_b32 s27, exec_lo
                                        ; implicit-def: $sgpr25
	v_cmpx_eq_u16_e32 0x80, v90
; %bb.2298:                             ;   in Loop: Header=BB6_142 Depth=2
	s_mov_b32 s25, 0x7f800001
	s_xor_b32 s11, exec_lo, -1
; %bb.2299:                             ;   in Loop: Header=BB6_142 Depth=2
	s_or_b32 exec_lo, exec_lo, s27
	s_delay_alu instid0(SALU_CYCLE_1)
	s_and_b32 s11, s11, exec_lo
                                        ; implicit-def: $vgpr90
	s_or_saveexec_b32 s26, s26
	v_mov_b32_e32 v63, s25
	s_xor_b32 exec_lo, exec_lo, s26
	s_cbranch_execz .LBB6_1117
.LBB6_2300:                             ;   in Loop: Header=BB6_142 Depth=2
	v_cmp_ne_u16_e32 vcc_lo, 0, v90
	v_mov_b32_e32 v63, 0
	s_and_not1_b32 s11, s11, exec_lo
	s_and_b32 s25, vcc_lo, exec_lo
	s_delay_alu instid0(SALU_CYCLE_1)
	s_or_b32 s11, s11, s25
	s_or_b32 exec_lo, exec_lo, s26
	s_and_saveexec_b32 s25, s11
	s_cbranch_execnz .LBB6_1118
	s_branch .LBB6_1119
.LBB6_2301:                             ;   in Loop: Header=BB6_142 Depth=2
	s_mov_b32 s11, -1
	s_mov_b32 s27, exec_lo
                                        ; implicit-def: $sgpr25
	v_cmpx_eq_u16_e32 0x80, v90
; %bb.2302:                             ;   in Loop: Header=BB6_142 Depth=2
	s_mov_b32 s25, 0x7f800001
	s_xor_b32 s11, exec_lo, -1
; %bb.2303:                             ;   in Loop: Header=BB6_142 Depth=2
	s_or_b32 exec_lo, exec_lo, s27
	s_delay_alu instid0(SALU_CYCLE_1)
	s_and_b32 s11, s11, exec_lo
	s_or_saveexec_b32 s26, s26
	v_mov_b32_e32 v63, s25
	s_xor_b32 exec_lo, exec_lo, s26
	s_cbranch_execz .LBB6_1129
.LBB6_2304:                             ;   in Loop: Header=BB6_142 Depth=2
	v_cmp_ne_u16_e32 vcc_lo, 0, v90
	v_mov_b32_e32 v63, 0
	s_and_not1_b32 s11, s11, exec_lo
	s_and_b32 s25, vcc_lo, exec_lo
	s_delay_alu instid0(SALU_CYCLE_1)
	s_or_b32 s11, s11, s25
	s_or_b32 exec_lo, exec_lo, s26
	s_and_saveexec_b32 s25, s11
	s_cbranch_execnz .LBB6_1130
	s_branch .LBB6_1131
.LBB6_2305:                             ;   in Loop: Header=BB6_142 Depth=2
	s_mov_b32 s11, -1
	s_mov_b32 s27, exec_lo
                                        ; implicit-def: $sgpr25
	v_cmpx_eq_u16_e32 0x80, v90
; %bb.2306:                             ;   in Loop: Header=BB6_142 Depth=2
	s_mov_b32 s25, 0x7f800001
	s_xor_b32 s11, exec_lo, -1
; %bb.2307:                             ;   in Loop: Header=BB6_142 Depth=2
	s_or_b32 exec_lo, exec_lo, s27
	s_delay_alu instid0(SALU_CYCLE_1)
	s_and_b32 s11, s11, exec_lo
	s_or_saveexec_b32 s26, s26
	v_mov_b32_e32 v91, s25
	s_xor_b32 exec_lo, exec_lo, s26
	s_cbranch_execz .LBB6_1133
.LBB6_2308:                             ;   in Loop: Header=BB6_142 Depth=2
	v_cmp_ne_u16_e32 vcc_lo, 0, v90
	v_mov_b32_e32 v91, 0
	s_and_not1_b32 s11, s11, exec_lo
	s_and_b32 s25, vcc_lo, exec_lo
	s_delay_alu instid0(SALU_CYCLE_1)
	s_or_b32 s11, s11, s25
	s_or_b32 exec_lo, exec_lo, s26
	s_and_saveexec_b32 s25, s11
	s_cbranch_execnz .LBB6_1134
	s_branch .LBB6_1135
.LBB6_2309:                             ;   in Loop: Header=BB6_142 Depth=2
	s_mov_b32 s11, -1
	s_mov_b32 s27, exec_lo
                                        ; implicit-def: $sgpr25
	v_cmpx_eq_u16_e32 0x80, v90
; %bb.2310:                             ;   in Loop: Header=BB6_142 Depth=2
	s_mov_b32 s25, 0x7f800001
	s_xor_b32 s11, exec_lo, -1
; %bb.2311:                             ;   in Loop: Header=BB6_142 Depth=2
	s_or_b32 exec_lo, exec_lo, s27
	s_delay_alu instid0(SALU_CYCLE_1)
	s_and_b32 s11, s11, exec_lo
                                        ; implicit-def: $vgpr90
	s_or_saveexec_b32 s26, s26
	v_mov_b32_e32 v78, s25
	s_xor_b32 exec_lo, exec_lo, s26
	s_cbranch_execz .LBB6_1145
.LBB6_2312:                             ;   in Loop: Header=BB6_142 Depth=2
	v_cmp_ne_u16_e32 vcc_lo, 0, v90
	v_mov_b32_e32 v78, 0
	s_and_not1_b32 s11, s11, exec_lo
	s_and_b32 s25, vcc_lo, exec_lo
	s_delay_alu instid0(SALU_CYCLE_1)
	s_or_b32 s11, s11, s25
	s_or_b32 exec_lo, exec_lo, s26
	v_lshl_or_b32 v88, v88, 16, v89
	s_and_saveexec_b32 s25, s11
	s_cbranch_execnz .LBB6_1146
	s_branch .LBB6_1147
.LBB6_2313:                             ;   in Loop: Header=BB6_142 Depth=2
	s_mov_b32 s11, -1
	s_mov_b32 s27, exec_lo
                                        ; implicit-def: $sgpr25
	v_cmpx_eq_u16_e32 0x80, v91
; %bb.2314:                             ;   in Loop: Header=BB6_142 Depth=2
	s_mov_b32 s25, 0x7f800001
	s_xor_b32 s11, exec_lo, -1
; %bb.2315:                             ;   in Loop: Header=BB6_142 Depth=2
	s_or_b32 exec_lo, exec_lo, s27
	s_delay_alu instid0(SALU_CYCLE_1)
	s_and_b32 s11, s11, exec_lo
                                        ; implicit-def: $vgpr91
	s_or_saveexec_b32 s26, s26
	v_mov_b32_e32 v90, s25
	s_xor_b32 exec_lo, exec_lo, s26
	s_cbranch_execz .LBB6_1149
.LBB6_2316:                             ;   in Loop: Header=BB6_142 Depth=2
	v_cmp_ne_u16_e32 vcc_lo, 0, v91
	v_mov_b32_e32 v90, 0
	s_and_not1_b32 s11, s11, exec_lo
	s_and_b32 s25, vcc_lo, exec_lo
	s_delay_alu instid0(SALU_CYCLE_1)
	s_or_b32 s11, s11, s25
	s_or_b32 exec_lo, exec_lo, s26
	s_and_saveexec_b32 s25, s11
	s_cbranch_execnz .LBB6_1150
	s_branch .LBB6_1151
.LBB6_2317:                             ;   in Loop: Header=BB6_142 Depth=2
	s_mov_b32 s11, -1
	s_mov_b32 s27, exec_lo
                                        ; implicit-def: $sgpr25
	v_cmpx_eq_u16_e32 0x80, v90
; %bb.2318:                             ;   in Loop: Header=BB6_142 Depth=2
	s_mov_b32 s25, 0x7f800001
	s_xor_b32 s11, exec_lo, -1
; %bb.2319:                             ;   in Loop: Header=BB6_142 Depth=2
	s_or_b32 exec_lo, exec_lo, s27
	s_delay_alu instid0(SALU_CYCLE_1)
	s_and_b32 s11, s11, exec_lo
	s_or_saveexec_b32 s26, s26
	v_mov_b32_e32 v89, s25
	s_xor_b32 exec_lo, exec_lo, s26
	s_cbranch_execz .LBB6_1161
.LBB6_2320:                             ;   in Loop: Header=BB6_142 Depth=2
	v_cmp_ne_u16_e32 vcc_lo, 0, v90
	v_mov_b32_e32 v89, 0
	s_and_not1_b32 s11, s11, exec_lo
	s_and_b32 s25, vcc_lo, exec_lo
	s_delay_alu instid0(SALU_CYCLE_1)
	s_or_b32 s11, s11, s25
	s_or_b32 exec_lo, exec_lo, s26
	s_and_saveexec_b32 s25, s11
	s_cbranch_execnz .LBB6_1162
	s_branch .LBB6_1163
.LBB6_2321:                             ;   in Loop: Header=BB6_142 Depth=2
	s_mov_b32 s11, -1
	s_mov_b32 s27, exec_lo
                                        ; implicit-def: $sgpr25
	v_cmpx_eq_u16_e32 0x80, v88
; %bb.2322:                             ;   in Loop: Header=BB6_142 Depth=2
	s_mov_b32 s25, 0x7f800001
	s_xor_b32 s11, exec_lo, -1
; %bb.2323:                             ;   in Loop: Header=BB6_142 Depth=2
	s_or_b32 exec_lo, exec_lo, s27
	s_delay_alu instid0(SALU_CYCLE_1)
	s_and_b32 s11, s11, exec_lo
	s_or_saveexec_b32 s26, s26
	v_mov_b32_e32 v90, s25
	s_xor_b32 exec_lo, exec_lo, s26
	s_cbranch_execz .LBB6_1165
.LBB6_2324:                             ;   in Loop: Header=BB6_142 Depth=2
	v_cmp_ne_u16_e32 vcc_lo, 0, v88
	v_mov_b32_e32 v90, 0
	s_and_not1_b32 s11, s11, exec_lo
	s_and_b32 s25, vcc_lo, exec_lo
	s_delay_alu instid0(SALU_CYCLE_1)
	s_or_b32 s11, s11, s25
	s_or_b32 exec_lo, exec_lo, s26
	s_and_saveexec_b32 s25, s11
	s_cbranch_execnz .LBB6_1166
	s_branch .LBB6_1167
.LBB6_2325:                             ;   in Loop: Header=BB6_142 Depth=2
	s_mov_b32 s11, -1
	s_mov_b32 s27, exec_lo
                                        ; implicit-def: $sgpr25
	v_cmpx_eq_u16_e32 0x80, v89
; %bb.2326:                             ;   in Loop: Header=BB6_142 Depth=2
	s_mov_b32 s25, 0x7f800001
	s_xor_b32 s11, exec_lo, -1
; %bb.2327:                             ;   in Loop: Header=BB6_142 Depth=2
	s_or_b32 exec_lo, exec_lo, s27
	s_delay_alu instid0(SALU_CYCLE_1)
	s_and_b32 s11, s11, exec_lo
                                        ; implicit-def: $vgpr89
	s_or_saveexec_b32 s26, s26
	v_mov_b32_e32 v88, s25
	s_xor_b32 exec_lo, exec_lo, s26
	s_cbranch_execz .LBB6_1177
.LBB6_2328:                             ;   in Loop: Header=BB6_142 Depth=2
	v_cmp_ne_u16_e32 vcc_lo, 0, v89
	v_mov_b32_e32 v88, 0
	s_and_not1_b32 s11, s11, exec_lo
	s_and_b32 s25, vcc_lo, exec_lo
	s_delay_alu instid0(SALU_CYCLE_1)
	s_or_b32 s11, s11, s25
	s_or_b32 exec_lo, exec_lo, s26
	s_and_saveexec_b32 s25, s11
	s_cbranch_execnz .LBB6_1178
	s_branch .LBB6_1179
.LBB6_2329:                             ;   in Loop: Header=BB6_142 Depth=2
	s_mov_b32 s11, -1
	s_mov_b32 s27, exec_lo
                                        ; implicit-def: $sgpr25
	v_cmpx_eq_u16_e32 0x80, v89
; %bb.2330:                             ;   in Loop: Header=BB6_142 Depth=2
	s_mov_b32 s25, 0x7f800001
	s_xor_b32 s11, exec_lo, -1
; %bb.2331:                             ;   in Loop: Header=BB6_142 Depth=2
	s_or_b32 exec_lo, exec_lo, s27
	s_delay_alu instid0(SALU_CYCLE_1)
	s_and_b32 s11, s11, exec_lo
                                        ; implicit-def: $vgpr89
	s_or_saveexec_b32 s26, s26
	v_mov_b32_e32 v79, s25
	s_xor_b32 exec_lo, exec_lo, s26
	s_cbranch_execz .LBB6_1181
.LBB6_2332:                             ;   in Loop: Header=BB6_142 Depth=2
	v_cmp_ne_u16_e32 vcc_lo, 0, v89
	v_mov_b32_e32 v79, 0
	s_and_not1_b32 s11, s11, exec_lo
	s_and_b32 s25, vcc_lo, exec_lo
	s_delay_alu instid0(SALU_CYCLE_1)
	s_or_b32 s11, s11, s25
	s_or_b32 exec_lo, exec_lo, s26
	s_and_saveexec_b32 s25, s11
	s_cbranch_execnz .LBB6_1182
	s_branch .LBB6_1183
.LBB6_2333:                             ;   in Loop: Header=BB6_142 Depth=2
	s_mov_b32 s11, -1
	s_mov_b32 s27, exec_lo
                                        ; implicit-def: $sgpr25
	v_cmpx_eq_u16_e32 0x80, v89
; %bb.2334:                             ;   in Loop: Header=BB6_142 Depth=2
	s_mov_b32 s25, 0x7f800001
	s_xor_b32 s11, exec_lo, -1
; %bb.2335:                             ;   in Loop: Header=BB6_142 Depth=2
	s_or_b32 exec_lo, exec_lo, s27
	s_delay_alu instid0(SALU_CYCLE_1)
	s_and_b32 s11, s11, exec_lo
                                        ; implicit-def: $vgpr89
	s_or_saveexec_b32 s26, s26
	v_mov_b32_e32 v88, s25
	s_xor_b32 exec_lo, exec_lo, s26
	s_cbranch_execz .LBB6_1193
.LBB6_2336:                             ;   in Loop: Header=BB6_142 Depth=2
	v_cmp_ne_u16_e32 vcc_lo, 0, v89
	v_mov_b32_e32 v88, 0
	s_and_not1_b32 s11, s11, exec_lo
	s_and_b32 s25, vcc_lo, exec_lo
	s_delay_alu instid0(SALU_CYCLE_1)
	s_or_b32 s11, s11, s25
	s_or_b32 exec_lo, exec_lo, s26
	s_and_saveexec_b32 s25, s11
	s_cbranch_execnz .LBB6_1194
	s_branch .LBB6_1195
.LBB6_2337:                             ;   in Loop: Header=BB6_142 Depth=2
	s_mov_b32 s11, -1
	s_mov_b32 s27, exec_lo
                                        ; implicit-def: $sgpr25
	v_cmpx_eq_u16_e32 0x80, v76
; %bb.2338:                             ;   in Loop: Header=BB6_142 Depth=2
	s_mov_b32 s25, 0x7f800001
	s_xor_b32 s11, exec_lo, -1
; %bb.2339:                             ;   in Loop: Header=BB6_142 Depth=2
	s_or_b32 exec_lo, exec_lo, s27
	s_delay_alu instid0(SALU_CYCLE_1)
	s_and_b32 s11, s11, exec_lo
	s_or_saveexec_b32 s26, s26
	v_mov_b32_e32 v89, s25
	s_xor_b32 exec_lo, exec_lo, s26
	s_cbranch_execz .LBB6_1197
.LBB6_2340:                             ;   in Loop: Header=BB6_142 Depth=2
	v_cmp_ne_u16_e32 vcc_lo, 0, v76
	v_mov_b32_e32 v89, 0
	s_and_not1_b32 s11, s11, exec_lo
	s_and_b32 s25, vcc_lo, exec_lo
	s_delay_alu instid0(SALU_CYCLE_1)
	s_or_b32 s11, s11, s25
	s_or_b32 exec_lo, exec_lo, s26
	s_and_saveexec_b32 s25, s11
	s_cbranch_execnz .LBB6_1198
	s_branch .LBB6_1199
.LBB6_2341:                             ;   in Loop: Header=BB6_142 Depth=2
	s_mov_b32 s11, -1
	s_mov_b32 s27, exec_lo
                                        ; implicit-def: $sgpr25
	v_cmpx_eq_u16_e32 0x80, v89
; %bb.2342:                             ;   in Loop: Header=BB6_142 Depth=2
	s_mov_b32 s25, 0x7f800001
	s_xor_b32 s11, exec_lo, -1
; %bb.2343:                             ;   in Loop: Header=BB6_142 Depth=2
	s_or_b32 exec_lo, exec_lo, s27
	s_delay_alu instid0(SALU_CYCLE_1)
	s_and_b32 s11, s11, exec_lo
                                        ; implicit-def: $vgpr89
	s_or_saveexec_b32 s26, s26
	v_mov_b32_e32 v88, s25
	s_xor_b32 exec_lo, exec_lo, s26
	s_cbranch_execz .LBB6_1209
.LBB6_2344:                             ;   in Loop: Header=BB6_142 Depth=2
	v_cmp_ne_u16_e32 vcc_lo, 0, v89
	v_mov_b32_e32 v88, 0
	s_and_not1_b32 s11, s11, exec_lo
	s_and_b32 s25, vcc_lo, exec_lo
	s_delay_alu instid0(SALU_CYCLE_1)
	s_or_b32 s11, s11, s25
	s_or_b32 exec_lo, exec_lo, s26
	s_and_saveexec_b32 s25, s11
	s_cbranch_execnz .LBB6_1210
	s_branch .LBB6_1211
.LBB6_2345:                             ;   in Loop: Header=BB6_142 Depth=2
	s_mov_b32 s11, -1
	s_mov_b32 s27, exec_lo
                                        ; implicit-def: $sgpr25
	v_cmpx_eq_u16_e32 0x80, v90
; %bb.2346:                             ;   in Loop: Header=BB6_142 Depth=2
	s_mov_b32 s25, 0x7f800001
	s_xor_b32 s11, exec_lo, -1
; %bb.2347:                             ;   in Loop: Header=BB6_142 Depth=2
	s_or_b32 exec_lo, exec_lo, s27
	s_delay_alu instid0(SALU_CYCLE_1)
	s_and_b32 s11, s11, exec_lo
                                        ; implicit-def: $vgpr90
	s_or_saveexec_b32 s26, s26
	v_mov_b32_e32 v89, s25
	s_xor_b32 exec_lo, exec_lo, s26
	s_cbranch_execz .LBB6_1213
.LBB6_2348:                             ;   in Loop: Header=BB6_142 Depth=2
	v_cmp_ne_u16_e32 vcc_lo, 0, v90
	v_mov_b32_e32 v89, 0
	s_and_not1_b32 s11, s11, exec_lo
	s_and_b32 s25, vcc_lo, exec_lo
	s_delay_alu instid0(SALU_CYCLE_1)
	s_or_b32 s11, s11, s25
	s_or_b32 exec_lo, exec_lo, s26
	s_and_saveexec_b32 s25, s11
	s_cbranch_execnz .LBB6_1214
	s_branch .LBB6_1215
.LBB6_2349:                             ;   in Loop: Header=BB6_142 Depth=2
	s_mov_b32 s11, -1
	s_mov_b32 s27, exec_lo
                                        ; implicit-def: $sgpr25
	v_cmpx_eq_u16_e32 0x80, v89
; %bb.2350:                             ;   in Loop: Header=BB6_142 Depth=2
	s_mov_b32 s25, 0x7f800001
	s_xor_b32 s11, exec_lo, -1
; %bb.2351:                             ;   in Loop: Header=BB6_142 Depth=2
	s_or_b32 exec_lo, exec_lo, s27
	s_delay_alu instid0(SALU_CYCLE_1)
	s_and_b32 s11, s11, exec_lo
	s_or_saveexec_b32 s26, s26
	v_mov_b32_e32 v88, s25
	s_xor_b32 exec_lo, exec_lo, s26
	s_cbranch_execz .LBB6_1225
.LBB6_2352:                             ;   in Loop: Header=BB6_142 Depth=2
	v_cmp_ne_u16_e32 vcc_lo, 0, v89
	v_mov_b32_e32 v88, 0
	s_and_not1_b32 s11, s11, exec_lo
	s_and_b32 s25, vcc_lo, exec_lo
	s_delay_alu instid0(SALU_CYCLE_1)
	s_or_b32 s11, s11, s25
	s_or_b32 exec_lo, exec_lo, s26
	s_and_saveexec_b32 s25, s11
	s_cbranch_execnz .LBB6_1226
	s_branch .LBB6_1227
.LBB6_2353:                             ;   in Loop: Header=BB6_142 Depth=2
	s_mov_b32 s11, -1
	s_mov_b32 s27, exec_lo
                                        ; implicit-def: $sgpr25
	v_cmpx_eq_u16_e32 0x80, v73
; %bb.2354:                             ;   in Loop: Header=BB6_142 Depth=2
	s_mov_b32 s25, 0x7f800001
	s_xor_b32 s11, exec_lo, -1
; %bb.2355:                             ;   in Loop: Header=BB6_142 Depth=2
	s_or_b32 exec_lo, exec_lo, s27
	s_delay_alu instid0(SALU_CYCLE_1)
	s_and_b32 s11, s11, exec_lo
	s_or_saveexec_b32 s26, s26
	v_mov_b32_e32 v89, s25
	s_xor_b32 exec_lo, exec_lo, s26
	s_cbranch_execz .LBB6_1229
.LBB6_2356:                             ;   in Loop: Header=BB6_142 Depth=2
	v_cmp_ne_u16_e32 vcc_lo, 0, v73
	v_mov_b32_e32 v89, 0
	s_and_not1_b32 s11, s11, exec_lo
	s_and_b32 s25, vcc_lo, exec_lo
	s_delay_alu instid0(SALU_CYCLE_1)
	s_or_b32 s11, s11, s25
	s_or_b32 exec_lo, exec_lo, s26
	s_and_saveexec_b32 s25, s11
	s_cbranch_execnz .LBB6_1230
	s_branch .LBB6_1231
.LBB6_2357:                             ;   in Loop: Header=BB6_142 Depth=2
	s_mov_b32 s11, -1
	s_mov_b32 s27, exec_lo
                                        ; implicit-def: $sgpr25
	v_cmpx_eq_u16_e32 0x80, v73
; %bb.2358:                             ;   in Loop: Header=BB6_142 Depth=2
	s_mov_b32 s25, 0x7f800001
	s_xor_b32 s11, exec_lo, -1
; %bb.2359:                             ;   in Loop: Header=BB6_142 Depth=2
	s_or_b32 exec_lo, exec_lo, s27
	s_delay_alu instid0(SALU_CYCLE_1)
	s_and_b32 s11, s11, exec_lo
                                        ; implicit-def: $vgpr73
	s_or_saveexec_b32 s26, s26
	v_mov_b32_e32 v72, s25
	s_xor_b32 exec_lo, exec_lo, s26
	s_cbranch_execz .LBB6_1241
.LBB6_2360:                             ;   in Loop: Header=BB6_142 Depth=2
	v_cmp_ne_u16_e32 vcc_lo, 0, v73
	v_mov_b32_e32 v72, 0
	s_and_not1_b32 s11, s11, exec_lo
	s_and_b32 s25, vcc_lo, exec_lo
	s_delay_alu instid0(SALU_CYCLE_1)
	s_or_b32 s11, s11, s25
	s_or_b32 exec_lo, exec_lo, s26
	s_and_saveexec_b32 s25, s11
	s_cbranch_execnz .LBB6_1242
	s_branch .LBB6_1243
.LBB6_2361:                             ;   in Loop: Header=BB6_142 Depth=2
	s_mov_b32 s11, -1
	s_mov_b32 s27, exec_lo
                                        ; implicit-def: $sgpr25
	v_cmpx_eq_u16_e32 0x80, v88
; %bb.2362:                             ;   in Loop: Header=BB6_142 Depth=2
	s_mov_b32 s25, 0x7f800001
	s_xor_b32 s11, exec_lo, -1
; %bb.2363:                             ;   in Loop: Header=BB6_142 Depth=2
	s_or_b32 exec_lo, exec_lo, s27
	s_delay_alu instid0(SALU_CYCLE_1)
	s_and_b32 s11, s11, exec_lo
                                        ; implicit-def: $vgpr88
	s_or_saveexec_b32 s26, s26
	v_mov_b32_e32 v73, s25
	s_xor_b32 exec_lo, exec_lo, s26
	s_cbranch_execz .LBB6_1245
.LBB6_2364:                             ;   in Loop: Header=BB6_142 Depth=2
	v_cmp_ne_u16_e32 vcc_lo, 0, v88
	v_mov_b32_e32 v73, 0
	s_and_not1_b32 s11, s11, exec_lo
	s_and_b32 s25, vcc_lo, exec_lo
	s_delay_alu instid0(SALU_CYCLE_1)
	s_or_b32 s11, s11, s25
	s_or_b32 exec_lo, exec_lo, s26
	s_and_saveexec_b32 s25, s11
	s_cbranch_execnz .LBB6_1246
	s_branch .LBB6_1247
.LBB6_2365:                             ;   in Loop: Header=BB6_142 Depth=2
	s_mov_b32 s11, -1
	s_mov_b32 s27, exec_lo
                                        ; implicit-def: $sgpr25
	v_cmpx_eq_u16_e32 0x80, v88
; %bb.2366:                             ;   in Loop: Header=BB6_142 Depth=2
	s_mov_b32 s25, 0x7f800001
	s_xor_b32 s11, exec_lo, -1
; %bb.2367:                             ;   in Loop: Header=BB6_142 Depth=2
	s_or_b32 exec_lo, exec_lo, s27
	s_delay_alu instid0(SALU_CYCLE_1)
	s_and_b32 s11, s11, exec_lo
	s_or_saveexec_b32 s26, s26
	v_mov_b32_e32 v73, s25
	s_xor_b32 exec_lo, exec_lo, s26
	s_cbranch_execz .LBB6_1257
.LBB6_2368:                             ;   in Loop: Header=BB6_142 Depth=2
	v_cmp_ne_u16_e32 vcc_lo, 0, v88
	v_mov_b32_e32 v73, 0
	s_and_not1_b32 s11, s11, exec_lo
	s_and_b32 s25, vcc_lo, exec_lo
	s_delay_alu instid0(SALU_CYCLE_1)
	s_or_b32 s11, s11, s25
	s_or_b32 exec_lo, exec_lo, s26
	s_and_saveexec_b32 s25, s11
	s_cbranch_execnz .LBB6_1258
	s_branch .LBB6_1259
.LBB6_2369:                             ;   in Loop: Header=BB6_142 Depth=2
	s_mov_b32 s11, -1
	s_mov_b32 s27, exec_lo
                                        ; implicit-def: $sgpr25
	v_cmpx_eq_u16_e32 0x80, v88
; %bb.2370:                             ;   in Loop: Header=BB6_142 Depth=2
	s_mov_b32 s25, 0x7f800001
	s_xor_b32 s11, exec_lo, -1
; %bb.2371:                             ;   in Loop: Header=BB6_142 Depth=2
	s_or_b32 exec_lo, exec_lo, s27
	s_delay_alu instid0(SALU_CYCLE_1)
	s_and_b32 s11, s11, exec_lo
	s_or_saveexec_b32 s26, s26
	v_mov_b32_e32 v89, s25
	s_xor_b32 exec_lo, exec_lo, s26
	s_cbranch_execz .LBB6_1261
.LBB6_2372:                             ;   in Loop: Header=BB6_142 Depth=2
	v_cmp_ne_u16_e32 vcc_lo, 0, v88
	v_mov_b32_e32 v89, 0
	s_and_not1_b32 s11, s11, exec_lo
	s_and_b32 s25, vcc_lo, exec_lo
	s_delay_alu instid0(SALU_CYCLE_1)
	s_or_b32 s11, s11, s25
	s_or_b32 exec_lo, exec_lo, s26
	s_and_saveexec_b32 s25, s11
	s_cbranch_execnz .LBB6_1262
	s_branch .LBB6_1263
.LBB6_2373:                             ;   in Loop: Header=BB6_142 Depth=2
	s_mov_b32 s11, -1
	s_mov_b32 s27, exec_lo
                                        ; implicit-def: $sgpr25
	v_cmpx_eq_u16_e32 0x80, v88
; %bb.2374:                             ;   in Loop: Header=BB6_142 Depth=2
	s_mov_b32 s25, 0x7f800001
	s_xor_b32 s11, exec_lo, -1
; %bb.2375:                             ;   in Loop: Header=BB6_142 Depth=2
	s_or_b32 exec_lo, exec_lo, s27
	s_delay_alu instid0(SALU_CYCLE_1)
	s_and_b32 s11, s11, exec_lo
                                        ; implicit-def: $vgpr88
	s_or_saveexec_b32 s26, s26
	v_mov_b32_e32 v62, s25
	s_xor_b32 exec_lo, exec_lo, s26
	s_cbranch_execz .LBB6_1273
.LBB6_2376:                             ;   in Loop: Header=BB6_142 Depth=2
	v_cmp_ne_u16_e32 vcc_lo, 0, v88
	v_mov_b32_e32 v62, 0
	s_and_not1_b32 s11, s11, exec_lo
	s_and_b32 s25, vcc_lo, exec_lo
	s_delay_alu instid0(SALU_CYCLE_1)
	s_or_b32 s11, s11, s25
	s_or_b32 exec_lo, exec_lo, s26
	v_lshl_or_b32 v74, v74, 16, v77
	s_and_saveexec_b32 s25, s11
	s_cbranch_execnz .LBB6_1274
	s_branch .LBB6_1275
.LBB6_2377:                             ;   in Loop: Header=BB6_142 Depth=2
	s_mov_b32 s11, -1
	s_mov_b32 s27, exec_lo
                                        ; implicit-def: $sgpr25
	v_cmpx_eq_u16_e32 0x80, v89
; %bb.2378:                             ;   in Loop: Header=BB6_142 Depth=2
	s_mov_b32 s25, 0x7f800001
	s_xor_b32 s11, exec_lo, -1
; %bb.2379:                             ;   in Loop: Header=BB6_142 Depth=2
	s_or_b32 exec_lo, exec_lo, s27
	s_delay_alu instid0(SALU_CYCLE_1)
	s_and_b32 s11, s11, exec_lo
                                        ; implicit-def: $vgpr89
	s_or_saveexec_b32 s26, s26
	v_mov_b32_e32 v88, s25
	s_xor_b32 exec_lo, exec_lo, s26
	s_cbranch_execz .LBB6_1277
.LBB6_2380:                             ;   in Loop: Header=BB6_142 Depth=2
	v_cmp_ne_u16_e32 vcc_lo, 0, v89
	v_mov_b32_e32 v88, 0
	s_and_not1_b32 s11, s11, exec_lo
	s_and_b32 s25, vcc_lo, exec_lo
	s_delay_alu instid0(SALU_CYCLE_1)
	s_or_b32 s11, s11, s25
	s_or_b32 exec_lo, exec_lo, s26
	s_and_saveexec_b32 s25, s11
	s_cbranch_execnz .LBB6_1278
	s_branch .LBB6_1279
.LBB6_2381:                             ;   in Loop: Header=BB6_142 Depth=2
	s_mov_b32 s11, -1
	s_mov_b32 s27, exec_lo
                                        ; implicit-def: $sgpr25
	v_cmpx_eq_u16_e32 0x80, v88
; %bb.2382:                             ;   in Loop: Header=BB6_142 Depth=2
	s_mov_b32 s25, 0x7f800001
	s_xor_b32 s11, exec_lo, -1
; %bb.2383:                             ;   in Loop: Header=BB6_142 Depth=2
	s_or_b32 exec_lo, exec_lo, s27
	s_delay_alu instid0(SALU_CYCLE_1)
	s_and_b32 s11, s11, exec_lo
	s_or_saveexec_b32 s26, s26
	v_mov_b32_e32 v77, s25
	s_xor_b32 exec_lo, exec_lo, s26
	s_cbranch_execz .LBB6_1289
.LBB6_2384:                             ;   in Loop: Header=BB6_142 Depth=2
	v_cmp_ne_u16_e32 vcc_lo, 0, v88
	v_mov_b32_e32 v77, 0
	s_and_not1_b32 s11, s11, exec_lo
	s_and_b32 s25, vcc_lo, exec_lo
	s_delay_alu instid0(SALU_CYCLE_1)
	s_or_b32 s11, s11, s25
	s_or_b32 exec_lo, exec_lo, s26
	s_and_saveexec_b32 s25, s11
	s_cbranch_execnz .LBB6_1290
	s_branch .LBB6_1291
.LBB6_2385:                             ;   in Loop: Header=BB6_142 Depth=2
	s_mov_b32 s11, -1
	s_mov_b32 s27, exec_lo
                                        ; implicit-def: $sgpr25
	v_cmpx_eq_u16_e32 0x80, v74
; %bb.2386:                             ;   in Loop: Header=BB6_142 Depth=2
	s_mov_b32 s25, 0x7f800001
	s_xor_b32 s11, exec_lo, -1
; %bb.2387:                             ;   in Loop: Header=BB6_142 Depth=2
	s_or_b32 exec_lo, exec_lo, s27
	s_delay_alu instid0(SALU_CYCLE_1)
	s_and_b32 s11, s11, exec_lo
	s_or_saveexec_b32 s26, s26
	v_mov_b32_e32 v88, s25
	s_xor_b32 exec_lo, exec_lo, s26
	s_cbranch_execz .LBB6_1293
.LBB6_2388:                             ;   in Loop: Header=BB6_142 Depth=2
	v_cmp_ne_u16_e32 vcc_lo, 0, v74
	v_mov_b32_e32 v88, 0
	s_and_not1_b32 s11, s11, exec_lo
	s_and_b32 s25, vcc_lo, exec_lo
	s_delay_alu instid0(SALU_CYCLE_1)
	s_or_b32 s11, s11, s25
	s_or_b32 exec_lo, exec_lo, s26
	s_and_saveexec_b32 s25, s11
	s_cbranch_execnz .LBB6_1294
	s_branch .LBB6_1295
.LBB6_2389:                             ;   in Loop: Header=BB6_142 Depth=2
	s_mov_b32 s11, -1
	s_mov_b32 s27, exec_lo
                                        ; implicit-def: $sgpr25
	v_cmpx_eq_u16_e32 0x80, v77
; %bb.2390:                             ;   in Loop: Header=BB6_142 Depth=2
	s_mov_b32 s25, 0x7f800001
	s_xor_b32 s11, exec_lo, -1
; %bb.2391:                             ;   in Loop: Header=BB6_142 Depth=2
	s_or_b32 exec_lo, exec_lo, s27
	s_delay_alu instid0(SALU_CYCLE_1)
	s_and_b32 s11, s11, exec_lo
                                        ; implicit-def: $vgpr77
	s_or_saveexec_b32 s26, s26
	v_mov_b32_e32 v74, s25
	s_xor_b32 exec_lo, exec_lo, s26
	s_cbranch_execz .LBB6_1305
.LBB6_2392:                             ;   in Loop: Header=BB6_142 Depth=2
	v_cmp_ne_u16_e32 vcc_lo, 0, v77
	v_mov_b32_e32 v74, 0
	s_and_not1_b32 s11, s11, exec_lo
	s_and_b32 s25, vcc_lo, exec_lo
	s_delay_alu instid0(SALU_CYCLE_1)
	s_or_b32 s11, s11, s25
	s_or_b32 exec_lo, exec_lo, s26
	s_and_saveexec_b32 s25, s11
	s_cbranch_execnz .LBB6_1306
	s_branch .LBB6_1307
.LBB6_2393:                             ;   in Loop: Header=BB6_142 Depth=2
	s_mov_b32 s11, -1
	s_mov_b32 s27, exec_lo
                                        ; implicit-def: $sgpr25
	v_cmpx_eq_u16_e32 0x80, v77
; %bb.2394:                             ;   in Loop: Header=BB6_142 Depth=2
	s_mov_b32 s25, 0x7f800001
	s_xor_b32 s11, exec_lo, -1
; %bb.2395:                             ;   in Loop: Header=BB6_142 Depth=2
	s_or_b32 exec_lo, exec_lo, s27
	s_delay_alu instid0(SALU_CYCLE_1)
	s_and_b32 s11, s11, exec_lo
                                        ; implicit-def: $vgpr77
	s_or_saveexec_b32 s26, s26
	v_mov_b32_e32 v60, s25
	s_xor_b32 exec_lo, exec_lo, s26
	s_cbranch_execz .LBB6_1309
.LBB6_2396:                             ;   in Loop: Header=BB6_142 Depth=2
	v_cmp_ne_u16_e32 vcc_lo, 0, v77
	v_mov_b32_e32 v60, 0
	s_and_not1_b32 s11, s11, exec_lo
	s_and_b32 s25, vcc_lo, exec_lo
	s_delay_alu instid0(SALU_CYCLE_1)
	s_or_b32 s11, s11, s25
	s_or_b32 exec_lo, exec_lo, s26
	s_and_saveexec_b32 s25, s11
	s_cbranch_execnz .LBB6_1310
	s_branch .LBB6_1311
.LBB6_2397:                             ;   in Loop: Header=BB6_142 Depth=2
	s_mov_b32 s11, -1
	s_mov_b32 s27, exec_lo
                                        ; implicit-def: $sgpr25
	v_cmpx_eq_u16_e32 0x80, v77
; %bb.2398:                             ;   in Loop: Header=BB6_142 Depth=2
	s_mov_b32 s25, 0x7f800001
	s_xor_b32 s11, exec_lo, -1
; %bb.2399:                             ;   in Loop: Header=BB6_142 Depth=2
	s_or_b32 exec_lo, exec_lo, s27
	s_delay_alu instid0(SALU_CYCLE_1)
	s_and_b32 s11, s11, exec_lo
                                        ; implicit-def: $vgpr77
	s_or_saveexec_b32 s26, s26
	v_mov_b32_e32 v74, s25
	s_xor_b32 exec_lo, exec_lo, s26
	s_cbranch_execz .LBB6_1321
.LBB6_2400:                             ;   in Loop: Header=BB6_142 Depth=2
	v_cmp_ne_u16_e32 vcc_lo, 0, v77
	v_mov_b32_e32 v74, 0
	s_and_not1_b32 s11, s11, exec_lo
	s_and_b32 s25, vcc_lo, exec_lo
	s_delay_alu instid0(SALU_CYCLE_1)
	s_or_b32 s11, s11, s25
	s_or_b32 exec_lo, exec_lo, s26
	s_and_saveexec_b32 s25, s11
	s_cbranch_execnz .LBB6_1322
	s_branch .LBB6_1323
.LBB6_2401:                             ;   in Loop: Header=BB6_142 Depth=2
	s_mov_b32 s11, -1
	s_mov_b32 s27, exec_lo
                                        ; implicit-def: $sgpr25
	v_cmpx_eq_u16_e32 0x80, v58
; %bb.2402:                             ;   in Loop: Header=BB6_142 Depth=2
	s_mov_b32 s25, 0x7f800001
	s_xor_b32 s11, exec_lo, -1
; %bb.2403:                             ;   in Loop: Header=BB6_142 Depth=2
	s_or_b32 exec_lo, exec_lo, s27
	s_delay_alu instid0(SALU_CYCLE_1)
	s_and_b32 s11, s11, exec_lo
	s_or_saveexec_b32 s26, s26
	v_mov_b32_e32 v77, s25
	s_xor_b32 exec_lo, exec_lo, s26
	s_cbranch_execz .LBB6_1325
.LBB6_2404:                             ;   in Loop: Header=BB6_142 Depth=2
	v_cmp_ne_u16_e32 vcc_lo, 0, v58
	v_mov_b32_e32 v77, 0
	s_and_not1_b32 s11, s11, exec_lo
	s_and_b32 s25, vcc_lo, exec_lo
	s_delay_alu instid0(SALU_CYCLE_1)
	s_or_b32 s11, s11, s25
	s_or_b32 exec_lo, exec_lo, s26
	s_and_saveexec_b32 s25, s11
	s_cbranch_execnz .LBB6_1326
	s_branch .LBB6_1327
.LBB6_2405:                             ;   in Loop: Header=BB6_142 Depth=2
	s_mov_b32 s11, -1
	s_mov_b32 s27, exec_lo
                                        ; implicit-def: $sgpr25
	v_cmpx_eq_u16_e32 0x80, v77
; %bb.2406:                             ;   in Loop: Header=BB6_142 Depth=2
	s_mov_b32 s25, 0x7f800001
	s_xor_b32 s11, exec_lo, -1
; %bb.2407:                             ;   in Loop: Header=BB6_142 Depth=2
	s_or_b32 exec_lo, exec_lo, s27
	s_delay_alu instid0(SALU_CYCLE_1)
	s_and_b32 s11, s11, exec_lo
                                        ; implicit-def: $vgpr77
	s_or_saveexec_b32 s26, s26
	v_mov_b32_e32 v74, s25
	s_xor_b32 exec_lo, exec_lo, s26
	s_cbranch_execz .LBB6_1337
.LBB6_2408:                             ;   in Loop: Header=BB6_142 Depth=2
	v_cmp_ne_u16_e32 vcc_lo, 0, v77
	v_mov_b32_e32 v74, 0
	s_and_not1_b32 s11, s11, exec_lo
	s_and_b32 s25, vcc_lo, exec_lo
	s_delay_alu instid0(SALU_CYCLE_1)
	s_or_b32 s11, s11, s25
	s_or_b32 exec_lo, exec_lo, s26
	s_and_saveexec_b32 s25, s11
	s_cbranch_execnz .LBB6_1338
	s_branch .LBB6_1339
.LBB6_2409:                             ;   in Loop: Header=BB6_142 Depth=2
	s_mov_b32 s11, -1
	s_mov_b32 s27, exec_lo
                                        ; implicit-def: $sgpr25
	v_cmpx_eq_u16_e32 0x80, v88
; %bb.2410:                             ;   in Loop: Header=BB6_142 Depth=2
	s_mov_b32 s25, 0x7f800001
	s_xor_b32 s11, exec_lo, -1
; %bb.2411:                             ;   in Loop: Header=BB6_142 Depth=2
	s_or_b32 exec_lo, exec_lo, s27
	s_delay_alu instid0(SALU_CYCLE_1)
	s_and_b32 s11, s11, exec_lo
                                        ; implicit-def: $vgpr88
	s_or_saveexec_b32 s26, s26
	v_mov_b32_e32 v77, s25
	s_xor_b32 exec_lo, exec_lo, s26
	s_cbranch_execz .LBB6_1341
.LBB6_2412:                             ;   in Loop: Header=BB6_142 Depth=2
	v_cmp_ne_u16_e32 vcc_lo, 0, v88
	v_mov_b32_e32 v77, 0
	s_and_not1_b32 s11, s11, exec_lo
	s_and_b32 s25, vcc_lo, exec_lo
	s_delay_alu instid0(SALU_CYCLE_1)
	s_or_b32 s11, s11, s25
	s_or_b32 exec_lo, exec_lo, s26
	s_and_saveexec_b32 s25, s11
	s_cbranch_execnz .LBB6_1342
	s_branch .LBB6_1343
.LBB6_2413:                             ;   in Loop: Header=BB6_142 Depth=2
	s_mov_b32 s11, -1
	s_mov_b32 s27, exec_lo
                                        ; implicit-def: $sgpr25
	v_cmpx_eq_u16_e32 0x80, v77
; %bb.2414:                             ;   in Loop: Header=BB6_142 Depth=2
	s_mov_b32 s25, 0x7f800001
	s_xor_b32 s11, exec_lo, -1
; %bb.2415:                             ;   in Loop: Header=BB6_142 Depth=2
	s_or_b32 exec_lo, exec_lo, s27
	s_delay_alu instid0(SALU_CYCLE_1)
	s_and_b32 s11, s11, exec_lo
	s_or_saveexec_b32 s26, s26
	v_mov_b32_e32 v74, s25
	s_xor_b32 exec_lo, exec_lo, s26
	s_cbranch_execz .LBB6_1353
.LBB6_2416:                             ;   in Loop: Header=BB6_142 Depth=2
	v_cmp_ne_u16_e32 vcc_lo, 0, v77
	v_mov_b32_e32 v74, 0
	s_and_not1_b32 s11, s11, exec_lo
	s_and_b32 s25, vcc_lo, exec_lo
	s_delay_alu instid0(SALU_CYCLE_1)
	s_or_b32 s11, s11, s25
	s_or_b32 exec_lo, exec_lo, s26
	s_and_saveexec_b32 s25, s11
	s_cbranch_execnz .LBB6_1354
	s_branch .LBB6_1355
.LBB6_2417:                             ;   in Loop: Header=BB6_142 Depth=2
	s_mov_b32 s11, -1
	s_mov_b32 s27, exec_lo
                                        ; implicit-def: $sgpr25
	v_cmpx_eq_u16_e32 0x80, v47
; %bb.2418:                             ;   in Loop: Header=BB6_142 Depth=2
	s_mov_b32 s25, 0x7f800001
	s_xor_b32 s11, exec_lo, -1
; %bb.2419:                             ;   in Loop: Header=BB6_142 Depth=2
	s_or_b32 exec_lo, exec_lo, s27
	s_delay_alu instid0(SALU_CYCLE_1)
	s_and_b32 s11, s11, exec_lo
	s_or_saveexec_b32 s26, s26
	v_mov_b32_e32 v77, s25
	s_xor_b32 exec_lo, exec_lo, s26
	s_cbranch_execz .LBB6_1357
.LBB6_2420:                             ;   in Loop: Header=BB6_142 Depth=2
	v_cmp_ne_u16_e32 vcc_lo, 0, v47
	v_mov_b32_e32 v77, 0
	s_and_not1_b32 s11, s11, exec_lo
	s_and_b32 s25, vcc_lo, exec_lo
	s_delay_alu instid0(SALU_CYCLE_1)
	s_or_b32 s11, s11, s25
	s_or_b32 exec_lo, exec_lo, s26
	s_and_saveexec_b32 s25, s11
	s_cbranch_execnz .LBB6_1358
	s_branch .LBB6_1359
.LBB6_2421:                             ;   in Loop: Header=BB6_142 Depth=2
	s_mov_b32 s11, -1
	s_mov_b32 s27, exec_lo
                                        ; implicit-def: $sgpr25
	v_cmpx_eq_u16_e32 0x80, v47
; %bb.2422:                             ;   in Loop: Header=BB6_142 Depth=2
	s_mov_b32 s25, 0x7f800001
	s_xor_b32 s11, exec_lo, -1
; %bb.2423:                             ;   in Loop: Header=BB6_142 Depth=2
	s_or_b32 exec_lo, exec_lo, s27
	s_delay_alu instid0(SALU_CYCLE_1)
	s_and_b32 s11, s11, exec_lo
                                        ; implicit-def: $vgpr47
	s_or_saveexec_b32 s26, s26
	v_mov_b32_e32 v46, s25
	s_xor_b32 exec_lo, exec_lo, s26
	s_cbranch_execz .LBB6_1369
.LBB6_2424:                             ;   in Loop: Header=BB6_142 Depth=2
	v_cmp_ne_u16_e32 vcc_lo, 0, v47
	v_mov_b32_e32 v46, 0
	s_and_not1_b32 s11, s11, exec_lo
	s_and_b32 s25, vcc_lo, exec_lo
	s_delay_alu instid0(SALU_CYCLE_1)
	s_or_b32 s11, s11, s25
	s_or_b32 exec_lo, exec_lo, s26
	s_and_saveexec_b32 s25, s11
	s_cbranch_execnz .LBB6_1370
	s_branch .LBB6_1371
.LBB6_2425:                             ;   in Loop: Header=BB6_142 Depth=2
	s_mov_b32 s11, -1
	s_mov_b32 s27, exec_lo
                                        ; implicit-def: $sgpr25
	v_cmpx_eq_u16_e32 0x80, v74
; %bb.2426:                             ;   in Loop: Header=BB6_142 Depth=2
	s_mov_b32 s25, 0x7f800001
	s_xor_b32 s11, exec_lo, -1
; %bb.2427:                             ;   in Loop: Header=BB6_142 Depth=2
	s_or_b32 exec_lo, exec_lo, s27
	s_delay_alu instid0(SALU_CYCLE_1)
	s_and_b32 s11, s11, exec_lo
                                        ; implicit-def: $vgpr74
	s_or_saveexec_b32 s26, s26
	v_mov_b32_e32 v47, s25
	s_xor_b32 exec_lo, exec_lo, s26
	s_cbranch_execz .LBB6_1373
.LBB6_2428:                             ;   in Loop: Header=BB6_142 Depth=2
	v_cmp_ne_u16_e32 vcc_lo, 0, v74
	v_mov_b32_e32 v47, 0
	s_and_not1_b32 s11, s11, exec_lo
	s_and_b32 s25, vcc_lo, exec_lo
	s_delay_alu instid0(SALU_CYCLE_1)
	s_or_b32 s11, s11, s25
	s_or_b32 exec_lo, exec_lo, s26
	s_and_saveexec_b32 s25, s11
	s_cbranch_execnz .LBB6_1374
	s_branch .LBB6_1375
.LBB6_2429:                             ;   in Loop: Header=BB6_142 Depth=2
	s_mov_b32 s11, -1
	s_mov_b32 s27, exec_lo
                                        ; implicit-def: $sgpr25
	v_cmpx_eq_u16_e32 0x80, v74
; %bb.2430:                             ;   in Loop: Header=BB6_142 Depth=2
	s_mov_b32 s25, 0x7f800001
	s_xor_b32 s11, exec_lo, -1
; %bb.2431:                             ;   in Loop: Header=BB6_142 Depth=2
	s_or_b32 exec_lo, exec_lo, s27
	s_delay_alu instid0(SALU_CYCLE_1)
	s_and_b32 s11, s11, exec_lo
	s_or_saveexec_b32 s26, s26
	v_mov_b32_e32 v47, s25
	s_xor_b32 exec_lo, exec_lo, s26
	s_cbranch_execz .LBB6_1385
.LBB6_2432:                             ;   in Loop: Header=BB6_142 Depth=2
	v_cmp_ne_u16_e32 vcc_lo, 0, v74
	v_mov_b32_e32 v47, 0
	s_and_not1_b32 s11, s11, exec_lo
	s_and_b32 s25, vcc_lo, exec_lo
	s_delay_alu instid0(SALU_CYCLE_1)
	s_or_b32 s11, s11, s25
	s_or_b32 exec_lo, exec_lo, s26
	s_and_saveexec_b32 s25, s11
	s_cbranch_execnz .LBB6_1386
	s_branch .LBB6_1387
.LBB6_2433:                             ;   in Loop: Header=BB6_142 Depth=2
	s_mov_b32 s11, -1
	s_mov_b32 s27, exec_lo
                                        ; implicit-def: $sgpr25
	v_cmpx_eq_u16_e32 0x80, v74
; %bb.2434:                             ;   in Loop: Header=BB6_142 Depth=2
	s_mov_b32 s25, 0x7f800001
	s_xor_b32 s11, exec_lo, -1
; %bb.2435:                             ;   in Loop: Header=BB6_142 Depth=2
	s_or_b32 exec_lo, exec_lo, s27
	s_delay_alu instid0(SALU_CYCLE_1)
	s_and_b32 s11, s11, exec_lo
	s_or_saveexec_b32 s26, s26
	v_mov_b32_e32 v77, s25
	s_xor_b32 exec_lo, exec_lo, s26
	s_cbranch_execz .LBB6_1389
.LBB6_2436:                             ;   in Loop: Header=BB6_142 Depth=2
	v_cmp_ne_u16_e32 vcc_lo, 0, v74
	v_mov_b32_e32 v77, 0
	s_and_not1_b32 s11, s11, exec_lo
	s_and_b32 s25, vcc_lo, exec_lo
	s_delay_alu instid0(SALU_CYCLE_1)
	s_or_b32 s11, s11, s25
	s_or_b32 exec_lo, exec_lo, s26
	s_and_saveexec_b32 s25, s11
	s_cbranch_execnz .LBB6_1390
	s_branch .LBB6_1391
.LBB6_2437:                             ;   in Loop: Header=BB6_142 Depth=2
	s_mov_b32 s11, -1
	s_mov_b32 s27, exec_lo
                                        ; implicit-def: $sgpr25
	v_cmpx_eq_u16_e32 0x80, v74
; %bb.2438:                             ;   in Loop: Header=BB6_142 Depth=2
	s_mov_b32 s25, 0x7f800001
	s_xor_b32 s11, exec_lo, -1
; %bb.2439:                             ;   in Loop: Header=BB6_142 Depth=2
	s_or_b32 exec_lo, exec_lo, s27
	s_delay_alu instid0(SALU_CYCLE_1)
	s_and_b32 s11, s11, exec_lo
                                        ; implicit-def: $vgpr74
	s_or_saveexec_b32 s26, s26
	v_mov_b32_e32 v45, s25
	s_xor_b32 exec_lo, exec_lo, s26
	s_cbranch_execz .LBB6_1401
.LBB6_2440:                             ;   in Loop: Header=BB6_142 Depth=2
	v_cmp_ne_u16_e32 vcc_lo, 0, v74
	v_mov_b32_e32 v45, 0
	s_and_not1_b32 s11, s11, exec_lo
	s_and_b32 s25, vcc_lo, exec_lo
	s_delay_alu instid0(SALU_CYCLE_1)
	s_or_b32 s11, s11, s25
	s_or_b32 exec_lo, exec_lo, s26
	v_lshl_or_b32 v56, v56, 16, v59
	s_and_saveexec_b32 s25, s11
	s_cbranch_execnz .LBB6_1402
	s_branch .LBB6_1403
.LBB6_2441:                             ;   in Loop: Header=BB6_142 Depth=2
	s_mov_b32 s11, -1
	s_mov_b32 s27, exec_lo
                                        ; implicit-def: $sgpr25
	v_cmpx_eq_u16_e32 0x80, v77
; %bb.2442:                             ;   in Loop: Header=BB6_142 Depth=2
	s_mov_b32 s25, 0x7f800001
	s_xor_b32 s11, exec_lo, -1
; %bb.2443:                             ;   in Loop: Header=BB6_142 Depth=2
	s_or_b32 exec_lo, exec_lo, s27
	s_delay_alu instid0(SALU_CYCLE_1)
	s_and_b32 s11, s11, exec_lo
                                        ; implicit-def: $vgpr77
	s_or_saveexec_b32 s26, s26
	v_mov_b32_e32 v74, s25
	s_xor_b32 exec_lo, exec_lo, s26
	s_cbranch_execz .LBB6_1405
.LBB6_2444:                             ;   in Loop: Header=BB6_142 Depth=2
	v_cmp_ne_u16_e32 vcc_lo, 0, v77
	v_mov_b32_e32 v74, 0
	s_and_not1_b32 s11, s11, exec_lo
	s_and_b32 s25, vcc_lo, exec_lo
	s_delay_alu instid0(SALU_CYCLE_1)
	s_or_b32 s11, s11, s25
	s_or_b32 exec_lo, exec_lo, s26
	s_and_saveexec_b32 s25, s11
	s_cbranch_execnz .LBB6_1406
	s_branch .LBB6_1407
.LBB6_2445:                             ;   in Loop: Header=BB6_142 Depth=2
	s_mov_b32 s11, -1
	s_mov_b32 s27, exec_lo
                                        ; implicit-def: $sgpr25
	v_cmpx_eq_u16_e32 0x80, v74
; %bb.2446:                             ;   in Loop: Header=BB6_142 Depth=2
	s_mov_b32 s25, 0x7f800001
	s_xor_b32 s11, exec_lo, -1
; %bb.2447:                             ;   in Loop: Header=BB6_142 Depth=2
	s_or_b32 exec_lo, exec_lo, s27
	s_delay_alu instid0(SALU_CYCLE_1)
	s_and_b32 s11, s11, exec_lo
	s_or_saveexec_b32 s26, s26
	v_mov_b32_e32 v59, s25
	s_xor_b32 exec_lo, exec_lo, s26
	s_cbranch_execz .LBB6_1417
.LBB6_2448:                             ;   in Loop: Header=BB6_142 Depth=2
	v_cmp_ne_u16_e32 vcc_lo, 0, v74
	v_mov_b32_e32 v59, 0
	s_and_not1_b32 s11, s11, exec_lo
	s_and_b32 s25, vcc_lo, exec_lo
	s_delay_alu instid0(SALU_CYCLE_1)
	s_or_b32 s11, s11, s25
	s_or_b32 exec_lo, exec_lo, s26
	s_and_saveexec_b32 s25, s11
	s_cbranch_execnz .LBB6_1418
	s_branch .LBB6_1419
.LBB6_2449:                             ;   in Loop: Header=BB6_142 Depth=2
	s_mov_b32 s11, -1
	s_mov_b32 s27, exec_lo
                                        ; implicit-def: $sgpr25
	v_cmpx_eq_u16_e32 0x80, v56
; %bb.2450:                             ;   in Loop: Header=BB6_142 Depth=2
	s_mov_b32 s25, 0x7f800001
	s_xor_b32 s11, exec_lo, -1
; %bb.2451:                             ;   in Loop: Header=BB6_142 Depth=2
	s_or_b32 exec_lo, exec_lo, s27
	s_delay_alu instid0(SALU_CYCLE_1)
	s_and_b32 s11, s11, exec_lo
	s_or_saveexec_b32 s26, s26
	v_mov_b32_e32 v74, s25
	s_xor_b32 exec_lo, exec_lo, s26
	s_cbranch_execz .LBB6_1421
.LBB6_2452:                             ;   in Loop: Header=BB6_142 Depth=2
	v_cmp_ne_u16_e32 vcc_lo, 0, v56
	v_mov_b32_e32 v74, 0
	s_and_not1_b32 s11, s11, exec_lo
	s_and_b32 s25, vcc_lo, exec_lo
	s_delay_alu instid0(SALU_CYCLE_1)
	s_or_b32 s11, s11, s25
	s_or_b32 exec_lo, exec_lo, s26
	s_and_saveexec_b32 s25, s11
	s_cbranch_execnz .LBB6_1422
	s_branch .LBB6_1423
.LBB6_2453:                             ;   in Loop: Header=BB6_142 Depth=2
	s_mov_b32 s11, -1
	s_mov_b32 s27, exec_lo
                                        ; implicit-def: $sgpr25
	v_cmpx_eq_u16_e32 0x80, v59
; %bb.2454:                             ;   in Loop: Header=BB6_142 Depth=2
	s_mov_b32 s25, 0x7f800001
	s_xor_b32 s11, exec_lo, -1
; %bb.2455:                             ;   in Loop: Header=BB6_142 Depth=2
	s_or_b32 exec_lo, exec_lo, s27
	s_delay_alu instid0(SALU_CYCLE_1)
	s_and_b32 s11, s11, exec_lo
                                        ; implicit-def: $vgpr59
	s_or_saveexec_b32 s26, s26
	v_mov_b32_e32 v56, s25
	s_xor_b32 exec_lo, exec_lo, s26
	s_cbranch_execz .LBB6_1433
.LBB6_2456:                             ;   in Loop: Header=BB6_142 Depth=2
	v_cmp_ne_u16_e32 vcc_lo, 0, v59
	v_mov_b32_e32 v56, 0
	s_and_not1_b32 s11, s11, exec_lo
	s_and_b32 s25, vcc_lo, exec_lo
	s_delay_alu instid0(SALU_CYCLE_1)
	s_or_b32 s11, s11, s25
	s_or_b32 exec_lo, exec_lo, s26
	s_and_saveexec_b32 s25, s11
	s_cbranch_execnz .LBB6_1434
	s_branch .LBB6_1435
.LBB6_2457:                             ;   in Loop: Header=BB6_142 Depth=2
	s_mov_b32 s11, -1
	s_mov_b32 s27, exec_lo
                                        ; implicit-def: $sgpr25
	v_cmpx_eq_u16_e32 0x80, v59
; %bb.2458:                             ;   in Loop: Header=BB6_142 Depth=2
	s_mov_b32 s25, 0x7f800001
	s_xor_b32 s11, exec_lo, -1
; %bb.2459:                             ;   in Loop: Header=BB6_142 Depth=2
	s_or_b32 exec_lo, exec_lo, s27
	s_delay_alu instid0(SALU_CYCLE_1)
	s_and_b32 s11, s11, exec_lo
                                        ; implicit-def: $vgpr59
	s_or_saveexec_b32 s26, s26
	v_mov_b32_e32 v43, s25
	s_xor_b32 exec_lo, exec_lo, s26
	s_cbranch_execz .LBB6_1437
.LBB6_2460:                             ;   in Loop: Header=BB6_142 Depth=2
	v_cmp_ne_u16_e32 vcc_lo, 0, v59
	v_mov_b32_e32 v43, 0
	s_and_not1_b32 s11, s11, exec_lo
	s_and_b32 s25, vcc_lo, exec_lo
	s_delay_alu instid0(SALU_CYCLE_1)
	s_or_b32 s11, s11, s25
	s_or_b32 exec_lo, exec_lo, s26
	s_and_saveexec_b32 s25, s11
	s_cbranch_execnz .LBB6_1438
	s_branch .LBB6_1439
.LBB6_2461:                             ;   in Loop: Header=BB6_142 Depth=2
	s_mov_b32 s11, -1
	s_mov_b32 s27, exec_lo
                                        ; implicit-def: $sgpr25
	v_cmpx_eq_u16_e32 0x80, v59
; %bb.2462:                             ;   in Loop: Header=BB6_142 Depth=2
	s_mov_b32 s25, 0x7f800001
	s_xor_b32 s11, exec_lo, -1
; %bb.2463:                             ;   in Loop: Header=BB6_142 Depth=2
	s_or_b32 exec_lo, exec_lo, s27
	s_delay_alu instid0(SALU_CYCLE_1)
	s_and_b32 s11, s11, exec_lo
                                        ; implicit-def: $vgpr59
	s_or_saveexec_b32 s26, s26
	v_mov_b32_e32 v56, s25
	s_xor_b32 exec_lo, exec_lo, s26
	s_cbranch_execz .LBB6_1449
.LBB6_2464:                             ;   in Loop: Header=BB6_142 Depth=2
	v_cmp_ne_u16_e32 vcc_lo, 0, v59
	v_mov_b32_e32 v56, 0
	s_and_not1_b32 s11, s11, exec_lo
	s_and_b32 s25, vcc_lo, exec_lo
	s_delay_alu instid0(SALU_CYCLE_1)
	s_or_b32 s11, s11, s25
	s_or_b32 exec_lo, exec_lo, s26
	s_and_saveexec_b32 s25, s11
	s_cbranch_execnz .LBB6_1450
	s_branch .LBB6_1451
.LBB6_2465:                             ;   in Loop: Header=BB6_142 Depth=2
	s_mov_b32 s11, -1
	s_mov_b32 s27, exec_lo
                                        ; implicit-def: $sgpr25
	v_cmpx_eq_u16_e32 0x80, v41
; %bb.2466:                             ;   in Loop: Header=BB6_142 Depth=2
	s_mov_b32 s25, 0x7f800001
	s_xor_b32 s11, exec_lo, -1
; %bb.2467:                             ;   in Loop: Header=BB6_142 Depth=2
	s_or_b32 exec_lo, exec_lo, s27
	s_delay_alu instid0(SALU_CYCLE_1)
	s_and_b32 s11, s11, exec_lo
	s_or_saveexec_b32 s26, s26
	v_mov_b32_e32 v59, s25
	s_xor_b32 exec_lo, exec_lo, s26
	s_cbranch_execz .LBB6_1453
.LBB6_2468:                             ;   in Loop: Header=BB6_142 Depth=2
	v_cmp_ne_u16_e32 vcc_lo, 0, v41
	v_mov_b32_e32 v59, 0
	s_and_not1_b32 s11, s11, exec_lo
	s_and_b32 s25, vcc_lo, exec_lo
	s_delay_alu instid0(SALU_CYCLE_1)
	s_or_b32 s11, s11, s25
	s_or_b32 exec_lo, exec_lo, s26
	s_and_saveexec_b32 s25, s11
	s_cbranch_execnz .LBB6_1454
	s_branch .LBB6_1455
.LBB6_2469:                             ;   in Loop: Header=BB6_142 Depth=2
	s_mov_b32 s11, -1
	s_mov_b32 s27, exec_lo
                                        ; implicit-def: $sgpr25
	v_cmpx_eq_u16_e32 0x80, v59
; %bb.2470:                             ;   in Loop: Header=BB6_142 Depth=2
	s_mov_b32 s25, 0x7f800001
	s_xor_b32 s11, exec_lo, -1
; %bb.2471:                             ;   in Loop: Header=BB6_142 Depth=2
	s_or_b32 exec_lo, exec_lo, s27
	s_delay_alu instid0(SALU_CYCLE_1)
	s_and_b32 s11, s11, exec_lo
                                        ; implicit-def: $vgpr59
	s_or_saveexec_b32 s26, s26
	v_mov_b32_e32 v56, s25
	s_xor_b32 exec_lo, exec_lo, s26
	s_cbranch_execz .LBB6_1465
.LBB6_2472:                             ;   in Loop: Header=BB6_142 Depth=2
	v_cmp_ne_u16_e32 vcc_lo, 0, v59
	v_mov_b32_e32 v56, 0
	s_and_not1_b32 s11, s11, exec_lo
	s_and_b32 s25, vcc_lo, exec_lo
	s_delay_alu instid0(SALU_CYCLE_1)
	s_or_b32 s11, s11, s25
	s_or_b32 exec_lo, exec_lo, s26
	s_and_saveexec_b32 s25, s11
	s_cbranch_execnz .LBB6_1466
	s_branch .LBB6_1467
.LBB6_2473:                             ;   in Loop: Header=BB6_142 Depth=2
	s_mov_b32 s11, -1
	s_mov_b32 s27, exec_lo
                                        ; implicit-def: $sgpr25
	v_cmpx_eq_u16_e32 0x80, v74
; %bb.2474:                             ;   in Loop: Header=BB6_142 Depth=2
	s_mov_b32 s25, 0x7f800001
	s_xor_b32 s11, exec_lo, -1
; %bb.2475:                             ;   in Loop: Header=BB6_142 Depth=2
	s_or_b32 exec_lo, exec_lo, s27
	s_delay_alu instid0(SALU_CYCLE_1)
	s_and_b32 s11, s11, exec_lo
                                        ; implicit-def: $vgpr74
	s_or_saveexec_b32 s26, s26
	v_mov_b32_e32 v59, s25
	s_xor_b32 exec_lo, exec_lo, s26
	s_cbranch_execz .LBB6_1469
.LBB6_2476:                             ;   in Loop: Header=BB6_142 Depth=2
	v_cmp_ne_u16_e32 vcc_lo, 0, v74
	v_mov_b32_e32 v59, 0
	s_and_not1_b32 s11, s11, exec_lo
	s_and_b32 s25, vcc_lo, exec_lo
	s_delay_alu instid0(SALU_CYCLE_1)
	s_or_b32 s11, s11, s25
	s_or_b32 exec_lo, exec_lo, s26
	s_and_saveexec_b32 s25, s11
	s_cbranch_execnz .LBB6_1470
	s_branch .LBB6_1471
.LBB6_2477:                             ;   in Loop: Header=BB6_142 Depth=2
	s_mov_b32 s11, -1
	s_mov_b32 s27, exec_lo
                                        ; implicit-def: $sgpr25
	v_cmpx_eq_u16_e32 0x80, v59
; %bb.2478:                             ;   in Loop: Header=BB6_142 Depth=2
	s_mov_b32 s25, 0x7f800001
	s_xor_b32 s11, exec_lo, -1
; %bb.2479:                             ;   in Loop: Header=BB6_142 Depth=2
	s_or_b32 exec_lo, exec_lo, s27
	s_delay_alu instid0(SALU_CYCLE_1)
	s_and_b32 s11, s11, exec_lo
	s_or_saveexec_b32 s26, s26
	v_mov_b32_e32 v56, s25
	s_xor_b32 exec_lo, exec_lo, s26
	s_cbranch_execz .LBB6_1481
.LBB6_2480:                             ;   in Loop: Header=BB6_142 Depth=2
	v_cmp_ne_u16_e32 vcc_lo, 0, v59
	v_mov_b32_e32 v56, 0
	s_and_not1_b32 s11, s11, exec_lo
	s_and_b32 s25, vcc_lo, exec_lo
	s_delay_alu instid0(SALU_CYCLE_1)
	s_or_b32 s11, s11, s25
	s_or_b32 exec_lo, exec_lo, s26
	s_and_saveexec_b32 s25, s11
	s_cbranch_execnz .LBB6_1482
	s_branch .LBB6_1483
.LBB6_2481:                             ;   in Loop: Header=BB6_142 Depth=2
	s_mov_b32 s11, -1
	s_mov_b32 s27, exec_lo
                                        ; implicit-def: $sgpr25
	v_cmpx_eq_u16_e64 0x80, v181
; %bb.2482:                             ;   in Loop: Header=BB6_142 Depth=2
	s_mov_b32 s25, 0x7f800001
	s_xor_b32 s11, exec_lo, -1
; %bb.2483:                             ;   in Loop: Header=BB6_142 Depth=2
	s_or_b32 exec_lo, exec_lo, s27
	s_delay_alu instid0(SALU_CYCLE_1)
	s_and_b32 s11, s11, exec_lo
	s_or_saveexec_b32 s26, s26
	v_mov_b32_e32 v59, s25
	s_xor_b32 exec_lo, exec_lo, s26
	s_cbranch_execz .LBB6_1485
.LBB6_2484:                             ;   in Loop: Header=BB6_142 Depth=2
	v_cmp_ne_u16_e64 vcc_lo, 0, v181
	v_mov_b32_e32 v59, 0
	s_and_not1_b32 s11, s11, exec_lo
	s_delay_alu instid0(VALU_DEP_2) | instskip(NEXT) | instid1(SALU_CYCLE_1)
	s_and_b32 s25, vcc_lo, exec_lo
	s_or_b32 s11, s11, s25
	s_or_b32 exec_lo, exec_lo, s26
	s_and_saveexec_b32 s25, s11
	s_cbranch_execnz .LBB6_1486
	s_branch .LBB6_1487
.LBB6_2485:                             ;   in Loop: Header=BB6_142 Depth=2
	s_mov_b32 s11, -1
	s_mov_b32 s27, exec_lo
                                        ; implicit-def: $sgpr25
	v_cmpx_eq_u16_e64 0x80, v181
; %bb.2486:                             ;   in Loop: Header=BB6_142 Depth=2
	s_mov_b32 s25, 0x7f800001
	s_xor_b32 s11, exec_lo, -1
; %bb.2487:                             ;   in Loop: Header=BB6_142 Depth=2
	s_or_b32 exec_lo, exec_lo, s27
	s_delay_alu instid0(SALU_CYCLE_1)
	s_and_b32 s11, s11, exec_lo
                                        ; implicit-def: $vgpr181
	s_or_saveexec_b32 s26, s26
	v_mov_b32_e32 v180, s25
	s_xor_b32 exec_lo, exec_lo, s26
	s_cbranch_execz .LBB6_1497
.LBB6_2488:                             ;   in Loop: Header=BB6_142 Depth=2
	v_cmp_ne_u16_e64 vcc_lo, 0, v181
	v_mov_b32_e32 v180, 0
	s_and_not1_b32 s11, s11, exec_lo
	s_delay_alu instid0(VALU_DEP_2) | instskip(NEXT) | instid1(SALU_CYCLE_1)
	s_and_b32 s25, vcc_lo, exec_lo
	s_or_b32 s11, s11, s25
	s_or_b32 exec_lo, exec_lo, s26
	s_and_saveexec_b32 s25, s11
	s_cbranch_execnz .LBB6_1498
	s_branch .LBB6_1499
.LBB6_2489:                             ;   in Loop: Header=BB6_142 Depth=2
	s_mov_b32 s11, -1
	s_mov_b32 s27, exec_lo
                                        ; implicit-def: $sgpr25
	v_cmpx_eq_u16_e32 0x80, v56
; %bb.2490:                             ;   in Loop: Header=BB6_142 Depth=2
	s_mov_b32 s25, 0x7f800001
	s_xor_b32 s11, exec_lo, -1
; %bb.2491:                             ;   in Loop: Header=BB6_142 Depth=2
	s_or_b32 exec_lo, exec_lo, s27
	s_delay_alu instid0(SALU_CYCLE_1)
	s_and_b32 s11, s11, exec_lo
                                        ; implicit-def: $vgpr56
	s_or_saveexec_b32 s26, s26
	v_mov_b32_e32 v181, s25
	s_xor_b32 exec_lo, exec_lo, s26
	s_cbranch_execz .LBB6_1501
.LBB6_2492:                             ;   in Loop: Header=BB6_142 Depth=2
	v_cmp_ne_u16_e32 vcc_lo, 0, v56
	v_mov_b32_e32 v181, 0
	s_and_not1_b32 s11, s11, exec_lo
	s_and_b32 s25, vcc_lo, exec_lo
	s_delay_alu instid0(SALU_CYCLE_1)
	s_or_b32 s11, s11, s25
	s_or_b32 exec_lo, exec_lo, s26
	s_and_saveexec_b32 s25, s11
	s_cbranch_execnz .LBB6_1502
	s_branch .LBB6_1503
.LBB6_2493:                             ;   in Loop: Header=BB6_142 Depth=2
	s_mov_b32 s11, -1
	s_mov_b32 s27, exec_lo
                                        ; implicit-def: $sgpr25
	v_cmpx_eq_u16_e32 0x80, v56
; %bb.2494:                             ;   in Loop: Header=BB6_142 Depth=2
	s_mov_b32 s25, 0x7f800001
	s_xor_b32 s11, exec_lo, -1
; %bb.2495:                             ;   in Loop: Header=BB6_142 Depth=2
	s_or_b32 exec_lo, exec_lo, s27
	s_delay_alu instid0(SALU_CYCLE_1)
	s_and_b32 s11, s11, exec_lo
	s_or_saveexec_b32 s26, s26
	v_mov_b32_e32 v181, s25
	s_xor_b32 exec_lo, exec_lo, s26
	s_cbranch_execz .LBB6_1513
.LBB6_2496:                             ;   in Loop: Header=BB6_142 Depth=2
	v_cmp_ne_u16_e32 vcc_lo, 0, v56
	v_mov_b32_e32 v181, 0
	s_and_not1_b32 s11, s11, exec_lo
	s_and_b32 s25, vcc_lo, exec_lo
	s_delay_alu instid0(SALU_CYCLE_1)
	s_or_b32 s11, s11, s25
	s_or_b32 exec_lo, exec_lo, s26
	s_and_saveexec_b32 s25, s11
	s_cbranch_execnz .LBB6_1514
	s_branch .LBB6_1515
.LBB6_2497:                             ;   in Loop: Header=BB6_142 Depth=2
	s_mov_b32 s11, -1
	s_mov_b32 s27, exec_lo
                                        ; implicit-def: $sgpr25
	v_cmpx_eq_u16_e32 0x80, v56
; %bb.2498:                             ;   in Loop: Header=BB6_142 Depth=2
	s_mov_b32 s25, 0x7f800001
	s_xor_b32 s11, exec_lo, -1
; %bb.2499:                             ;   in Loop: Header=BB6_142 Depth=2
	s_or_b32 exec_lo, exec_lo, s27
	s_delay_alu instid0(SALU_CYCLE_1)
	s_and_b32 s11, s11, exec_lo
	s_or_saveexec_b32 s26, s26
	v_mov_b32_e32 v59, s25
	s_xor_b32 exec_lo, exec_lo, s26
	s_cbranch_execz .LBB6_1517
.LBB6_2500:                             ;   in Loop: Header=BB6_142 Depth=2
	v_cmp_ne_u16_e32 vcc_lo, 0, v56
	v_mov_b32_e32 v59, 0
	s_and_not1_b32 s11, s11, exec_lo
	s_and_b32 s25, vcc_lo, exec_lo
	s_delay_alu instid0(SALU_CYCLE_1)
	s_or_b32 s11, s11, s25
	s_or_b32 exec_lo, exec_lo, s26
	s_and_saveexec_b32 s25, s11
	s_cbranch_execnz .LBB6_1518
	s_branch .LBB6_1519
.LBB6_2501:                             ;   in Loop: Header=BB6_142 Depth=2
	s_mov_b32 s11, -1
	s_mov_b32 s27, exec_lo
                                        ; implicit-def: $sgpr25
	v_cmpx_eq_u16_e32 0x80, v56
; %bb.2502:                             ;   in Loop: Header=BB6_142 Depth=2
	s_mov_b32 s25, 0x7f800001
	s_xor_b32 s11, exec_lo, -1
; %bb.2503:                             ;   in Loop: Header=BB6_142 Depth=2
	s_or_b32 exec_lo, exec_lo, s27
	s_delay_alu instid0(SALU_CYCLE_1)
	s_and_b32 s11, s11, exec_lo
                                        ; implicit-def: $vgpr56
	s_or_saveexec_b32 s26, s26
	v_mov_b32_e32 v178, s25
	s_xor_b32 exec_lo, exec_lo, s26
	s_cbranch_execz .LBB6_1529
.LBB6_2504:                             ;   in Loop: Header=BB6_142 Depth=2
	v_cmp_ne_u16_e32 vcc_lo, 0, v56
	v_mov_b32_e32 v178, 0
	s_and_not1_b32 s11, s11, exec_lo
	s_and_b32 s25, vcc_lo, exec_lo
	s_delay_alu instid0(SALU_CYCLE_1)
	s_or_b32 s11, s11, s25
	s_or_b32 exec_lo, exec_lo, s26
	v_lshl_or_b32 v182, v182, 16, v42
	s_and_saveexec_b32 s25, s11
	s_cbranch_execnz .LBB6_1530
	s_branch .LBB6_1531
.LBB6_2505:                             ;   in Loop: Header=BB6_142 Depth=2
	s_mov_b32 s11, -1
	s_mov_b32 s27, exec_lo
                                        ; implicit-def: $sgpr25
	v_cmpx_eq_u16_e32 0x80, v59
; %bb.2506:                             ;   in Loop: Header=BB6_142 Depth=2
	s_mov_b32 s25, 0x7f800001
	s_xor_b32 s11, exec_lo, -1
; %bb.2507:                             ;   in Loop: Header=BB6_142 Depth=2
	s_or_b32 exec_lo, exec_lo, s27
	s_delay_alu instid0(SALU_CYCLE_1)
	s_and_b32 s11, s11, exec_lo
                                        ; implicit-def: $vgpr59
	s_or_saveexec_b32 s26, s26
	v_mov_b32_e32 v56, s25
	s_xor_b32 exec_lo, exec_lo, s26
	s_cbranch_execz .LBB6_1533
.LBB6_2508:                             ;   in Loop: Header=BB6_142 Depth=2
	v_cmp_ne_u16_e32 vcc_lo, 0, v59
	v_mov_b32_e32 v56, 0
	s_and_not1_b32 s11, s11, exec_lo
	s_and_b32 s25, vcc_lo, exec_lo
	s_delay_alu instid0(SALU_CYCLE_1)
	s_or_b32 s11, s11, s25
	s_or_b32 exec_lo, exec_lo, s26
	s_and_saveexec_b32 s25, s11
	s_cbranch_execnz .LBB6_1534
	s_branch .LBB6_1535
.LBB6_2509:                             ;   in Loop: Header=BB6_142 Depth=2
	s_mov_b32 s11, -1
	s_mov_b32 s27, exec_lo
                                        ; implicit-def: $sgpr25
	v_cmpx_eq_u16_e32 0x80, v56
; %bb.2510:                             ;   in Loop: Header=BB6_142 Depth=2
	s_mov_b32 s25, 0x7f800001
	s_xor_b32 s11, exec_lo, -1
; %bb.2511:                             ;   in Loop: Header=BB6_142 Depth=2
	s_or_b32 exec_lo, exec_lo, s27
	s_delay_alu instid0(SALU_CYCLE_1)
	s_and_b32 s11, s11, exec_lo
	s_or_saveexec_b32 s26, s26
	v_mov_b32_e32 v42, s25
	s_xor_b32 exec_lo, exec_lo, s26
	s_cbranch_execz .LBB6_1545
.LBB6_2512:                             ;   in Loop: Header=BB6_142 Depth=2
	v_cmp_ne_u16_e32 vcc_lo, 0, v56
	v_mov_b32_e32 v42, 0
	s_and_not1_b32 s11, s11, exec_lo
	s_and_b32 s25, vcc_lo, exec_lo
	s_delay_alu instid0(SALU_CYCLE_1)
	s_or_b32 s11, s11, s25
	s_or_b32 exec_lo, exec_lo, s26
	s_and_saveexec_b32 s25, s11
	s_cbranch_execnz .LBB6_1546
	s_branch .LBB6_1547
.LBB6_2513:                             ;   in Loop: Header=BB6_142 Depth=2
	s_mov_b32 s11, -1
	s_mov_b32 s27, exec_lo
                                        ; implicit-def: $sgpr25
	v_cmpx_eq_u16_e64 0x80, v182
; %bb.2514:                             ;   in Loop: Header=BB6_142 Depth=2
	s_mov_b32 s25, 0x7f800001
	s_xor_b32 s11, exec_lo, -1
; %bb.2515:                             ;   in Loop: Header=BB6_142 Depth=2
	s_or_b32 exec_lo, exec_lo, s27
	s_delay_alu instid0(SALU_CYCLE_1)
	s_and_b32 s11, s11, exec_lo
	s_or_saveexec_b32 s26, s26
	v_mov_b32_e32 v56, s25
	s_xor_b32 exec_lo, exec_lo, s26
	s_cbranch_execz .LBB6_1549
.LBB6_2516:                             ;   in Loop: Header=BB6_142 Depth=2
	v_cmp_ne_u16_e64 vcc_lo, 0, v182
	v_mov_b32_e32 v56, 0
	s_and_not1_b32 s11, s11, exec_lo
	s_delay_alu instid0(VALU_DEP_2) | instskip(NEXT) | instid1(SALU_CYCLE_1)
	s_and_b32 s25, vcc_lo, exec_lo
	s_or_b32 s11, s11, s25
	s_or_b32 exec_lo, exec_lo, s26
	s_and_saveexec_b32 s25, s11
	s_cbranch_execnz .LBB6_1550
	s_branch .LBB6_1551
.LBB6_2517:                             ;   in Loop: Header=BB6_142 Depth=2
	s_mov_b32 s11, -1
	s_mov_b32 s27, exec_lo
                                        ; implicit-def: $sgpr25
	v_cmpx_eq_u16_e32 0x80, v42
; %bb.2518:                             ;   in Loop: Header=BB6_142 Depth=2
	s_mov_b32 s25, 0x7f800001
	s_xor_b32 s11, exec_lo, -1
; %bb.2519:                             ;   in Loop: Header=BB6_142 Depth=2
	s_or_b32 exec_lo, exec_lo, s27
	s_delay_alu instid0(SALU_CYCLE_1)
	s_and_b32 s11, s11, exec_lo
                                        ; implicit-def: $vgpr42
	s_or_saveexec_b32 s26, s26
	v_mov_b32_e32 v182, s25
	s_xor_b32 exec_lo, exec_lo, s26
	s_cbranch_execz .LBB6_1561
.LBB6_2520:                             ;   in Loop: Header=BB6_142 Depth=2
	v_cmp_ne_u16_e32 vcc_lo, 0, v42
	v_mov_b32_e32 v182, 0
	s_and_not1_b32 s11, s11, exec_lo
	s_and_b32 s25, vcc_lo, exec_lo
	s_delay_alu instid0(SALU_CYCLE_1)
	s_or_b32 s11, s11, s25
	s_or_b32 exec_lo, exec_lo, s26
	s_and_saveexec_b32 s25, s11
	s_cbranch_execnz .LBB6_1562
	s_branch .LBB6_1563
.LBB6_2521:                             ;   in Loop: Header=BB6_142 Depth=2
	s_mov_b32 s11, -1
	s_mov_b32 s27, exec_lo
                                        ; implicit-def: $sgpr25
	v_cmpx_eq_u16_e32 0x80, v42
; %bb.2522:                             ;   in Loop: Header=BB6_142 Depth=2
	s_mov_b32 s25, 0x7f800001
	s_xor_b32 s11, exec_lo, -1
; %bb.2523:                             ;   in Loop: Header=BB6_142 Depth=2
	s_or_b32 exec_lo, exec_lo, s27
	s_delay_alu instid0(SALU_CYCLE_1)
	s_and_b32 s11, s11, exec_lo
                                        ; implicit-def: $vgpr42
	s_or_saveexec_b32 s26, s26
	v_mov_b32_e32 v177, s25
	s_xor_b32 exec_lo, exec_lo, s26
	s_cbranch_execz .LBB6_1565
.LBB6_2524:                             ;   in Loop: Header=BB6_142 Depth=2
	v_cmp_ne_u16_e32 vcc_lo, 0, v42
	v_mov_b32_e32 v177, 0
	s_and_not1_b32 s11, s11, exec_lo
	s_and_b32 s25, vcc_lo, exec_lo
	s_delay_alu instid0(SALU_CYCLE_1)
	s_or_b32 s11, s11, s25
	s_or_b32 exec_lo, exec_lo, s26
	s_and_saveexec_b32 s25, s11
	s_cbranch_execnz .LBB6_1566
	s_branch .LBB6_1567
.LBB6_2525:                             ;   in Loop: Header=BB6_142 Depth=2
	s_mov_b32 s11, -1
	s_mov_b32 s27, exec_lo
                                        ; implicit-def: $sgpr25
	v_cmpx_eq_u16_e32 0x80, v42
; %bb.2526:                             ;   in Loop: Header=BB6_142 Depth=2
	s_mov_b32 s25, 0x7f800001
	s_xor_b32 s11, exec_lo, -1
; %bb.2527:                             ;   in Loop: Header=BB6_142 Depth=2
	s_or_b32 exec_lo, exec_lo, s27
	s_delay_alu instid0(SALU_CYCLE_1)
	s_and_b32 s11, s11, exec_lo
                                        ; implicit-def: $vgpr42
	s_or_saveexec_b32 s26, s26
	v_mov_b32_e32 v182, s25
	s_xor_b32 exec_lo, exec_lo, s26
	s_cbranch_execz .LBB6_1577
.LBB6_2528:                             ;   in Loop: Header=BB6_142 Depth=2
	v_cmp_ne_u16_e32 vcc_lo, 0, v42
	v_mov_b32_e32 v182, 0
	s_and_not1_b32 s11, s11, exec_lo
	s_and_b32 s25, vcc_lo, exec_lo
	s_delay_alu instid0(SALU_CYCLE_1)
	s_or_b32 s11, s11, s25
	s_or_b32 exec_lo, exec_lo, s26
	s_and_saveexec_b32 s25, s11
	s_cbranch_execnz .LBB6_1578
	s_branch .LBB6_1579
.LBB6_2529:                             ;   in Loop: Header=BB6_142 Depth=2
	s_mov_b32 s11, -1
	s_mov_b32 s27, exec_lo
                                        ; implicit-def: $sgpr25
	v_cmpx_eq_u16_e64 0x80, v167
; %bb.2530:                             ;   in Loop: Header=BB6_142 Depth=2
	s_mov_b32 s25, 0x7f800001
	s_xor_b32 s11, exec_lo, -1
; %bb.2531:                             ;   in Loop: Header=BB6_142 Depth=2
	s_or_b32 exec_lo, exec_lo, s27
	s_delay_alu instid0(SALU_CYCLE_1)
	s_and_b32 s11, s11, exec_lo
	s_or_saveexec_b32 s26, s26
	v_mov_b32_e32 v42, s25
	s_xor_b32 exec_lo, exec_lo, s26
	s_cbranch_execz .LBB6_1581
.LBB6_2532:                             ;   in Loop: Header=BB6_142 Depth=2
	v_cmp_ne_u16_e64 vcc_lo, 0, v167
	v_mov_b32_e32 v42, 0
	s_and_not1_b32 s11, s11, exec_lo
	s_delay_alu instid0(VALU_DEP_2) | instskip(NEXT) | instid1(SALU_CYCLE_1)
	s_and_b32 s25, vcc_lo, exec_lo
	s_or_b32 s11, s11, s25
	s_or_b32 exec_lo, exec_lo, s26
	s_and_saveexec_b32 s25, s11
	s_cbranch_execnz .LBB6_1582
	s_branch .LBB6_1583
.LBB6_2533:                             ;   in Loop: Header=BB6_142 Depth=2
	s_mov_b32 s11, -1
	s_mov_b32 s27, exec_lo
                                        ; implicit-def: $sgpr25
	v_cmpx_eq_u16_e32 0x80, v42
; %bb.2534:                             ;   in Loop: Header=BB6_142 Depth=2
	s_mov_b32 s25, 0x7f800001
	s_xor_b32 s11, exec_lo, -1
; %bb.2535:                             ;   in Loop: Header=BB6_142 Depth=2
	s_or_b32 exec_lo, exec_lo, s27
	s_delay_alu instid0(SALU_CYCLE_1)
	s_and_b32 s11, s11, exec_lo
                                        ; implicit-def: $vgpr42
	s_or_saveexec_b32 s26, s26
	v_mov_b32_e32 v182, s25
	s_xor_b32 exec_lo, exec_lo, s26
	s_cbranch_execz .LBB6_1593
.LBB6_2536:                             ;   in Loop: Header=BB6_142 Depth=2
	v_cmp_ne_u16_e32 vcc_lo, 0, v42
	v_mov_b32_e32 v182, 0
	s_and_not1_b32 s11, s11, exec_lo
	s_and_b32 s25, vcc_lo, exec_lo
	s_delay_alu instid0(SALU_CYCLE_1)
	s_or_b32 s11, s11, s25
	s_or_b32 exec_lo, exec_lo, s26
	s_and_saveexec_b32 s25, s11
	s_cbranch_execnz .LBB6_1594
	s_branch .LBB6_1595
.LBB6_2537:                             ;   in Loop: Header=BB6_142 Depth=2
	s_mov_b32 s11, -1
	s_mov_b32 s27, exec_lo
                                        ; implicit-def: $sgpr25
	v_cmpx_eq_u16_e32 0x80, v56
; %bb.2538:                             ;   in Loop: Header=BB6_142 Depth=2
	s_mov_b32 s25, 0x7f800001
	s_xor_b32 s11, exec_lo, -1
; %bb.2539:                             ;   in Loop: Header=BB6_142 Depth=2
	s_or_b32 exec_lo, exec_lo, s27
	s_delay_alu instid0(SALU_CYCLE_1)
	s_and_b32 s11, s11, exec_lo
                                        ; implicit-def: $vgpr56
	s_or_saveexec_b32 s26, s26
	v_mov_b32_e32 v42, s25
	s_xor_b32 exec_lo, exec_lo, s26
	s_cbranch_execz .LBB6_1597
.LBB6_2540:                             ;   in Loop: Header=BB6_142 Depth=2
	v_cmp_ne_u16_e32 vcc_lo, 0, v56
	v_mov_b32_e32 v42, 0
	s_and_not1_b32 s11, s11, exec_lo
	s_and_b32 s25, vcc_lo, exec_lo
	s_delay_alu instid0(SALU_CYCLE_1)
	s_or_b32 s11, s11, s25
	s_or_b32 exec_lo, exec_lo, s26
	s_and_saveexec_b32 s25, s11
	s_cbranch_execnz .LBB6_1598
	s_branch .LBB6_1599
.LBB6_2541:                             ;   in Loop: Header=BB6_142 Depth=2
	s_mov_b32 s11, -1
	s_mov_b32 s27, exec_lo
                                        ; implicit-def: $sgpr25
	v_cmpx_eq_u16_e32 0x80, v42
; %bb.2542:                             ;   in Loop: Header=BB6_142 Depth=2
	s_mov_b32 s25, 0x7f800001
	s_xor_b32 s11, exec_lo, -1
; %bb.2543:                             ;   in Loop: Header=BB6_142 Depth=2
	s_or_b32 exec_lo, exec_lo, s27
	s_delay_alu instid0(SALU_CYCLE_1)
	s_and_b32 s11, s11, exec_lo
	s_or_saveexec_b32 s26, s26
	v_mov_b32_e32 v182, s25
	s_xor_b32 exec_lo, exec_lo, s26
	s_cbranch_execz .LBB6_1609
.LBB6_2544:                             ;   in Loop: Header=BB6_142 Depth=2
	v_cmp_ne_u16_e32 vcc_lo, 0, v42
	v_mov_b32_e32 v182, 0
	s_and_not1_b32 s11, s11, exec_lo
	s_and_b32 s25, vcc_lo, exec_lo
	s_delay_alu instid0(SALU_CYCLE_1)
	s_or_b32 s11, s11, s25
	s_or_b32 exec_lo, exec_lo, s26
	s_and_saveexec_b32 s25, s11
	s_cbranch_execnz .LBB6_1610
	s_branch .LBB6_1611
.LBB6_2545:                             ;   in Loop: Header=BB6_142 Depth=2
	s_mov_b32 s11, -1
	s_mov_b32 s27, exec_lo
                                        ; implicit-def: $sgpr25
	v_cmpx_eq_u16_e64 0x80, v163
; %bb.2546:                             ;   in Loop: Header=BB6_142 Depth=2
	s_mov_b32 s25, 0x7f800001
	s_xor_b32 s11, exec_lo, -1
; %bb.2547:                             ;   in Loop: Header=BB6_142 Depth=2
	s_or_b32 exec_lo, exec_lo, s27
	s_delay_alu instid0(SALU_CYCLE_1)
	s_and_b32 s11, s11, exec_lo
	s_or_saveexec_b32 s26, s26
	v_mov_b32_e32 v42, s25
	s_xor_b32 exec_lo, exec_lo, s26
	s_cbranch_execz .LBB6_1613
.LBB6_2548:                             ;   in Loop: Header=BB6_142 Depth=2
	v_cmp_ne_u16_e64 vcc_lo, 0, v163
	v_mov_b32_e32 v42, 0
	s_and_not1_b32 s11, s11, exec_lo
	s_delay_alu instid0(VALU_DEP_2) | instskip(NEXT) | instid1(SALU_CYCLE_1)
	s_and_b32 s25, vcc_lo, exec_lo
	s_or_b32 s11, s11, s25
	s_or_b32 exec_lo, exec_lo, s26
	s_and_saveexec_b32 s25, s11
	s_cbranch_execnz .LBB6_1614
	s_branch .LBB6_1615
.LBB6_2549:                             ;   in Loop: Header=BB6_142 Depth=2
	s_mov_b32 s11, -1
	s_mov_b32 s27, exec_lo
                                        ; implicit-def: $sgpr25
	v_cmpx_eq_u16_e64 0x80, v163
; %bb.2550:                             ;   in Loop: Header=BB6_142 Depth=2
	s_mov_b32 s25, 0x7f800001
	s_xor_b32 s11, exec_lo, -1
; %bb.2551:                             ;   in Loop: Header=BB6_142 Depth=2
	s_or_b32 exec_lo, exec_lo, s27
	s_delay_alu instid0(SALU_CYCLE_1)
	s_and_b32 s11, s11, exec_lo
                                        ; implicit-def: $vgpr163
	s_or_saveexec_b32 s26, s26
	v_mov_b32_e32 v162, s25
	s_xor_b32 exec_lo, exec_lo, s26
	s_cbranch_execz .LBB6_1625
.LBB6_2552:                             ;   in Loop: Header=BB6_142 Depth=2
	v_cmp_ne_u16_e64 vcc_lo, 0, v163
	v_mov_b32_e32 v162, 0
	s_and_not1_b32 s11, s11, exec_lo
	s_delay_alu instid0(VALU_DEP_2) | instskip(NEXT) | instid1(SALU_CYCLE_1)
	s_and_b32 s25, vcc_lo, exec_lo
	s_or_b32 s11, s11, s25
	s_or_b32 exec_lo, exec_lo, s26
	s_and_saveexec_b32 s25, s11
	s_cbranch_execnz .LBB6_1626
	s_branch .LBB6_1627
.LBB6_2553:                             ;   in Loop: Header=BB6_142 Depth=2
	s_mov_b32 s11, -1
	s_mov_b32 s27, exec_lo
                                        ; implicit-def: $sgpr25
	v_cmpx_eq_u16_e64 0x80, v182
; %bb.2554:                             ;   in Loop: Header=BB6_142 Depth=2
	s_mov_b32 s25, 0x7f800001
	s_xor_b32 s11, exec_lo, -1
; %bb.2555:                             ;   in Loop: Header=BB6_142 Depth=2
	s_or_b32 exec_lo, exec_lo, s27
	s_delay_alu instid0(SALU_CYCLE_1)
	s_and_b32 s11, s11, exec_lo
                                        ; implicit-def: $vgpr182
	s_or_saveexec_b32 s26, s26
	v_mov_b32_e32 v163, s25
	s_xor_b32 exec_lo, exec_lo, s26
	s_cbranch_execz .LBB6_1629
.LBB6_2556:                             ;   in Loop: Header=BB6_142 Depth=2
	v_cmp_ne_u16_e64 vcc_lo, 0, v182
	v_mov_b32_e32 v163, 0
	s_and_not1_b32 s11, s11, exec_lo
	s_delay_alu instid0(VALU_DEP_2) | instskip(NEXT) | instid1(SALU_CYCLE_1)
	s_and_b32 s25, vcc_lo, exec_lo
	s_or_b32 s11, s11, s25
	s_or_b32 exec_lo, exec_lo, s26
	s_and_saveexec_b32 s25, s11
	s_cbranch_execnz .LBB6_1630
	s_branch .LBB6_1631
.LBB6_2557:                             ;   in Loop: Header=BB6_142 Depth=2
	s_mov_b32 s11, -1
	s_mov_b32 s27, exec_lo
                                        ; implicit-def: $sgpr25
	v_cmpx_eq_u16_e64 0x80, v182
; %bb.2558:                             ;   in Loop: Header=BB6_142 Depth=2
	s_mov_b32 s25, 0x7f800001
	s_xor_b32 s11, exec_lo, -1
; %bb.2559:                             ;   in Loop: Header=BB6_142 Depth=2
	s_or_b32 exec_lo, exec_lo, s27
	s_delay_alu instid0(SALU_CYCLE_1)
	s_and_b32 s11, s11, exec_lo
	s_or_saveexec_b32 s26, s26
	v_mov_b32_e32 v163, s25
	s_xor_b32 exec_lo, exec_lo, s26
	s_cbranch_execz .LBB6_1641
.LBB6_2560:                             ;   in Loop: Header=BB6_142 Depth=2
	v_cmp_ne_u16_e64 vcc_lo, 0, v182
	v_mov_b32_e32 v163, 0
	s_and_not1_b32 s11, s11, exec_lo
	s_delay_alu instid0(VALU_DEP_2) | instskip(NEXT) | instid1(SALU_CYCLE_1)
	s_and_b32 s25, vcc_lo, exec_lo
	s_or_b32 s11, s11, s25
	s_or_b32 exec_lo, exec_lo, s26
	s_and_saveexec_b32 s25, s11
	s_cbranch_execnz .LBB6_1642
	s_branch .LBB6_1643
.LBB6_2561:                             ;   in Loop: Header=BB6_142 Depth=2
	s_mov_b32 s11, -1
	s_mov_b32 s27, exec_lo
                                        ; implicit-def: $sgpr25
	v_cmpx_eq_u16_e64 0x80, v182
; %bb.2562:                             ;   in Loop: Header=BB6_142 Depth=2
	s_mov_b32 s25, 0x7f800001
	s_xor_b32 s11, exec_lo, -1
; %bb.2563:                             ;   in Loop: Header=BB6_142 Depth=2
	s_or_b32 exec_lo, exec_lo, s27
	s_delay_alu instid0(SALU_CYCLE_1)
	s_and_b32 s11, s11, exec_lo
	s_or_saveexec_b32 s26, s26
	v_mov_b32_e32 v42, s25
	s_xor_b32 exec_lo, exec_lo, s26
	s_cbranch_execz .LBB6_1645
.LBB6_2564:                             ;   in Loop: Header=BB6_142 Depth=2
	v_cmp_ne_u16_e64 vcc_lo, 0, v182
	v_mov_b32_e32 v42, 0
	s_and_not1_b32 s11, s11, exec_lo
	s_delay_alu instid0(VALU_DEP_2) | instskip(NEXT) | instid1(SALU_CYCLE_1)
	s_and_b32 s25, vcc_lo, exec_lo
	s_or_b32 s11, s11, s25
	s_or_b32 exec_lo, exec_lo, s26
	s_and_saveexec_b32 s25, s11
	s_cbranch_execnz .LBB6_1646
	s_branch .LBB6_1647
.LBB6_2565:                             ;   in Loop: Header=BB6_142 Depth=2
	s_mov_b32 s11, -1
	s_mov_b32 s27, exec_lo
                                        ; implicit-def: $sgpr25
	v_cmpx_eq_u16_e64 0x80, v182
; %bb.2566:                             ;   in Loop: Header=BB6_142 Depth=2
	s_mov_b32 s25, 0x7f800001
	s_xor_b32 s11, exec_lo, -1
; %bb.2567:                             ;   in Loop: Header=BB6_142 Depth=2
	s_or_b32 exec_lo, exec_lo, s27
	s_delay_alu instid0(SALU_CYCLE_1)
	s_and_b32 s11, s11, exec_lo
                                        ; implicit-def: $vgpr182
	s_or_saveexec_b32 s26, s26
	v_mov_b32_e32 v161, s25
	s_xor_b32 exec_lo, exec_lo, s26
	s_cbranch_execz .LBB6_1657
.LBB6_2568:                             ;   in Loop: Header=BB6_142 Depth=2
	v_cmp_ne_u16_e64 vcc_lo, 0, v182
	v_mov_b32_e32 v161, 0
	s_and_not1_b32 s11, s11, exec_lo
	s_delay_alu instid0(VALU_DEP_2) | instskip(NEXT) | instid1(SALU_CYCLE_1)
	s_and_b32 s25, vcc_lo, exec_lo
	s_or_b32 s11, s11, s25
	s_or_b32 exec_lo, exec_lo, s26
	v_lshl_or_b32 v164, v164, 16, v176
	s_and_saveexec_b32 s25, s11
	s_cbranch_execnz .LBB6_1658
	s_branch .LBB6_1659
.LBB6_2569:                             ;   in Loop: Header=BB6_142 Depth=2
	s_mov_b32 s11, -1
	s_mov_b32 s27, exec_lo
                                        ; implicit-def: $sgpr25
	v_cmpx_eq_u16_e32 0x80, v42
; %bb.2570:                             ;   in Loop: Header=BB6_142 Depth=2
	s_mov_b32 s25, 0x7f800001
	s_xor_b32 s11, exec_lo, -1
; %bb.2571:                             ;   in Loop: Header=BB6_142 Depth=2
	s_or_b32 exec_lo, exec_lo, s27
	s_delay_alu instid0(SALU_CYCLE_1)
	s_and_b32 s11, s11, exec_lo
                                        ; implicit-def: $vgpr42
	s_or_saveexec_b32 s26, s26
	v_mov_b32_e32 v182, s25
	s_xor_b32 exec_lo, exec_lo, s26
	s_cbranch_execz .LBB6_1661
.LBB6_2572:                             ;   in Loop: Header=BB6_142 Depth=2
	v_cmp_ne_u16_e32 vcc_lo, 0, v42
	v_mov_b32_e32 v182, 0
	s_and_not1_b32 s11, s11, exec_lo
	s_and_b32 s25, vcc_lo, exec_lo
	s_delay_alu instid0(SALU_CYCLE_1)
	s_or_b32 s11, s11, s25
	s_or_b32 exec_lo, exec_lo, s26
	s_and_saveexec_b32 s25, s11
	s_cbranch_execnz .LBB6_1662
	s_branch .LBB6_1663
.LBB6_2573:                             ;   in Loop: Header=BB6_142 Depth=2
	s_mov_b32 s11, -1
	s_mov_b32 s27, exec_lo
                                        ; implicit-def: $sgpr25
	v_cmpx_eq_u16_e64 0x80, v182
; %bb.2574:                             ;   in Loop: Header=BB6_142 Depth=2
	s_mov_b32 s25, 0x7f800001
	s_xor_b32 s11, exec_lo, -1
; %bb.2575:                             ;   in Loop: Header=BB6_142 Depth=2
	s_or_b32 exec_lo, exec_lo, s27
	s_delay_alu instid0(SALU_CYCLE_1)
	s_and_b32 s11, s11, exec_lo
	s_or_saveexec_b32 s26, s26
	v_mov_b32_e32 v176, s25
	s_xor_b32 exec_lo, exec_lo, s26
	s_cbranch_execz .LBB6_1673
.LBB6_2576:                             ;   in Loop: Header=BB6_142 Depth=2
	v_cmp_ne_u16_e64 vcc_lo, 0, v182
	v_mov_b32_e32 v176, 0
	s_and_not1_b32 s11, s11, exec_lo
	s_delay_alu instid0(VALU_DEP_2) | instskip(NEXT) | instid1(SALU_CYCLE_1)
	s_and_b32 s25, vcc_lo, exec_lo
	s_or_b32 s11, s11, s25
	s_or_b32 exec_lo, exec_lo, s26
	s_and_saveexec_b32 s25, s11
	s_cbranch_execnz .LBB6_1674
	s_branch .LBB6_1675
.LBB6_2577:                             ;   in Loop: Header=BB6_142 Depth=2
	s_mov_b32 s11, -1
	s_mov_b32 s27, exec_lo
                                        ; implicit-def: $sgpr25
	v_cmpx_eq_u16_e64 0x80, v164
; %bb.2578:                             ;   in Loop: Header=BB6_142 Depth=2
	s_mov_b32 s25, 0x7f800001
	s_xor_b32 s11, exec_lo, -1
; %bb.2579:                             ;   in Loop: Header=BB6_142 Depth=2
	s_or_b32 exec_lo, exec_lo, s27
	s_delay_alu instid0(SALU_CYCLE_1)
	s_and_b32 s11, s11, exec_lo
	s_or_saveexec_b32 s26, s26
	v_mov_b32_e32 v182, s25
	s_xor_b32 exec_lo, exec_lo, s26
	s_cbranch_execz .LBB6_1677
.LBB6_2580:                             ;   in Loop: Header=BB6_142 Depth=2
	v_cmp_ne_u16_e64 vcc_lo, 0, v164
	v_mov_b32_e32 v182, 0
	s_and_not1_b32 s11, s11, exec_lo
	s_delay_alu instid0(VALU_DEP_2) | instskip(NEXT) | instid1(SALU_CYCLE_1)
	s_and_b32 s25, vcc_lo, exec_lo
	s_or_b32 s11, s11, s25
	s_or_b32 exec_lo, exec_lo, s26
	s_and_saveexec_b32 s25, s11
	s_cbranch_execnz .LBB6_1678
	s_branch .LBB6_1679
.LBB6_2581:                             ;   in Loop: Header=BB6_142 Depth=2
	s_mov_b32 s11, -1
	s_mov_b32 s27, exec_lo
                                        ; implicit-def: $sgpr25
	v_cmpx_eq_u16_e64 0x80, v176
; %bb.2582:                             ;   in Loop: Header=BB6_142 Depth=2
	s_mov_b32 s25, 0x7f800001
	s_xor_b32 s11, exec_lo, -1
; %bb.2583:                             ;   in Loop: Header=BB6_142 Depth=2
	s_or_b32 exec_lo, exec_lo, s27
	s_delay_alu instid0(SALU_CYCLE_1)
	s_and_b32 s11, s11, exec_lo
                                        ; implicit-def: $vgpr176
	s_or_saveexec_b32 s26, s26
	v_mov_b32_e32 v164, s25
	s_xor_b32 exec_lo, exec_lo, s26
	s_cbranch_execz .LBB6_1689
.LBB6_2584:                             ;   in Loop: Header=BB6_142 Depth=2
	v_cmp_ne_u16_e64 vcc_lo, 0, v176
	v_mov_b32_e32 v164, 0
	s_and_not1_b32 s11, s11, exec_lo
	s_delay_alu instid0(VALU_DEP_2) | instskip(NEXT) | instid1(SALU_CYCLE_1)
	s_and_b32 s25, vcc_lo, exec_lo
	s_or_b32 s11, s11, s25
	s_or_b32 exec_lo, exec_lo, s26
	s_and_saveexec_b32 s25, s11
	s_cbranch_execnz .LBB6_1690
	s_branch .LBB6_1691
.LBB6_2585:                             ;   in Loop: Header=BB6_142 Depth=2
	s_mov_b32 s11, -1
	s_mov_b32 s27, exec_lo
                                        ; implicit-def: $sgpr25
	v_cmpx_eq_u16_e64 0x80, v176
; %bb.2586:                             ;   in Loop: Header=BB6_142 Depth=2
	s_mov_b32 s25, 0x7f800001
	s_xor_b32 s11, exec_lo, -1
; %bb.2587:                             ;   in Loop: Header=BB6_142 Depth=2
	s_or_b32 exec_lo, exec_lo, s27
	s_delay_alu instid0(SALU_CYCLE_1)
	s_and_b32 s11, s11, exec_lo
                                        ; implicit-def: $vgpr176
	s_or_saveexec_b32 s26, s26
	v_mov_b32_e32 v151, s25
	s_xor_b32 exec_lo, exec_lo, s26
	s_cbranch_execz .LBB6_1693
.LBB6_2588:                             ;   in Loop: Header=BB6_142 Depth=2
	v_cmp_ne_u16_e64 vcc_lo, 0, v176
	v_mov_b32_e32 v151, 0
	s_and_not1_b32 s11, s11, exec_lo
	s_delay_alu instid0(VALU_DEP_2) | instskip(NEXT) | instid1(SALU_CYCLE_1)
	s_and_b32 s25, vcc_lo, exec_lo
	s_or_b32 s11, s11, s25
	s_or_b32 exec_lo, exec_lo, s26
	s_and_saveexec_b32 s25, s11
	s_cbranch_execnz .LBB6_1694
	s_branch .LBB6_1695
.LBB6_2589:                             ;   in Loop: Header=BB6_142 Depth=2
	s_mov_b32 s11, -1
	s_mov_b32 s27, exec_lo
                                        ; implicit-def: $sgpr25
	v_cmpx_eq_u16_e64 0x80, v176
; %bb.2590:                             ;   in Loop: Header=BB6_142 Depth=2
	s_mov_b32 s25, 0x7f800001
	s_xor_b32 s11, exec_lo, -1
; %bb.2591:                             ;   in Loop: Header=BB6_142 Depth=2
	s_or_b32 exec_lo, exec_lo, s27
	s_delay_alu instid0(SALU_CYCLE_1)
	s_and_b32 s11, s11, exec_lo
                                        ; implicit-def: $vgpr176
	s_or_saveexec_b32 s26, s26
	v_mov_b32_e32 v164, s25
	s_xor_b32 exec_lo, exec_lo, s26
	s_cbranch_execz .LBB6_1705
.LBB6_2592:                             ;   in Loop: Header=BB6_142 Depth=2
	v_cmp_ne_u16_e64 vcc_lo, 0, v176
	v_mov_b32_e32 v164, 0
	s_and_not1_b32 s11, s11, exec_lo
	s_delay_alu instid0(VALU_DEP_2) | instskip(NEXT) | instid1(SALU_CYCLE_1)
	s_and_b32 s25, vcc_lo, exec_lo
	s_or_b32 s11, s11, s25
	s_or_b32 exec_lo, exec_lo, s26
	s_and_saveexec_b32 s25, s11
	s_cbranch_execnz .LBB6_1706
	s_branch .LBB6_1707
.LBB6_2593:                             ;   in Loop: Header=BB6_142 Depth=2
	s_mov_b32 s11, -1
	s_mov_b32 s27, exec_lo
                                        ; implicit-def: $sgpr25
	v_cmpx_eq_u16_e64 0x80, v149
; %bb.2594:                             ;   in Loop: Header=BB6_142 Depth=2
	s_mov_b32 s25, 0x7f800001
	s_xor_b32 s11, exec_lo, -1
; %bb.2595:                             ;   in Loop: Header=BB6_142 Depth=2
	s_or_b32 exec_lo, exec_lo, s27
	s_delay_alu instid0(SALU_CYCLE_1)
	s_and_b32 s11, s11, exec_lo
	s_or_saveexec_b32 s26, s26
	v_mov_b32_e32 v176, s25
	s_xor_b32 exec_lo, exec_lo, s26
	s_cbranch_execz .LBB6_1709
.LBB6_2596:                             ;   in Loop: Header=BB6_142 Depth=2
	v_cmp_ne_u16_e64 vcc_lo, 0, v149
	v_mov_b32_e32 v176, 0
	s_and_not1_b32 s11, s11, exec_lo
	s_delay_alu instid0(VALU_DEP_2) | instskip(NEXT) | instid1(SALU_CYCLE_1)
	s_and_b32 s25, vcc_lo, exec_lo
	s_or_b32 s11, s11, s25
	s_or_b32 exec_lo, exec_lo, s26
	s_and_saveexec_b32 s25, s11
	s_cbranch_execnz .LBB6_1710
	s_branch .LBB6_1711
.LBB6_2597:                             ;   in Loop: Header=BB6_142 Depth=2
	s_mov_b32 s11, -1
	s_mov_b32 s27, exec_lo
                                        ; implicit-def: $sgpr25
	v_cmpx_eq_u16_e64 0x80, v176
; %bb.2598:                             ;   in Loop: Header=BB6_142 Depth=2
	s_mov_b32 s25, 0x7f800001
	s_xor_b32 s11, exec_lo, -1
; %bb.2599:                             ;   in Loop: Header=BB6_142 Depth=2
	s_or_b32 exec_lo, exec_lo, s27
	s_delay_alu instid0(SALU_CYCLE_1)
	s_and_b32 s11, s11, exec_lo
                                        ; implicit-def: $vgpr176
	s_or_saveexec_b32 s26, s26
	v_mov_b32_e32 v164, s25
	s_xor_b32 exec_lo, exec_lo, s26
	s_cbranch_execz .LBB6_1721
.LBB6_2600:                             ;   in Loop: Header=BB6_142 Depth=2
	v_cmp_ne_u16_e64 vcc_lo, 0, v176
	v_mov_b32_e32 v164, 0
	s_and_not1_b32 s11, s11, exec_lo
	s_delay_alu instid0(VALU_DEP_2) | instskip(NEXT) | instid1(SALU_CYCLE_1)
	s_and_b32 s25, vcc_lo, exec_lo
	s_or_b32 s11, s11, s25
	s_or_b32 exec_lo, exec_lo, s26
	s_and_saveexec_b32 s25, s11
	s_cbranch_execnz .LBB6_1722
	s_branch .LBB6_1723
.LBB6_2601:                             ;   in Loop: Header=BB6_142 Depth=2
	s_mov_b32 s11, -1
	s_mov_b32 s27, exec_lo
                                        ; implicit-def: $sgpr25
	v_cmpx_eq_u16_e64 0x80, v182
; %bb.2602:                             ;   in Loop: Header=BB6_142 Depth=2
	s_mov_b32 s25, 0x7f800001
	s_xor_b32 s11, exec_lo, -1
; %bb.2603:                             ;   in Loop: Header=BB6_142 Depth=2
	s_or_b32 exec_lo, exec_lo, s27
	s_delay_alu instid0(SALU_CYCLE_1)
	s_and_b32 s11, s11, exec_lo
                                        ; implicit-def: $vgpr182
	s_or_saveexec_b32 s26, s26
	v_mov_b32_e32 v176, s25
	s_xor_b32 exec_lo, exec_lo, s26
	s_cbranch_execz .LBB6_1725
.LBB6_2604:                             ;   in Loop: Header=BB6_142 Depth=2
	v_cmp_ne_u16_e64 vcc_lo, 0, v182
	v_mov_b32_e32 v176, 0
	s_and_not1_b32 s11, s11, exec_lo
	s_delay_alu instid0(VALU_DEP_2) | instskip(NEXT) | instid1(SALU_CYCLE_1)
	s_and_b32 s25, vcc_lo, exec_lo
	s_or_b32 s11, s11, s25
	s_or_b32 exec_lo, exec_lo, s26
	s_and_saveexec_b32 s25, s11
	s_cbranch_execnz .LBB6_1726
	s_branch .LBB6_1727
.LBB6_2605:                             ;   in Loop: Header=BB6_142 Depth=2
	s_mov_b32 s11, -1
	s_mov_b32 s27, exec_lo
                                        ; implicit-def: $sgpr25
	v_cmpx_eq_u16_e64 0x80, v176
; %bb.2606:                             ;   in Loop: Header=BB6_142 Depth=2
	s_mov_b32 s25, 0x7f800001
	s_xor_b32 s11, exec_lo, -1
; %bb.2607:                             ;   in Loop: Header=BB6_142 Depth=2
	s_or_b32 exec_lo, exec_lo, s27
	s_delay_alu instid0(SALU_CYCLE_1)
	s_and_b32 s11, s11, exec_lo
	s_or_saveexec_b32 s26, s26
	v_mov_b32_e32 v164, s25
	s_xor_b32 exec_lo, exec_lo, s26
	s_cbranch_execz .LBB6_1737
.LBB6_2608:                             ;   in Loop: Header=BB6_142 Depth=2
	v_cmp_ne_u16_e64 vcc_lo, 0, v176
	v_mov_b32_e32 v164, 0
	s_and_not1_b32 s11, s11, exec_lo
	s_delay_alu instid0(VALU_DEP_2) | instskip(NEXT) | instid1(SALU_CYCLE_1)
	s_and_b32 s25, vcc_lo, exec_lo
	s_or_b32 s11, s11, s25
	s_or_b32 exec_lo, exec_lo, s26
	s_and_saveexec_b32 s25, s11
	s_cbranch_execnz .LBB6_1738
	s_branch .LBB6_1739
.LBB6_2609:                             ;   in Loop: Header=BB6_142 Depth=2
	s_mov_b32 s11, -1
	s_mov_b32 s27, exec_lo
                                        ; implicit-def: $sgpr25
	v_cmpx_eq_u16_e64 0x80, v145
; %bb.2610:                             ;   in Loop: Header=BB6_142 Depth=2
	s_mov_b32 s25, 0x7f800001
	s_xor_b32 s11, exec_lo, -1
; %bb.2611:                             ;   in Loop: Header=BB6_142 Depth=2
	s_or_b32 exec_lo, exec_lo, s27
	s_delay_alu instid0(SALU_CYCLE_1)
	s_and_b32 s11, s11, exec_lo
	s_or_saveexec_b32 s26, s26
	v_mov_b32_e32 v176, s25
	s_xor_b32 exec_lo, exec_lo, s26
	s_cbranch_execz .LBB6_1741
.LBB6_2612:                             ;   in Loop: Header=BB6_142 Depth=2
	v_cmp_ne_u16_e64 vcc_lo, 0, v145
	v_mov_b32_e32 v176, 0
	s_and_not1_b32 s11, s11, exec_lo
	s_delay_alu instid0(VALU_DEP_2) | instskip(NEXT) | instid1(SALU_CYCLE_1)
	s_and_b32 s25, vcc_lo, exec_lo
	s_or_b32 s11, s11, s25
	s_or_b32 exec_lo, exec_lo, s26
	s_and_saveexec_b32 s25, s11
	s_cbranch_execnz .LBB6_1742
	s_branch .LBB6_1743
.LBB6_2613:                             ;   in Loop: Header=BB6_142 Depth=2
	s_mov_b32 s11, -1
	s_mov_b32 s27, exec_lo
                                        ; implicit-def: $sgpr25
	v_cmpx_eq_u16_e64 0x80, v145
; %bb.2614:                             ;   in Loop: Header=BB6_142 Depth=2
	s_mov_b32 s25, 0x7f800001
	s_xor_b32 s11, exec_lo, -1
; %bb.2615:                             ;   in Loop: Header=BB6_142 Depth=2
	s_or_b32 exec_lo, exec_lo, s27
	s_delay_alu instid0(SALU_CYCLE_1)
	s_and_b32 s11, s11, exec_lo
                                        ; implicit-def: $vgpr145
	s_or_saveexec_b32 s26, s26
	v_mov_b32_e32 v144, s25
	s_xor_b32 exec_lo, exec_lo, s26
	s_cbranch_execz .LBB6_1753
.LBB6_2616:                             ;   in Loop: Header=BB6_142 Depth=2
	v_cmp_ne_u16_e64 vcc_lo, 0, v145
	v_mov_b32_e32 v144, 0
	s_and_not1_b32 s11, s11, exec_lo
	s_delay_alu instid0(VALU_DEP_2) | instskip(NEXT) | instid1(SALU_CYCLE_1)
	s_and_b32 s25, vcc_lo, exec_lo
	s_or_b32 s11, s11, s25
	s_or_b32 exec_lo, exec_lo, s26
	s_and_saveexec_b32 s25, s11
	s_cbranch_execnz .LBB6_1754
	s_branch .LBB6_1755
.LBB6_2617:                             ;   in Loop: Header=BB6_142 Depth=2
	s_mov_b32 s11, -1
	s_mov_b32 s27, exec_lo
                                        ; implicit-def: $sgpr25
	v_cmpx_eq_u16_e64 0x80, v164
; %bb.2618:                             ;   in Loop: Header=BB6_142 Depth=2
	s_mov_b32 s25, 0x7f800001
	s_xor_b32 s11, exec_lo, -1
; %bb.2619:                             ;   in Loop: Header=BB6_142 Depth=2
	s_or_b32 exec_lo, exec_lo, s27
	s_delay_alu instid0(SALU_CYCLE_1)
	s_and_b32 s11, s11, exec_lo
                                        ; implicit-def: $vgpr164
	s_or_saveexec_b32 s26, s26
	v_mov_b32_e32 v145, s25
	s_xor_b32 exec_lo, exec_lo, s26
	s_cbranch_execz .LBB6_1757
.LBB6_2620:                             ;   in Loop: Header=BB6_142 Depth=2
	v_cmp_ne_u16_e64 vcc_lo, 0, v164
	v_mov_b32_e32 v145, 0
	s_and_not1_b32 s11, s11, exec_lo
	s_delay_alu instid0(VALU_DEP_2) | instskip(NEXT) | instid1(SALU_CYCLE_1)
	s_and_b32 s25, vcc_lo, exec_lo
	s_or_b32 s11, s11, s25
	s_or_b32 exec_lo, exec_lo, s26
	s_and_saveexec_b32 s25, s11
	s_cbranch_execnz .LBB6_1758
	s_branch .LBB6_1759
.LBB6_2621:                             ;   in Loop: Header=BB6_142 Depth=2
	s_mov_b32 s11, -1
	s_mov_b32 s27, exec_lo
                                        ; implicit-def: $sgpr25
	v_cmpx_eq_u16_e64 0x80, v164
; %bb.2622:                             ;   in Loop: Header=BB6_142 Depth=2
	s_mov_b32 s25, 0x7f800001
	s_xor_b32 s11, exec_lo, -1
; %bb.2623:                             ;   in Loop: Header=BB6_142 Depth=2
	s_or_b32 exec_lo, exec_lo, s27
	s_delay_alu instid0(SALU_CYCLE_1)
	s_and_b32 s11, s11, exec_lo
	s_or_saveexec_b32 s26, s26
	v_mov_b32_e32 v145, s25
	s_xor_b32 exec_lo, exec_lo, s26
	s_cbranch_execz .LBB6_1769
.LBB6_2624:                             ;   in Loop: Header=BB6_142 Depth=2
	v_cmp_ne_u16_e64 vcc_lo, 0, v164
	v_mov_b32_e32 v145, 0
	s_and_not1_b32 s11, s11, exec_lo
	s_delay_alu instid0(VALU_DEP_2) | instskip(NEXT) | instid1(SALU_CYCLE_1)
	s_and_b32 s25, vcc_lo, exec_lo
	s_or_b32 s11, s11, s25
	s_or_b32 exec_lo, exec_lo, s26
	s_and_saveexec_b32 s25, s11
	s_cbranch_execnz .LBB6_1770
	s_branch .LBB6_1771
.LBB6_2625:                             ;   in Loop: Header=BB6_142 Depth=2
	s_mov_b32 s11, -1
	s_mov_b32 s27, exec_lo
                                        ; implicit-def: $sgpr25
	v_cmpx_eq_u16_e64 0x80, v164
; %bb.2626:                             ;   in Loop: Header=BB6_142 Depth=2
	s_mov_b32 s25, 0x7f800001
	s_xor_b32 s11, exec_lo, -1
; %bb.2627:                             ;   in Loop: Header=BB6_142 Depth=2
	s_or_b32 exec_lo, exec_lo, s27
	s_delay_alu instid0(SALU_CYCLE_1)
	s_and_b32 s11, s11, exec_lo
	s_or_saveexec_b32 s26, s26
	v_mov_b32_e32 v176, s25
	s_xor_b32 exec_lo, exec_lo, s26
	s_cbranch_execz .LBB6_1773
.LBB6_2628:                             ;   in Loop: Header=BB6_142 Depth=2
	v_cmp_ne_u16_e64 vcc_lo, 0, v164
	v_mov_b32_e32 v176, 0
	s_and_not1_b32 s11, s11, exec_lo
	s_delay_alu instid0(VALU_DEP_2) | instskip(NEXT) | instid1(SALU_CYCLE_1)
	s_and_b32 s25, vcc_lo, exec_lo
	s_or_b32 s11, s11, s25
	s_or_b32 exec_lo, exec_lo, s26
	s_and_saveexec_b32 s25, s11
	s_cbranch_execnz .LBB6_1774
	s_branch .LBB6_1775
.LBB6_2629:                             ;   in Loop: Header=BB6_142 Depth=2
	s_mov_b32 s11, -1
	s_mov_b32 s27, exec_lo
                                        ; implicit-def: $sgpr25
	v_cmpx_eq_u16_e64 0x80, v164
; %bb.2630:                             ;   in Loop: Header=BB6_142 Depth=2
	s_mov_b32 s25, 0x7f800001
	s_xor_b32 s11, exec_lo, -1
; %bb.2631:                             ;   in Loop: Header=BB6_142 Depth=2
	s_or_b32 exec_lo, exec_lo, s27
	s_delay_alu instid0(SALU_CYCLE_1)
	s_and_b32 s11, s11, exec_lo
                                        ; implicit-def: $vgpr164
	s_or_saveexec_b32 s26, s26
	v_mov_b32_e32 v135, s25
	s_xor_b32 exec_lo, exec_lo, s26
	s_cbranch_execz .LBB6_1785
.LBB6_2632:                             ;   in Loop: Header=BB6_142 Depth=2
	v_cmp_ne_u16_e64 vcc_lo, 0, v164
	v_mov_b32_e32 v135, 0
	s_and_not1_b32 s11, s11, exec_lo
	s_delay_alu instid0(VALU_DEP_2) | instskip(NEXT) | instid1(SALU_CYCLE_1)
	s_and_b32 s25, vcc_lo, exec_lo
	s_or_b32 s11, s11, s25
	s_or_b32 exec_lo, exec_lo, s26
	v_lshl_or_b32 v146, v146, 16, v150
	s_and_saveexec_b32 s25, s11
	s_cbranch_execnz .LBB6_1786
	s_branch .LBB6_1787
.LBB6_2633:                             ;   in Loop: Header=BB6_142 Depth=2
	s_mov_b32 s11, -1
	s_mov_b32 s27, exec_lo
                                        ; implicit-def: $sgpr25
	v_cmpx_eq_u16_e64 0x80, v176
; %bb.2634:                             ;   in Loop: Header=BB6_142 Depth=2
	s_mov_b32 s25, 0x7f800001
	s_xor_b32 s11, exec_lo, -1
; %bb.2635:                             ;   in Loop: Header=BB6_142 Depth=2
	s_or_b32 exec_lo, exec_lo, s27
	s_delay_alu instid0(SALU_CYCLE_1)
	s_and_b32 s11, s11, exec_lo
                                        ; implicit-def: $vgpr176
	s_or_saveexec_b32 s26, s26
	v_mov_b32_e32 v164, s25
	s_xor_b32 exec_lo, exec_lo, s26
	s_cbranch_execz .LBB6_1789
.LBB6_2636:                             ;   in Loop: Header=BB6_142 Depth=2
	v_cmp_ne_u16_e64 vcc_lo, 0, v176
	v_mov_b32_e32 v164, 0
	s_and_not1_b32 s11, s11, exec_lo
	s_delay_alu instid0(VALU_DEP_2) | instskip(NEXT) | instid1(SALU_CYCLE_1)
	s_and_b32 s25, vcc_lo, exec_lo
	s_or_b32 s11, s11, s25
	s_or_b32 exec_lo, exec_lo, s26
	s_and_saveexec_b32 s25, s11
	s_cbranch_execnz .LBB6_1790
	s_branch .LBB6_1791
.LBB6_2637:                             ;   in Loop: Header=BB6_142 Depth=2
	s_mov_b32 s11, -1
	s_mov_b32 s27, exec_lo
                                        ; implicit-def: $sgpr25
	v_cmpx_eq_u16_e64 0x80, v164
; %bb.2638:                             ;   in Loop: Header=BB6_142 Depth=2
	s_mov_b32 s25, 0x7f800001
	s_xor_b32 s11, exec_lo, -1
; %bb.2639:                             ;   in Loop: Header=BB6_142 Depth=2
	s_or_b32 exec_lo, exec_lo, s27
	s_delay_alu instid0(SALU_CYCLE_1)
	s_and_b32 s11, s11, exec_lo
	s_or_saveexec_b32 s26, s26
	v_mov_b32_e32 v150, s25
	s_xor_b32 exec_lo, exec_lo, s26
	s_cbranch_execz .LBB6_1801
.LBB6_2640:                             ;   in Loop: Header=BB6_142 Depth=2
	v_cmp_ne_u16_e64 vcc_lo, 0, v164
	v_mov_b32_e32 v150, 0
	s_and_not1_b32 s11, s11, exec_lo
	s_delay_alu instid0(VALU_DEP_2) | instskip(NEXT) | instid1(SALU_CYCLE_1)
	s_and_b32 s25, vcc_lo, exec_lo
	s_or_b32 s11, s11, s25
	s_or_b32 exec_lo, exec_lo, s26
	s_and_saveexec_b32 s25, s11
	s_cbranch_execnz .LBB6_1802
	s_branch .LBB6_1803
.LBB6_2641:                             ;   in Loop: Header=BB6_142 Depth=2
	s_mov_b32 s11, -1
	s_mov_b32 s27, exec_lo
                                        ; implicit-def: $sgpr25
	v_cmpx_eq_u16_e64 0x80, v146
; %bb.2642:                             ;   in Loop: Header=BB6_142 Depth=2
	s_mov_b32 s25, 0x7f800001
	s_xor_b32 s11, exec_lo, -1
; %bb.2643:                             ;   in Loop: Header=BB6_142 Depth=2
	s_or_b32 exec_lo, exec_lo, s27
	s_delay_alu instid0(SALU_CYCLE_1)
	s_and_b32 s11, s11, exec_lo
	s_or_saveexec_b32 s26, s26
	v_mov_b32_e32 v164, s25
	s_xor_b32 exec_lo, exec_lo, s26
	s_cbranch_execz .LBB6_1805
.LBB6_2644:                             ;   in Loop: Header=BB6_142 Depth=2
	v_cmp_ne_u16_e64 vcc_lo, 0, v146
	v_mov_b32_e32 v164, 0
	s_and_not1_b32 s11, s11, exec_lo
	s_delay_alu instid0(VALU_DEP_2) | instskip(NEXT) | instid1(SALU_CYCLE_1)
	s_and_b32 s25, vcc_lo, exec_lo
	s_or_b32 s11, s11, s25
	s_or_b32 exec_lo, exec_lo, s26
	s_and_saveexec_b32 s25, s11
	s_cbranch_execnz .LBB6_1806
	s_branch .LBB6_1807
.LBB6_2645:                             ;   in Loop: Header=BB6_142 Depth=2
	s_mov_b32 s11, -1
	s_mov_b32 s27, exec_lo
                                        ; implicit-def: $sgpr25
	v_cmpx_eq_u16_e64 0x80, v150
; %bb.2646:                             ;   in Loop: Header=BB6_142 Depth=2
	s_mov_b32 s25, 0x7f800001
	s_xor_b32 s11, exec_lo, -1
; %bb.2647:                             ;   in Loop: Header=BB6_142 Depth=2
	s_or_b32 exec_lo, exec_lo, s27
	s_delay_alu instid0(SALU_CYCLE_1)
	s_and_b32 s11, s11, exec_lo
                                        ; implicit-def: $vgpr150
	s_or_saveexec_b32 s26, s26
	v_mov_b32_e32 v146, s25
	s_xor_b32 exec_lo, exec_lo, s26
	s_cbranch_execz .LBB6_1817
.LBB6_2648:                             ;   in Loop: Header=BB6_142 Depth=2
	v_cmp_ne_u16_e64 vcc_lo, 0, v150
	v_mov_b32_e32 v146, 0
	s_and_not1_b32 s11, s11, exec_lo
	s_delay_alu instid0(VALU_DEP_2) | instskip(NEXT) | instid1(SALU_CYCLE_1)
	s_and_b32 s25, vcc_lo, exec_lo
	s_or_b32 s11, s11, s25
	s_or_b32 exec_lo, exec_lo, s26
	s_and_saveexec_b32 s25, s11
	s_cbranch_execnz .LBB6_1818
	s_branch .LBB6_1819
.LBB6_2649:                             ;   in Loop: Header=BB6_142 Depth=2
	s_mov_b32 s11, -1
	s_mov_b32 s27, exec_lo
                                        ; implicit-def: $sgpr25
	v_cmpx_eq_u16_e64 0x80, v150
; %bb.2650:                             ;   in Loop: Header=BB6_142 Depth=2
	s_mov_b32 s25, 0x7f800001
	s_xor_b32 s11, exec_lo, -1
; %bb.2651:                             ;   in Loop: Header=BB6_142 Depth=2
	s_or_b32 exec_lo, exec_lo, s27
	s_delay_alu instid0(SALU_CYCLE_1)
	s_and_b32 s11, s11, exec_lo
                                        ; implicit-def: $vgpr150
	s_or_saveexec_b32 s26, s26
	v_mov_b32_e32 v134, s25
	s_xor_b32 exec_lo, exec_lo, s26
	s_cbranch_execz .LBB6_1821
.LBB6_2652:                             ;   in Loop: Header=BB6_142 Depth=2
	v_cmp_ne_u16_e64 vcc_lo, 0, v150
	v_mov_b32_e32 v134, 0
	s_and_not1_b32 s11, s11, exec_lo
	s_delay_alu instid0(VALU_DEP_2) | instskip(NEXT) | instid1(SALU_CYCLE_1)
	s_and_b32 s25, vcc_lo, exec_lo
	s_or_b32 s11, s11, s25
	s_or_b32 exec_lo, exec_lo, s26
	s_and_saveexec_b32 s25, s11
	s_cbranch_execnz .LBB6_1822
	s_branch .LBB6_1823
.LBB6_2653:                             ;   in Loop: Header=BB6_142 Depth=2
	s_mov_b32 s11, -1
	s_mov_b32 s27, exec_lo
                                        ; implicit-def: $sgpr25
	v_cmpx_eq_u16_e64 0x80, v150
; %bb.2654:                             ;   in Loop: Header=BB6_142 Depth=2
	s_mov_b32 s25, 0x7f800001
	s_xor_b32 s11, exec_lo, -1
; %bb.2655:                             ;   in Loop: Header=BB6_142 Depth=2
	s_or_b32 exec_lo, exec_lo, s27
	s_delay_alu instid0(SALU_CYCLE_1)
	s_and_b32 s11, s11, exec_lo
                                        ; implicit-def: $vgpr150
	s_or_saveexec_b32 s26, s26
	v_mov_b32_e32 v146, s25
	s_xor_b32 exec_lo, exec_lo, s26
	s_cbranch_execz .LBB6_1833
.LBB6_2656:                             ;   in Loop: Header=BB6_142 Depth=2
	v_cmp_ne_u16_e64 vcc_lo, 0, v150
	v_mov_b32_e32 v146, 0
	s_and_not1_b32 s11, s11, exec_lo
	s_delay_alu instid0(VALU_DEP_2) | instskip(NEXT) | instid1(SALU_CYCLE_1)
	s_and_b32 s25, vcc_lo, exec_lo
	s_or_b32 s11, s11, s25
	s_or_b32 exec_lo, exec_lo, s26
	s_and_saveexec_b32 s25, s11
	s_cbranch_execnz .LBB6_1834
	s_branch .LBB6_1835
.LBB6_2657:                             ;   in Loop: Header=BB6_142 Depth=2
	s_mov_b32 s11, -1
	s_mov_b32 s27, exec_lo
                                        ; implicit-def: $sgpr25
	v_cmpx_eq_u16_e64 0x80, v131
; %bb.2658:                             ;   in Loop: Header=BB6_142 Depth=2
	s_mov_b32 s25, 0x7f800001
	s_xor_b32 s11, exec_lo, -1
; %bb.2659:                             ;   in Loop: Header=BB6_142 Depth=2
	s_or_b32 exec_lo, exec_lo, s27
	s_delay_alu instid0(SALU_CYCLE_1)
	s_and_b32 s11, s11, exec_lo
	s_or_saveexec_b32 s26, s26
	v_mov_b32_e32 v150, s25
	s_xor_b32 exec_lo, exec_lo, s26
	s_cbranch_execz .LBB6_1837
.LBB6_2660:                             ;   in Loop: Header=BB6_142 Depth=2
	v_cmp_ne_u16_e64 vcc_lo, 0, v131
	v_mov_b32_e32 v150, 0
	s_and_not1_b32 s11, s11, exec_lo
	s_delay_alu instid0(VALU_DEP_2) | instskip(NEXT) | instid1(SALU_CYCLE_1)
	s_and_b32 s25, vcc_lo, exec_lo
	s_or_b32 s11, s11, s25
	s_or_b32 exec_lo, exec_lo, s26
	s_and_saveexec_b32 s25, s11
	s_cbranch_execnz .LBB6_1838
	s_branch .LBB6_1839
.LBB6_2661:                             ;   in Loop: Header=BB6_142 Depth=2
	s_mov_b32 s11, -1
	s_mov_b32 s27, exec_lo
                                        ; implicit-def: $sgpr25
	v_cmpx_eq_u16_e64 0x80, v150
; %bb.2662:                             ;   in Loop: Header=BB6_142 Depth=2
	s_mov_b32 s25, 0x7f800001
	s_xor_b32 s11, exec_lo, -1
; %bb.2663:                             ;   in Loop: Header=BB6_142 Depth=2
	s_or_b32 exec_lo, exec_lo, s27
	s_delay_alu instid0(SALU_CYCLE_1)
	s_and_b32 s11, s11, exec_lo
                                        ; implicit-def: $vgpr150
	s_or_saveexec_b32 s26, s26
	v_mov_b32_e32 v146, s25
	s_xor_b32 exec_lo, exec_lo, s26
	s_cbranch_execz .LBB6_1849
.LBB6_2664:                             ;   in Loop: Header=BB6_142 Depth=2
	v_cmp_ne_u16_e64 vcc_lo, 0, v150
	v_mov_b32_e32 v146, 0
	s_and_not1_b32 s11, s11, exec_lo
	s_delay_alu instid0(VALU_DEP_2) | instskip(NEXT) | instid1(SALU_CYCLE_1)
	s_and_b32 s25, vcc_lo, exec_lo
	s_or_b32 s11, s11, s25
	s_or_b32 exec_lo, exec_lo, s26
	s_and_saveexec_b32 s25, s11
	s_cbranch_execnz .LBB6_1850
	s_branch .LBB6_1851
.LBB6_2665:                             ;   in Loop: Header=BB6_142 Depth=2
	s_mov_b32 s11, -1
	s_mov_b32 s27, exec_lo
                                        ; implicit-def: $sgpr25
	v_cmpx_eq_u16_e64 0x80, v164
; %bb.2666:                             ;   in Loop: Header=BB6_142 Depth=2
	s_mov_b32 s25, 0x7f800001
	s_xor_b32 s11, exec_lo, -1
; %bb.2667:                             ;   in Loop: Header=BB6_142 Depth=2
	s_or_b32 exec_lo, exec_lo, s27
	s_delay_alu instid0(SALU_CYCLE_1)
	s_and_b32 s11, s11, exec_lo
                                        ; implicit-def: $vgpr164
	s_or_saveexec_b32 s26, s26
	v_mov_b32_e32 v150, s25
	s_xor_b32 exec_lo, exec_lo, s26
	s_cbranch_execz .LBB6_1853
.LBB6_2668:                             ;   in Loop: Header=BB6_142 Depth=2
	v_cmp_ne_u16_e64 vcc_lo, 0, v164
	v_mov_b32_e32 v150, 0
	s_and_not1_b32 s11, s11, exec_lo
	s_delay_alu instid0(VALU_DEP_2) | instskip(NEXT) | instid1(SALU_CYCLE_1)
	s_and_b32 s25, vcc_lo, exec_lo
	s_or_b32 s11, s11, s25
	s_or_b32 exec_lo, exec_lo, s26
	s_and_saveexec_b32 s25, s11
	s_cbranch_execnz .LBB6_1854
	s_branch .LBB6_1855
.LBB6_2669:                             ;   in Loop: Header=BB6_142 Depth=2
	s_mov_b32 s11, -1
	s_mov_b32 s27, exec_lo
                                        ; implicit-def: $sgpr25
	v_cmpx_eq_u16_e64 0x80, v150
; %bb.2670:                             ;   in Loop: Header=BB6_142 Depth=2
	s_mov_b32 s25, 0x7f800001
	s_xor_b32 s11, exec_lo, -1
; %bb.2671:                             ;   in Loop: Header=BB6_142 Depth=2
	s_or_b32 exec_lo, exec_lo, s27
	s_delay_alu instid0(SALU_CYCLE_1)
	s_and_b32 s11, s11, exec_lo
	s_or_saveexec_b32 s26, s26
	v_mov_b32_e32 v146, s25
	s_xor_b32 exec_lo, exec_lo, s26
	s_cbranch_execz .LBB6_1865
.LBB6_2672:                             ;   in Loop: Header=BB6_142 Depth=2
	v_cmp_ne_u16_e64 vcc_lo, 0, v150
	v_mov_b32_e32 v146, 0
	s_and_not1_b32 s11, s11, exec_lo
	s_delay_alu instid0(VALU_DEP_2) | instskip(NEXT) | instid1(SALU_CYCLE_1)
	s_and_b32 s25, vcc_lo, exec_lo
	s_or_b32 s11, s11, s25
	s_or_b32 exec_lo, exec_lo, s26
	s_and_saveexec_b32 s25, s11
	s_cbranch_execnz .LBB6_1866
	s_branch .LBB6_1867
.LBB6_2673:                             ;   in Loop: Header=BB6_142 Depth=2
	s_mov_b32 s11, -1
	s_mov_b32 s27, exec_lo
                                        ; implicit-def: $sgpr25
	v_cmpx_eq_u16_e64 0x80, v128
; %bb.2674:                             ;   in Loop: Header=BB6_142 Depth=2
	s_mov_b32 s25, 0x7f800001
	s_xor_b32 s11, exec_lo, -1
; %bb.2675:                             ;   in Loop: Header=BB6_142 Depth=2
	s_or_b32 exec_lo, exec_lo, s27
	s_delay_alu instid0(SALU_CYCLE_1)
	s_and_b32 s11, s11, exec_lo
	s_or_saveexec_b32 s26, s26
	v_mov_b32_e32 v150, s25
	s_xor_b32 exec_lo, exec_lo, s26
	s_cbranch_execz .LBB6_1869
.LBB6_2676:                             ;   in Loop: Header=BB6_142 Depth=2
	v_cmp_ne_u16_e64 vcc_lo, 0, v128
	v_mov_b32_e32 v150, 0
	s_and_not1_b32 s11, s11, exec_lo
	s_delay_alu instid0(VALU_DEP_2) | instskip(NEXT) | instid1(SALU_CYCLE_1)
	s_and_b32 s25, vcc_lo, exec_lo
	s_or_b32 s11, s11, s25
	s_or_b32 exec_lo, exec_lo, s26
	s_and_saveexec_b32 s25, s11
	s_cbranch_execnz .LBB6_1870
	s_branch .LBB6_1871
.LBB6_2677:                             ;   in Loop: Header=BB6_142 Depth=2
	s_mov_b32 s11, -1
	s_mov_b32 s27, exec_lo
                                        ; implicit-def: $sgpr25
	v_cmpx_eq_u16_e64 0x80, v128
; %bb.2678:                             ;   in Loop: Header=BB6_142 Depth=2
	s_mov_b32 s25, 0x7f800001
	s_xor_b32 s11, exec_lo, -1
; %bb.2679:                             ;   in Loop: Header=BB6_142 Depth=2
	s_or_b32 exec_lo, exec_lo, s27
	s_delay_alu instid0(SALU_CYCLE_1)
	s_and_b32 s11, s11, exec_lo
                                        ; implicit-def: $vgpr128
	s_or_saveexec_b32 s26, s26
	v_mov_b32_e32 v119, s25
	s_xor_b32 exec_lo, exec_lo, s26
	s_cbranch_execz .LBB6_1881
.LBB6_2680:                             ;   in Loop: Header=BB6_142 Depth=2
	v_cmp_ne_u16_e64 vcc_lo, 0, v128
	v_mov_b32_e32 v119, 0
	s_and_not1_b32 s11, s11, exec_lo
	s_delay_alu instid0(VALU_DEP_2) | instskip(NEXT) | instid1(SALU_CYCLE_1)
	s_and_b32 s25, vcc_lo, exec_lo
	s_or_b32 s11, s11, s25
	s_or_b32 exec_lo, exec_lo, s26
	s_and_saveexec_b32 s25, s11
	s_cbranch_execnz .LBB6_1882
	s_branch .LBB6_1883
.LBB6_2681:                             ;   in Loop: Header=BB6_142 Depth=2
	s_mov_b32 s11, -1
	s_mov_b32 s27, exec_lo
                                        ; implicit-def: $sgpr25
	v_cmpx_eq_u16_e64 0x80, v146
; %bb.2682:                             ;   in Loop: Header=BB6_142 Depth=2
	s_mov_b32 s25, 0x7f800001
	s_xor_b32 s11, exec_lo, -1
; %bb.2683:                             ;   in Loop: Header=BB6_142 Depth=2
	s_or_b32 exec_lo, exec_lo, s27
	s_delay_alu instid0(SALU_CYCLE_1)
	s_and_b32 s11, s11, exec_lo
                                        ; implicit-def: $vgpr146
	s_or_saveexec_b32 s26, s26
	v_mov_b32_e32 v128, s25
	s_xor_b32 exec_lo, exec_lo, s26
	s_cbranch_execz .LBB6_1885
.LBB6_2684:                             ;   in Loop: Header=BB6_142 Depth=2
	v_cmp_ne_u16_e64 vcc_lo, 0, v146
	v_mov_b32_e32 v128, 0
	s_and_not1_b32 s11, s11, exec_lo
	s_delay_alu instid0(VALU_DEP_2) | instskip(NEXT) | instid1(SALU_CYCLE_1)
	s_and_b32 s25, vcc_lo, exec_lo
	s_or_b32 s11, s11, s25
	s_or_b32 exec_lo, exec_lo, s26
	s_and_saveexec_b32 s25, s11
	s_cbranch_execnz .LBB6_1886
	s_branch .LBB6_1887
.LBB6_2685:                             ;   in Loop: Header=BB6_142 Depth=2
	s_mov_b32 s11, -1
	s_mov_b32 s27, exec_lo
                                        ; implicit-def: $sgpr25
	v_cmpx_eq_u16_e64 0x80, v146
; %bb.2686:                             ;   in Loop: Header=BB6_142 Depth=2
	s_mov_b32 s25, 0x7f800001
	s_xor_b32 s11, exec_lo, -1
; %bb.2687:                             ;   in Loop: Header=BB6_142 Depth=2
	s_or_b32 exec_lo, exec_lo, s27
	s_delay_alu instid0(SALU_CYCLE_1)
	s_and_b32 s11, s11, exec_lo
	s_or_saveexec_b32 s26, s26
	v_mov_b32_e32 v128, s25
	s_xor_b32 exec_lo, exec_lo, s26
	s_cbranch_execz .LBB6_1897
.LBB6_2688:                             ;   in Loop: Header=BB6_142 Depth=2
	v_cmp_ne_u16_e64 vcc_lo, 0, v146
	v_mov_b32_e32 v128, 0
	s_and_not1_b32 s11, s11, exec_lo
	s_delay_alu instid0(VALU_DEP_2) | instskip(NEXT) | instid1(SALU_CYCLE_1)
	s_and_b32 s25, vcc_lo, exec_lo
	s_or_b32 s11, s11, s25
	s_or_b32 exec_lo, exec_lo, s26
	s_and_saveexec_b32 s25, s11
	s_cbranch_execnz .LBB6_1898
	s_branch .LBB6_1899
.LBB6_2689:                             ;   in Loop: Header=BB6_142 Depth=2
	s_mov_b32 s11, -1
	s_mov_b32 s27, exec_lo
                                        ; implicit-def: $sgpr25
	v_cmpx_eq_u16_e64 0x80, v146
; %bb.2690:                             ;   in Loop: Header=BB6_142 Depth=2
	s_mov_b32 s25, 0x7f800001
	s_xor_b32 s11, exec_lo, -1
; %bb.2691:                             ;   in Loop: Header=BB6_142 Depth=2
	s_or_b32 exec_lo, exec_lo, s27
	s_delay_alu instid0(SALU_CYCLE_1)
	s_and_b32 s11, s11, exec_lo
	s_or_saveexec_b32 s26, s26
	v_mov_b32_e32 v150, s25
	s_xor_b32 exec_lo, exec_lo, s26
	s_cbranch_execz .LBB6_1901
.LBB6_2692:                             ;   in Loop: Header=BB6_142 Depth=2
	v_cmp_ne_u16_e64 vcc_lo, 0, v146
	v_mov_b32_e32 v150, 0
	s_and_not1_b32 s11, s11, exec_lo
	s_delay_alu instid0(VALU_DEP_2) | instskip(NEXT) | instid1(SALU_CYCLE_1)
	s_and_b32 s25, vcc_lo, exec_lo
	s_or_b32 s11, s11, s25
	s_or_b32 exec_lo, exec_lo, s26
	s_and_saveexec_b32 s25, s11
	s_cbranch_execnz .LBB6_1902
	s_branch .LBB6_1903
.LBB6_2693:                             ;   in Loop: Header=BB6_142 Depth=2
	s_mov_b32 s11, -1
	s_mov_b32 s27, exec_lo
                                        ; implicit-def: $sgpr25
	v_cmpx_eq_u16_e64 0x80, v146
; %bb.2694:                             ;   in Loop: Header=BB6_142 Depth=2
	s_mov_b32 s25, 0x7f800001
	s_xor_b32 s11, exec_lo, -1
; %bb.2695:                             ;   in Loop: Header=BB6_142 Depth=2
	s_or_b32 exec_lo, exec_lo, s27
	s_delay_alu instid0(SALU_CYCLE_1)
	s_and_b32 s11, s11, exec_lo
                                        ; implicit-def: $vgpr146
	s_or_saveexec_b32 s26, s26
	v_mov_b32_e32 v117, s25
	s_xor_b32 exec_lo, exec_lo, s26
	s_cbranch_execz .LBB6_1913
.LBB6_2696:                             ;   in Loop: Header=BB6_142 Depth=2
	v_cmp_ne_u16_e64 vcc_lo, 0, v146
	v_mov_b32_e32 v117, 0
	s_and_not1_b32 s11, s11, exec_lo
	s_delay_alu instid0(VALU_DEP_2) | instskip(NEXT) | instid1(SALU_CYCLE_1)
	s_and_b32 s25, vcc_lo, exec_lo
	s_or_b32 s11, s11, s25
	s_or_b32 exec_lo, exec_lo, s26
	v_lshl_or_b32 v129, v129, 16, v132
	s_and_saveexec_b32 s25, s11
	s_cbranch_execnz .LBB6_1914
	s_branch .LBB6_1915
.LBB6_2697:                             ;   in Loop: Header=BB6_142 Depth=2
	s_mov_b32 s11, -1
	s_mov_b32 s27, exec_lo
                                        ; implicit-def: $sgpr25
	v_cmpx_eq_u16_e64 0x80, v150
; %bb.2698:                             ;   in Loop: Header=BB6_142 Depth=2
	s_mov_b32 s25, 0x7f800001
	s_xor_b32 s11, exec_lo, -1
; %bb.2699:                             ;   in Loop: Header=BB6_142 Depth=2
	s_or_b32 exec_lo, exec_lo, s27
	s_delay_alu instid0(SALU_CYCLE_1)
	s_and_b32 s11, s11, exec_lo
                                        ; implicit-def: $vgpr150
	s_or_saveexec_b32 s26, s26
	v_mov_b32_e32 v146, s25
	s_xor_b32 exec_lo, exec_lo, s26
	s_cbranch_execz .LBB6_1917
.LBB6_2700:                             ;   in Loop: Header=BB6_142 Depth=2
	v_cmp_ne_u16_e64 vcc_lo, 0, v150
	v_mov_b32_e32 v146, 0
	s_and_not1_b32 s11, s11, exec_lo
	s_delay_alu instid0(VALU_DEP_2) | instskip(NEXT) | instid1(SALU_CYCLE_1)
	s_and_b32 s25, vcc_lo, exec_lo
	s_or_b32 s11, s11, s25
	s_or_b32 exec_lo, exec_lo, s26
	s_and_saveexec_b32 s25, s11
	s_cbranch_execnz .LBB6_1918
	s_branch .LBB6_1919
.LBB6_2701:                             ;   in Loop: Header=BB6_142 Depth=2
	s_mov_b32 s11, -1
	s_mov_b32 s27, exec_lo
                                        ; implicit-def: $sgpr25
	v_cmpx_eq_u16_e64 0x80, v146
; %bb.2702:                             ;   in Loop: Header=BB6_142 Depth=2
	s_mov_b32 s25, 0x7f800001
	s_xor_b32 s11, exec_lo, -1
; %bb.2703:                             ;   in Loop: Header=BB6_142 Depth=2
	s_or_b32 exec_lo, exec_lo, s27
	s_delay_alu instid0(SALU_CYCLE_1)
	s_and_b32 s11, s11, exec_lo
	s_or_saveexec_b32 s26, s26
	v_mov_b32_e32 v132, s25
	s_xor_b32 exec_lo, exec_lo, s26
	s_cbranch_execz .LBB6_1929
.LBB6_2704:                             ;   in Loop: Header=BB6_142 Depth=2
	v_cmp_ne_u16_e64 vcc_lo, 0, v146
	v_mov_b32_e32 v132, 0
	s_and_not1_b32 s11, s11, exec_lo
	s_delay_alu instid0(VALU_DEP_2) | instskip(NEXT) | instid1(SALU_CYCLE_1)
	s_and_b32 s25, vcc_lo, exec_lo
	s_or_b32 s11, s11, s25
	s_or_b32 exec_lo, exec_lo, s26
	s_and_saveexec_b32 s25, s11
	s_cbranch_execnz .LBB6_1930
	s_branch .LBB6_1931
.LBB6_2705:                             ;   in Loop: Header=BB6_142 Depth=2
	s_mov_b32 s11, -1
	s_mov_b32 s27, exec_lo
                                        ; implicit-def: $sgpr25
	v_cmpx_eq_u16_e64 0x80, v129
; %bb.2706:                             ;   in Loop: Header=BB6_142 Depth=2
	s_mov_b32 s25, 0x7f800001
	s_xor_b32 s11, exec_lo, -1
; %bb.2707:                             ;   in Loop: Header=BB6_142 Depth=2
	s_or_b32 exec_lo, exec_lo, s27
	s_delay_alu instid0(SALU_CYCLE_1)
	s_and_b32 s11, s11, exec_lo
	s_or_saveexec_b32 s26, s26
	v_mov_b32_e32 v146, s25
	s_xor_b32 exec_lo, exec_lo, s26
	s_cbranch_execz .LBB6_1933
.LBB6_2708:                             ;   in Loop: Header=BB6_142 Depth=2
	v_cmp_ne_u16_e64 vcc_lo, 0, v129
	v_mov_b32_e32 v146, 0
	s_and_not1_b32 s11, s11, exec_lo
	s_delay_alu instid0(VALU_DEP_2) | instskip(NEXT) | instid1(SALU_CYCLE_1)
	s_and_b32 s25, vcc_lo, exec_lo
	s_or_b32 s11, s11, s25
	s_or_b32 exec_lo, exec_lo, s26
	s_and_saveexec_b32 s25, s11
	s_cbranch_execnz .LBB6_1934
	s_branch .LBB6_1935
.LBB6_2709:                             ;   in Loop: Header=BB6_53 Depth=1
	s_or_b32 exec_lo, exec_lo, s23
.LBB6_2710:                             ;   in Loop: Header=BB6_53 Depth=1
	s_delay_alu instid0(SALU_CYCLE_1) | instskip(SKIP_3) | instid1(VALU_DEP_1)
	s_or_b32 exec_lo, exec_lo, s12
	v_dual_mov_b32 v18, 0 :: v_dual_and_b32 v11, 0x3ffff800, v52
	s_mov_b32 s11, 0
	s_mov_b32 s23, exec_lo
                                        ; implicit-def: $vgpr19
                                        ; implicit-def: $vgpr20
                                        ; implicit-def: $vgpr10
	v_cmpx_ne_u32_e64 v11, v52
	s_cbranch_execz .LBB6_3368
; %bb.2711:                             ;   in Loop: Header=BB6_53 Depth=1
	v_lshlrev_b32_e32 v10, 5, v114
	v_bfe_u32 v15, v52, 9, 2
	s_mov_b32 s24, exec_lo
	s_delay_alu instid0(VALU_DEP_2) | instskip(NEXT) | instid1(VALU_DEP_1)
	v_sub_nc_u32_e32 v10, v86, v10
	v_ashrrev_i32_e32 v12, 31, v10
	s_delay_alu instid0(VALU_DEP_1) | instskip(NEXT) | instid1(VALU_DEP_1)
	v_lshrrev_b32_e32 v12, 27, v12
	v_add_nc_u32_e32 v12, v10, v12
	s_delay_alu instid0(VALU_DEP_1) | instskip(SKIP_1) | instid1(VALU_DEP_2)
	v_and_b32_e32 v13, 0xffffffe0, v12
	v_ashrrev_i32_e32 v12, 5, v12
	v_sub_nc_u32_e32 v21, v10, v13
	v_and_b32_e32 v13, 0x7ff, v52
	v_and_b32_e32 v10, 0x600, v52
	s_delay_alu instid0(VALU_DEP_3) | instskip(NEXT) | instid1(VALU_DEP_2)
	v_lshlrev_b32_e32 v14, 4, v21
	v_sub_nc_u32_e32 v22, v13, v10
	s_delay_alu instid0(VALU_DEP_2) | instskip(NEXT) | instid1(VALU_DEP_2)
	v_lshl_add_u32 v10, v12, 9, v14
	v_cmp_lt_i32_e64 s11, 15, v22
	s_delay_alu instid0(VALU_DEP_2) | instskip(NEXT) | instid1(VALU_DEP_2)
	v_sub_nc_u32_e32 v20, v13, v10
	v_add_co_ci_u32_e64 v14, vcc_lo, 0, v15, s11
	s_delay_alu instid0(VALU_DEP_1) | instskip(NEXT) | instid1(VALU_DEP_3)
	v_sub_nc_u32_e32 v23, v14, v12
	v_cmpx_lt_i32_e32 15, v20
	s_cbranch_execz .LBB6_3365
; %bb.2712:                             ;   in Loop: Header=BB6_53 Depth=1
	s_cbranch_execz .LBB6_2713
; %bb.13015:
	s_getpc_b64 s[34:35]
.Lpost_getpc157:
	s_add_u32 s34, s34, (.LBB6_12891-.Lpost_getpc157)&4294967295
	s_addc_u32 s35, s35, (.LBB6_12891-.Lpost_getpc157)>>32
	s_setpc_b64 s[34:35]
.LBB6_2713:                             ;   in Loop: Header=BB6_53 Depth=1
	ds_load_b64 v[12:13], v0
	ds_load_b128 v[14:17], v0
	v_add_nc_u32_e32 v10, v10, v11
	s_delay_alu instid0(VALU_DEP_1)
	v_ashrrev_i32_e32 v11, 31, v10
	s_waitcnt lgkmcnt(1)
	v_readfirstlane_b32 s12, v12
	s_waitcnt lgkmcnt(0)
	v_add_co_u32 v14, vcc_lo, v14, v10
	v_add_co_ci_u32_e32 v15, vcc_lo, v15, v11, vcc_lo
	s_delay_alu instid0(VALU_DEP_3)
	s_and_b32 s25, s12, 7
	s_bfe_u32 s28, s12, 0x40003
	s_clz_i32_u32 s26, s25
	v_add_co_u32 v16, vcc_lo, v16, v10
	s_min_u32 s26, s26, 32
	v_add_co_ci_u32_e32 v17, vcc_lo, v17, v11, vcc_lo
	s_sub_i32 s27, s26, 28
	s_sub_i32 s26, 29, s26
	s_lshl_b32 s27, s12, s27
	v_add_co_u32 v18, vcc_lo, v12, v10
	s_and_b32 s27, s27, 7
	s_cmp_eq_u32 s28, 0
	v_add_co_ci_u32_e32 v19, vcc_lo, v13, v11, vcc_lo
	s_cselect_b32 s26, s26, s28
	s_cselect_b32 s25, s27, s25
	s_lshl_b32 s12, s12, 24
	s_lshl_b32 s27, s25, 20
	s_lshl_b32 s25, s26, 23
	s_and_b32 s12, s12, 0x80000000
	s_add_i32 s25, s25, 0x3b800000
	v_and_b32_e32 v24, 0xff, v12
	s_or_b32 s12, s12, s25
	s_mov_b32 s25, 0
	s_or_b32 s26, s12, s27
	s_branch .LBB6_2717
.LBB6_2714:                             ;   in Loop: Header=BB6_2717 Depth=2
	s_or_b32 exec_lo, exec_lo, s12
	s_delay_alu instid0(VALU_DEP_1) | instskip(NEXT) | instid1(VALU_DEP_2)
	v_lshrrev_b32_e32 v70, 20, v70
	v_min_i32_e32 v129, 15, v68
	v_cmp_gt_i32_e32 vcc_lo, 16, v68
	v_lshrrev_b32_e32 v13, 24, v13
	s_delay_alu instid0(VALU_DEP_3) | instskip(NEXT) | instid1(VALU_DEP_2)
	v_dual_cndmask_b32 v70, 7, v70 :: v_dual_lshlrev_b32 v129, 3, v129
	v_and_b32_e32 v13, 0x80, v13
	s_delay_alu instid0(VALU_DEP_2) | instskip(NEXT) | instid1(VALU_DEP_3)
	v_and_b32_e32 v129, 0xf8, v129
	v_and_b32_e32 v130, 7, v70
	v_or_b32_e32 v68, v68, v70
	s_delay_alu instid0(VALU_DEP_2) | instskip(NEXT) | instid1(VALU_DEP_2)
	v_or3_b32 v13, v13, v129, v130
	v_cmp_ne_u32_e32 vcc_lo, 0, v68
	s_delay_alu instid0(VALU_DEP_2) | instskip(NEXT) | instid1(VALU_DEP_1)
	v_lshlrev_b32_e32 v13, 8, v13
	v_cndmask_b32_e32 v68, 0, v13, vcc_lo
.LBB6_2715:                             ;   in Loop: Header=BB6_2717 Depth=2
	s_or_b32 exec_lo, exec_lo, s28
.LBB6_2716:                             ;   in Loop: Header=BB6_2717 Depth=2
	s_delay_alu instid0(SALU_CYCLE_1)
	s_or_b32 exec_lo, exec_lo, s27
	v_or_b32_e32 v11, v11, v118
	v_and_b32_e32 v13, 0xff, v117
	v_lshlrev_b32_e32 v69, 8, v69
	v_and_b32_e32 v71, 0xff, v71
	v_lshlrev_b32_e32 v114, 8, v114
	v_or_b32_e32 v66, v68, v66
	v_and_b32_e32 v70, 0xff, v119
	v_lshlrev_b32_e32 v10, 24, v10
	v_lshlrev_b32_e32 v11, 16, v11
	;; [unrolled: 1-line block ×3, first 2 shown]
	v_perm_b32 v25, v69, v25, 0xc0c0500
	v_lshlrev_b32_e32 v12, 24, v12
	v_lshlrev_b32_e32 v68, 16, v71
	v_perm_b32 v69, v114, v116, 0xc0c0500
	v_and_b32_e32 v67, 0xff, v67
	v_lshlrev_b32_e32 v66, 16, v66
	v_add_co_u32 v14, vcc_lo, v14, v99
	v_or3_b32 v11, v128, v70, v11
	v_or3_b32 v10, v10, v13, v25
	;; [unrolled: 1-line block ×4, first 2 shown]
	v_sub_nc_u32_e32 v20, v20, v85
	v_add_co_ci_u32_e32 v15, vcc_lo, v15, v100, vcc_lo
	v_add_co_u32 v16, vcc_lo, v16, v99
	v_add_co_ci_u32_e32 v17, vcc_lo, v17, v100, vcc_lo
	global_store_b128 v[18:19], v[10:13], off glc slc dlc
	v_cmp_gt_i32_e32 vcc_lo, 16, v20
	v_add_co_u32 v18, s12, v18, v99
	s_delay_alu instid0(VALU_DEP_1) | instskip(SKIP_2) | instid1(SALU_CYCLE_1)
	v_add_co_ci_u32_e64 v19, s12, v19, v100, s12
	v_sub_nc_u32_e32 v23, v23, v83
	s_or_b32 s25, vcc_lo, s25
	s_and_not1_b32 exec_lo, exec_lo, s25
	s_cbranch_execz .LBB6_3364
.LBB6_2717:                             ;   Parent Loop BB6_53 Depth=1
                                        ; =>  This Inner Loop Header: Depth=2
	v_cmp_gt_i16_e32 vcc_lo, 0x80, v24
	s_cbranch_vccnz .LBB6_2721
; %bb.2718:                             ;   in Loop: Header=BB6_2717 Depth=2
	v_cmp_eq_u16_e32 vcc_lo, 0x80, v24
	s_mov_b32 s12, -1
                                        ; implicit-def: $sgpr27
	s_cbranch_vccz .LBB6_2720
; %bb.2719:                             ;   in Loop: Header=BB6_2717 Depth=2
	s_mov_b32 s12, 0
	s_mov_b32 s27, 0x7f800001
.LBB6_2720:                             ;   in Loop: Header=BB6_2717 Depth=2
	s_mov_b32 s28, 0
	s_branch .LBB6_2722
.LBB6_2721:                             ;   in Loop: Header=BB6_2717 Depth=2
	s_mov_b32 s28, -1
	s_mov_b32 s12, 0
                                        ; implicit-def: $sgpr27
.LBB6_2722:                             ;   in Loop: Header=BB6_2717 Depth=2
	s_and_b32 vcc_lo, exec_lo, s28
	s_cbranch_vccz .LBB6_2724
; %bb.2723:                             ;   in Loop: Header=BB6_2717 Depth=2
	v_cmp_ne_u16_e64 s12, 0, v24
	s_mov_b32 s27, 0
.LBB6_2724:                             ;   in Loop: Header=BB6_2717 Depth=2
	s_delay_alu instid0(VALU_DEP_1)
	s_and_not1_b32 vcc_lo, exec_lo, s12
	s_cbranch_vccnz .LBB6_2726
; %bb.2725:                             ;   in Loop: Header=BB6_2717 Depth=2
	s_mov_b32 s27, s26
.LBB6_2726:                             ;   in Loop: Header=BB6_2717 Depth=2
	global_load_b128 v[10:13], v[14:15], off slc dlc
	s_mov_b32 s12, 0
	s_mov_b32 s29, exec_lo
                                        ; implicit-def: $sgpr28
	s_waitcnt vmcnt(0)
	v_and_b32_e32 v66, 0xff, v10
	s_delay_alu instid0(VALU_DEP_1)
	v_cmpx_lt_i16_e32 0x7f, v66
	s_xor_b32 s29, exec_lo, s29
	s_cbranch_execnz .LBB6_3172
; %bb.2727:                             ;   in Loop: Header=BB6_2717 Depth=2
	s_or_saveexec_b32 s29, s29
	v_mov_b32_e32 v25, s28
	s_xor_b32 exec_lo, exec_lo, s29
	s_cbranch_execnz .LBB6_3175
.LBB6_2728:                             ;   in Loop: Header=BB6_2717 Depth=2
	s_or_b32 exec_lo, exec_lo, s29
	s_and_saveexec_b32 s28, s12
	s_cbranch_execz .LBB6_2730
.LBB6_2729:                             ;   in Loop: Header=BB6_2717 Depth=2
	v_and_b32_e32 v25, 7, v10
	v_bfe_u32 v68, v10, 3, 4
	v_lshlrev_b32_e32 v69, 24, v10
	s_delay_alu instid0(VALU_DEP_3) | instskip(NEXT) | instid1(VALU_DEP_3)
	v_clz_i32_u32_e32 v66, v25
	v_cmp_eq_u32_e32 vcc_lo, 0, v68
	s_delay_alu instid0(VALU_DEP_2) | instskip(NEXT) | instid1(VALU_DEP_1)
	v_min_u32_e32 v66, 32, v66
	v_subrev_nc_u32_e32 v67, 28, v66
	v_sub_nc_u32_e32 v66, 29, v66
	s_delay_alu instid0(VALU_DEP_2) | instskip(NEXT) | instid1(VALU_DEP_1)
	v_lshlrev_b32_e32 v67, v67, v10
	v_dual_cndmask_b32 v66, v68, v66 :: v_dual_and_b32 v67, 7, v67
	s_delay_alu instid0(VALU_DEP_1) | instskip(NEXT) | instid1(VALU_DEP_2)
	v_lshl_add_u32 v66, v66, 23, 0x3b800000
	v_cndmask_b32_e32 v25, v25, v67, vcc_lo
	v_and_b32_e32 v67, 0x80000000, v69
	s_delay_alu instid0(VALU_DEP_2) | instskip(NEXT) | instid1(VALU_DEP_1)
	v_lshlrev_b32_e32 v25, 20, v25
	v_or3_b32 v25, v67, v66, v25
.LBB6_2730:                             ;   in Loop: Header=BB6_2717 Depth=2
	s_or_b32 exec_lo, exec_lo, s28
	s_delay_alu instid0(VALU_DEP_1) | instskip(NEXT) | instid1(VALU_DEP_1)
	v_mul_f32_e32 v66, s27, v25
	v_and_b32_e32 v25, 0x7f800000, v66
	s_delay_alu instid0(VALU_DEP_1)
	v_cmp_ne_u32_e32 vcc_lo, 0x7f800000, v25
	v_mov_b32_e32 v25, 0x80
	s_and_saveexec_b32 s28, vcc_lo
	s_cbranch_execz .LBB6_2738
; %bb.2731:                             ;   in Loop: Header=BB6_2717 Depth=2
	v_mov_b32_e32 v25, 0
	s_mov_b32 s29, exec_lo
	v_cmpx_ne_u32_e32 0, v66
	s_cbranch_execz .LBB6_2737
; %bb.2732:                             ;   in Loop: Header=BB6_2717 Depth=2
	v_bfe_u32 v25, v66, 23, 8
	s_delay_alu instid0(VALU_DEP_1) | instskip(SKIP_1) | instid1(VALU_DEP_2)
	v_sub_nc_u32_e32 v68, 0x78, v25
	v_cmp_gt_u32_e32 vcc_lo, 0x79, v25
	v_dual_cndmask_b32 v68, 0, v68 :: v_dual_and_b32 v67, 0x7fffff, v66
	s_delay_alu instid0(VALU_DEP_1) | instskip(SKIP_2) | instid1(VALU_DEP_4)
	v_or_b32_e32 v69, 0x800000, v67
	v_cmp_eq_u32_e32 vcc_lo, 0, v25
	v_add_nc_u32_e32 v25, 0xffffff89, v25
	v_cndmask_b32_e64 v68, v68, 0x77, vcc_lo
	s_delay_alu instid0(VALU_DEP_2) | instskip(SKIP_1) | instid1(VALU_DEP_3)
	v_cndmask_b32_e64 v25, v25, 0xffffff8a, vcc_lo
	v_cndmask_b32_e32 v67, v69, v67, vcc_lo
	v_lshl_add_u32 v69, 0x100000, v68, -1
	v_lshlrev_b32_e64 v114, v68, 0x80000
	s_delay_alu instid0(VALU_DEP_3) | instskip(SKIP_1) | instid1(VALU_DEP_4)
	v_lshrrev_b32_e32 v70, v68, v67
	v_add_nc_u32_e32 v68, v68, v25
	v_and_b32_e32 v67, v69, v67
	s_delay_alu instid0(VALU_DEP_3) | instskip(NEXT) | instid1(VALU_DEP_2)
	v_bfe_u32 v71, v70, 20, 1
	v_cmp_eq_u32_e64 s12, v67, v114
	s_delay_alu instid0(VALU_DEP_2) | instskip(NEXT) | instid1(VALU_DEP_1)
	v_add_nc_u32_e32 v69, -1, v71
	v_cndmask_b32_e64 v67, 0, v69, s12
	v_lshrrev_b32_e32 v69, 23, v70
	s_mov_b32 s12, exec_lo
	s_delay_alu instid0(VALU_DEP_2) | instskip(NEXT) | instid1(VALU_DEP_2)
	v_add_nc_u32_e32 v67, v67, v70
	v_xor_b32_e32 v69, 1, v69
	s_delay_alu instid0(VALU_DEP_2) | instskip(NEXT) | instid1(VALU_DEP_1)
	v_and_b32_e32 v25, 0xfffff, v67
	v_add_nc_u32_e32 v67, v25, v70
                                        ; implicit-def: $vgpr25
	s_delay_alu instid0(VALU_DEP_3)
	v_cmpx_ne_u32_e64 v68, v69
	s_xor_b32 s12, exec_lo, s12
; %bb.2733:                             ;   in Loop: Header=BB6_2717 Depth=2
	s_delay_alu instid0(VALU_DEP_2) | instskip(SKIP_2) | instid1(VALU_DEP_2)
	v_cmp_lt_u32_e32 vcc_lo, 0xffffff, v67
	v_sub_nc_u32_e32 v25, v68, v69
	v_cndmask_b32_e64 v68, 0, 1, vcc_lo
	v_add_co_ci_u32_e32 v25, vcc_lo, 0, v25, vcc_lo
	s_delay_alu instid0(VALU_DEP_2)
	v_lshrrev_b32_e32 v67, v68, v67
; %bb.2734:                             ;   in Loop: Header=BB6_2717 Depth=2
	s_and_not1_saveexec_b32 s12, s12
; %bb.2735:                             ;   in Loop: Header=BB6_2717 Depth=2
	s_delay_alu instid0(VALU_DEP_1)
	v_bfe_u32 v25, v67, 23, 1
; %bb.2736:                             ;   in Loop: Header=BB6_2717 Depth=2
	s_or_b32 exec_lo, exec_lo, s12
	v_lshrrev_b32_e32 v67, 20, v67
	s_delay_alu instid0(VALU_DEP_2) | instskip(SKIP_2) | instid1(VALU_DEP_2)
	v_cmp_gt_i32_e32 vcc_lo, 16, v25
	v_lshrrev_b32_e32 v66, 24, v66
	v_min_i32_e32 v68, 15, v25
	v_dual_cndmask_b32 v67, 7, v67 :: v_dual_and_b32 v66, 0x80, v66
	s_delay_alu instid0(VALU_DEP_1) | instskip(SKIP_1) | instid1(VALU_DEP_2)
	v_or_b32_e32 v25, v25, v67
	v_and_b32_e32 v69, 7, v67
	v_cmp_ne_u32_e32 vcc_lo, 0, v25
	v_lshlrev_b32_e32 v68, 3, v68
	s_delay_alu instid0(VALU_DEP_1) | instskip(NEXT) | instid1(VALU_DEP_1)
	v_or3_b32 v66, v68, v66, v69
	v_cndmask_b32_e32 v25, 0, v66, vcc_lo
.LBB6_2737:                             ;   in Loop: Header=BB6_2717 Depth=2
	s_or_b32 exec_lo, exec_lo, s29
.LBB6_2738:                             ;   in Loop: Header=BB6_2717 Depth=2
	s_delay_alu instid0(SALU_CYCLE_1) | instskip(SKIP_3) | instid1(VALU_DEP_1)
	s_or_b32 exec_lo, exec_lo, s28
	v_lshrrev_b16 v66, 8, v10
	s_mov_b32 s12, 0
	s_mov_b32 s29, exec_lo
                                        ; implicit-def: $sgpr28
	v_cmpx_lt_i16_e32 0x7f, v66
	s_xor_b32 s29, exec_lo, s29
	s_cbranch_execnz .LBB6_3176
; %bb.2739:                             ;   in Loop: Header=BB6_2717 Depth=2
	s_or_saveexec_b32 s29, s29
	v_mov_b32_e32 v67, s28
	s_xor_b32 exec_lo, exec_lo, s29
	s_cbranch_execnz .LBB6_3179
.LBB6_2740:                             ;   in Loop: Header=BB6_2717 Depth=2
	s_or_b32 exec_lo, exec_lo, s29
	s_and_saveexec_b32 s28, s12
	s_cbranch_execz .LBB6_2742
.LBB6_2741:                             ;   in Loop: Header=BB6_2717 Depth=2
	v_and_b32_e32 v67, 0xffff, v66
	v_lshlrev_b32_e32 v66, 24, v66
	s_delay_alu instid0(VALU_DEP_2) | instskip(NEXT) | instid1(VALU_DEP_2)
	v_and_b32_e32 v68, 7, v67
	v_and_b32_e32 v66, 0x80000000, v66
	s_delay_alu instid0(VALU_DEP_2) | instskip(NEXT) | instid1(VALU_DEP_1)
	v_clz_i32_u32_e32 v69, v68
	v_min_u32_e32 v69, 32, v69
	s_delay_alu instid0(VALU_DEP_1) | instskip(SKIP_1) | instid1(VALU_DEP_2)
	v_subrev_nc_u32_e32 v70, 28, v69
	v_sub_nc_u32_e32 v69, 29, v69
	v_lshlrev_b32_e32 v70, v70, v67
	v_bfe_u32 v67, v67, 3, 4
	s_delay_alu instid0(VALU_DEP_2) | instskip(NEXT) | instid1(VALU_DEP_2)
	v_and_b32_e32 v70, 7, v70
	v_cmp_eq_u32_e32 vcc_lo, 0, v67
	s_delay_alu instid0(VALU_DEP_2) | instskip(NEXT) | instid1(VALU_DEP_1)
	v_dual_cndmask_b32 v67, v67, v69 :: v_dual_cndmask_b32 v68, v68, v70
	v_lshl_add_u32 v67, v67, 23, 0x3b800000
	s_delay_alu instid0(VALU_DEP_2) | instskip(NEXT) | instid1(VALU_DEP_1)
	v_lshlrev_b32_e32 v68, 20, v68
	v_or3_b32 v67, v66, v67, v68
.LBB6_2742:                             ;   in Loop: Header=BB6_2717 Depth=2
	s_or_b32 exec_lo, exec_lo, s28
	s_delay_alu instid0(VALU_DEP_1) | instskip(SKIP_1) | instid1(VALU_DEP_1)
	v_dual_mul_f32 v66, s27, v67 :: v_dual_mov_b32 v69, 0x80
	s_mov_b32 s28, exec_lo
	v_and_b32_e32 v67, 0x7f800000, v66
	s_delay_alu instid0(VALU_DEP_1)
	v_cmpx_ne_u32_e32 0x7f800000, v67
	s_cbranch_execz .LBB6_2750
; %bb.2743:                             ;   in Loop: Header=BB6_2717 Depth=2
	v_mov_b32_e32 v69, 0
	s_mov_b32 s29, exec_lo
	v_cmpx_ne_u32_e32 0, v66
	s_cbranch_execz .LBB6_2749
; %bb.2744:                             ;   in Loop: Header=BB6_2717 Depth=2
	v_bfe_u32 v67, v66, 23, 8
	s_delay_alu instid0(VALU_DEP_1) | instskip(SKIP_1) | instid1(VALU_DEP_2)
	v_sub_nc_u32_e32 v69, 0x78, v67
	v_cmp_gt_u32_e32 vcc_lo, 0x79, v67
	v_dual_cndmask_b32 v69, 0, v69 :: v_dual_and_b32 v68, 0x7fffff, v66
	s_delay_alu instid0(VALU_DEP_1) | instskip(SKIP_2) | instid1(VALU_DEP_4)
	v_or_b32_e32 v70, 0x800000, v68
	v_cmp_eq_u32_e32 vcc_lo, 0, v67
	v_add_nc_u32_e32 v67, 0xffffff89, v67
	v_cndmask_b32_e64 v69, v69, 0x77, vcc_lo
	s_delay_alu instid0(VALU_DEP_4) | instskip(NEXT) | instid1(VALU_DEP_3)
	v_cndmask_b32_e32 v68, v70, v68, vcc_lo
	v_cndmask_b32_e64 v67, v67, 0xffffff8a, vcc_lo
	s_delay_alu instid0(VALU_DEP_3) | instskip(NEXT) | instid1(VALU_DEP_3)
	v_lshl_add_u32 v70, 0x100000, v69, -1
	v_lshrrev_b32_e32 v71, v69, v68
	v_lshlrev_b32_e64 v115, v69, 0x80000
	s_delay_alu instid0(VALU_DEP_4) | instskip(NEXT) | instid1(VALU_DEP_4)
	v_add_nc_u32_e32 v69, v69, v67
	v_and_b32_e32 v68, v70, v68
	s_delay_alu instid0(VALU_DEP_4) | instskip(NEXT) | instid1(VALU_DEP_2)
	v_bfe_u32 v114, v71, 20, 1
	v_cmp_eq_u32_e64 s12, v68, v115
	s_delay_alu instid0(VALU_DEP_2) | instskip(NEXT) | instid1(VALU_DEP_1)
	v_add_nc_u32_e32 v70, -1, v114
	v_cndmask_b32_e64 v68, 0, v70, s12
	v_lshrrev_b32_e32 v70, 23, v71
	s_mov_b32 s12, exec_lo
	s_delay_alu instid0(VALU_DEP_2) | instskip(NEXT) | instid1(VALU_DEP_2)
	v_add_nc_u32_e32 v68, v68, v71
	v_xor_b32_e32 v70, 1, v70
	s_delay_alu instid0(VALU_DEP_2) | instskip(NEXT) | instid1(VALU_DEP_1)
	v_and_b32_e32 v67, 0xfffff, v68
	v_add_nc_u32_e32 v68, v67, v71
                                        ; implicit-def: $vgpr67
	s_delay_alu instid0(VALU_DEP_3)
	v_cmpx_ne_u32_e64 v69, v70
	s_xor_b32 s12, exec_lo, s12
; %bb.2745:                             ;   in Loop: Header=BB6_2717 Depth=2
	s_delay_alu instid0(VALU_DEP_2) | instskip(SKIP_2) | instid1(VALU_DEP_2)
	v_cmp_lt_u32_e32 vcc_lo, 0xffffff, v68
	v_sub_nc_u32_e32 v67, v69, v70
	v_cndmask_b32_e64 v69, 0, 1, vcc_lo
	v_add_co_ci_u32_e32 v67, vcc_lo, 0, v67, vcc_lo
	s_delay_alu instid0(VALU_DEP_2)
	v_lshrrev_b32_e32 v68, v69, v68
; %bb.2746:                             ;   in Loop: Header=BB6_2717 Depth=2
	s_and_not1_saveexec_b32 s12, s12
; %bb.2747:                             ;   in Loop: Header=BB6_2717 Depth=2
	s_delay_alu instid0(VALU_DEP_1)
	v_bfe_u32 v67, v68, 23, 1
; %bb.2748:                             ;   in Loop: Header=BB6_2717 Depth=2
	s_or_b32 exec_lo, exec_lo, s12
	v_lshrrev_b32_e32 v68, 20, v68
	s_delay_alu instid0(VALU_DEP_2) | instskip(SKIP_2) | instid1(VALU_DEP_2)
	v_cmp_gt_i32_e32 vcc_lo, 16, v67
	v_min_i32_e32 v69, 15, v67
	v_lshrrev_b32_e32 v66, 24, v66
	v_dual_cndmask_b32 v68, 7, v68 :: v_dual_lshlrev_b32 v69, 3, v69
	s_delay_alu instid0(VALU_DEP_2) | instskip(NEXT) | instid1(VALU_DEP_2)
	v_and_b32_e32 v66, 0x80, v66
	v_or_b32_e32 v67, v67, v68
	s_delay_alu instid0(VALU_DEP_1) | instskip(SKIP_1) | instid1(VALU_DEP_1)
	v_cmp_ne_u32_e32 vcc_lo, 0, v67
	v_and_b32_e32 v70, 7, v68
	v_or3_b32 v66, v69, v66, v70
	s_delay_alu instid0(VALU_DEP_1)
	v_cndmask_b32_e32 v69, 0, v66, vcc_lo
.LBB6_2749:                             ;   in Loop: Header=BB6_2717 Depth=2
	s_or_b32 exec_lo, exec_lo, s29
.LBB6_2750:                             ;   in Loop: Header=BB6_2717 Depth=2
	s_delay_alu instid0(SALU_CYCLE_1) | instskip(SKIP_3) | instid1(VALU_DEP_1)
	s_or_b32 exec_lo, exec_lo, s28
	v_lshrrev_b32_e32 v66, 16, v10
	s_mov_b32 s12, 0
	s_mov_b32 s29, exec_lo
                                        ; implicit-def: $sgpr28
	v_and_b32_e32 v68, 0xff, v66
	s_delay_alu instid0(VALU_DEP_1)
	v_cmpx_lt_i16_e32 0x7f, v68
	s_xor_b32 s29, exec_lo, s29
	s_cbranch_execnz .LBB6_3180
; %bb.2751:                             ;   in Loop: Header=BB6_2717 Depth=2
	s_or_saveexec_b32 s29, s29
	v_mov_b32_e32 v67, s28
	s_xor_b32 exec_lo, exec_lo, s29
	s_cbranch_execnz .LBB6_3183
.LBB6_2752:                             ;   in Loop: Header=BB6_2717 Depth=2
	s_or_b32 exec_lo, exec_lo, s29
	s_and_saveexec_b32 s28, s12
	s_cbranch_execz .LBB6_2754
.LBB6_2753:                             ;   in Loop: Header=BB6_2717 Depth=2
	v_bfe_u32 v67, v10, 16, 3
	s_delay_alu instid0(VALU_DEP_1) | instskip(NEXT) | instid1(VALU_DEP_1)
	v_clz_i32_u32_e32 v68, v67
	v_min_u32_e32 v68, 32, v68
	s_delay_alu instid0(VALU_DEP_1) | instskip(SKIP_1) | instid1(VALU_DEP_2)
	v_subrev_nc_u32_e32 v70, 28, v68
	v_sub_nc_u32_e32 v68, 29, v68
	v_lshlrev_b32_e32 v66, v70, v66
	v_bfe_u32 v70, v10, 19, 4
	s_delay_alu instid0(VALU_DEP_2) | instskip(NEXT) | instid1(VALU_DEP_2)
	v_and_b32_e32 v66, 7, v66
	v_cmp_eq_u32_e32 vcc_lo, 0, v70
	v_dual_cndmask_b32 v68, v70, v68 :: v_dual_lshlrev_b32 v71, 8, v10
	s_delay_alu instid0(VALU_DEP_1) | instskip(NEXT) | instid1(VALU_DEP_2)
	v_dual_cndmask_b32 v66, v67, v66 :: v_dual_and_b32 v67, 0x80000000, v71
	v_lshl_add_u32 v68, v68, 23, 0x3b800000
	s_delay_alu instid0(VALU_DEP_2) | instskip(NEXT) | instid1(VALU_DEP_1)
	v_lshlrev_b32_e32 v66, 20, v66
	v_or3_b32 v67, v67, v68, v66
.LBB6_2754:                             ;   in Loop: Header=BB6_2717 Depth=2
	s_or_b32 exec_lo, exec_lo, s28
	s_delay_alu instid0(VALU_DEP_1) | instskip(SKIP_1) | instid1(VALU_DEP_1)
	v_dual_mul_f32 v66, s27, v67 :: v_dual_mov_b32 v117, 0x80
	s_mov_b32 s28, exec_lo
	v_and_b32_e32 v67, 0x7f800000, v66
	s_delay_alu instid0(VALU_DEP_1)
	v_cmpx_ne_u32_e32 0x7f800000, v67
	s_cbranch_execz .LBB6_2762
; %bb.2755:                             ;   in Loop: Header=BB6_2717 Depth=2
	v_mov_b32_e32 v117, 0
	s_mov_b32 s29, exec_lo
	v_cmpx_ne_u32_e32 0, v66
	s_cbranch_execz .LBB6_2761
; %bb.2756:                             ;   in Loop: Header=BB6_2717 Depth=2
	v_bfe_u32 v67, v66, 23, 8
	v_and_b32_e32 v68, 0x7fffff, v66
	s_delay_alu instid0(VALU_DEP_2) | instskip(SKIP_1) | instid1(VALU_DEP_3)
	v_sub_nc_u32_e32 v70, 0x78, v67
	v_cmp_gt_u32_e32 vcc_lo, 0x79, v67
	v_or_b32_e32 v71, 0x800000, v68
	s_delay_alu instid0(VALU_DEP_3) | instskip(SKIP_2) | instid1(VALU_DEP_3)
	v_cndmask_b32_e32 v70, 0, v70, vcc_lo
	v_cmp_eq_u32_e32 vcc_lo, 0, v67
	v_add_nc_u32_e32 v67, 0xffffff89, v67
	v_cndmask_b32_e64 v70, v70, 0x77, vcc_lo
	v_cndmask_b32_e32 v68, v71, v68, vcc_lo
	s_delay_alu instid0(VALU_DEP_3) | instskip(NEXT) | instid1(VALU_DEP_3)
	v_cndmask_b32_e64 v67, v67, 0xffffff8a, vcc_lo
	v_lshl_add_u32 v71, 0x100000, v70, -1
	s_delay_alu instid0(VALU_DEP_3) | instskip(SKIP_1) | instid1(VALU_DEP_4)
	v_lshrrev_b32_e32 v114, v70, v68
	v_lshlrev_b32_e64 v116, v70, 0x80000
	v_add_nc_u32_e32 v70, v70, v67
	s_delay_alu instid0(VALU_DEP_4) | instskip(NEXT) | instid1(VALU_DEP_4)
	v_and_b32_e32 v68, v71, v68
	v_bfe_u32 v115, v114, 20, 1
	s_delay_alu instid0(VALU_DEP_2) | instskip(NEXT) | instid1(VALU_DEP_2)
	v_cmp_eq_u32_e64 s12, v68, v116
	v_add_nc_u32_e32 v71, -1, v115
	s_delay_alu instid0(VALU_DEP_1) | instskip(SKIP_2) | instid1(VALU_DEP_2)
	v_cndmask_b32_e64 v68, 0, v71, s12
	v_lshrrev_b32_e32 v71, 23, v114
	s_mov_b32 s12, exec_lo
	v_add_nc_u32_e32 v68, v68, v114
	s_delay_alu instid0(VALU_DEP_2) | instskip(NEXT) | instid1(VALU_DEP_2)
	v_xor_b32_e32 v71, 1, v71
	v_and_b32_e32 v67, 0xfffff, v68
	s_delay_alu instid0(VALU_DEP_1) | instskip(NEXT) | instid1(VALU_DEP_3)
	v_add_nc_u32_e32 v68, v67, v114
                                        ; implicit-def: $vgpr67
	v_cmpx_ne_u32_e64 v70, v71
	s_xor_b32 s12, exec_lo, s12
; %bb.2757:                             ;   in Loop: Header=BB6_2717 Depth=2
	s_delay_alu instid0(VALU_DEP_2) | instskip(SKIP_2) | instid1(VALU_DEP_2)
	v_cmp_lt_u32_e32 vcc_lo, 0xffffff, v68
	v_sub_nc_u32_e32 v67, v70, v71
	v_cndmask_b32_e64 v70, 0, 1, vcc_lo
	v_add_co_ci_u32_e32 v67, vcc_lo, 0, v67, vcc_lo
	s_delay_alu instid0(VALU_DEP_2)
	v_lshrrev_b32_e32 v68, v70, v68
; %bb.2758:                             ;   in Loop: Header=BB6_2717 Depth=2
	s_and_not1_saveexec_b32 s12, s12
; %bb.2759:                             ;   in Loop: Header=BB6_2717 Depth=2
	s_delay_alu instid0(VALU_DEP_1)
	v_bfe_u32 v67, v68, 23, 1
; %bb.2760:                             ;   in Loop: Header=BB6_2717 Depth=2
	s_or_b32 exec_lo, exec_lo, s12
	v_lshrrev_b32_e32 v68, 20, v68
	s_delay_alu instid0(VALU_DEP_2) | instskip(SKIP_2) | instid1(VALU_DEP_4)
	v_cmp_gt_i32_e32 vcc_lo, 16, v67
	v_lshrrev_b32_e32 v66, 24, v66
	v_min_i32_e32 v70, 15, v67
	v_cndmask_b32_e32 v68, 7, v68, vcc_lo
	s_delay_alu instid0(VALU_DEP_3) | instskip(NEXT) | instid1(VALU_DEP_3)
	v_and_b32_e32 v66, 0x80, v66
	v_lshlrev_b32_e32 v70, 3, v70
	s_delay_alu instid0(VALU_DEP_3) | instskip(SKIP_1) | instid1(VALU_DEP_2)
	v_and_b32_e32 v71, 7, v68
	v_or_b32_e32 v67, v67, v68
	v_or3_b32 v66, v70, v66, v71
	s_delay_alu instid0(VALU_DEP_2) | instskip(NEXT) | instid1(VALU_DEP_2)
	v_cmp_ne_u32_e32 vcc_lo, 0, v67
	v_cndmask_b32_e32 v117, 0, v66, vcc_lo
.LBB6_2761:                             ;   in Loop: Header=BB6_2717 Depth=2
	s_or_b32 exec_lo, exec_lo, s29
.LBB6_2762:                             ;   in Loop: Header=BB6_2717 Depth=2
	s_delay_alu instid0(SALU_CYCLE_1) | instskip(SKIP_3) | instid1(VALU_DEP_1)
	s_or_b32 exec_lo, exec_lo, s28
	v_lshrrev_b32_e32 v66, 24, v10
	s_mov_b32 s12, 0
	s_mov_b32 s29, exec_lo
                                        ; implicit-def: $sgpr28
	v_cmpx_lt_i16_e32 0x7f, v66
	s_xor_b32 s29, exec_lo, s29
	s_cbranch_execnz .LBB6_3184
; %bb.2763:                             ;   in Loop: Header=BB6_2717 Depth=2
	s_or_saveexec_b32 s29, s29
	v_mov_b32_e32 v67, s28
	s_xor_b32 exec_lo, exec_lo, s29
	s_cbranch_execnz .LBB6_3187
.LBB6_2764:                             ;   in Loop: Header=BB6_2717 Depth=2
	s_or_b32 exec_lo, exec_lo, s29
	s_and_saveexec_b32 s28, s12
	s_cbranch_execz .LBB6_2766
.LBB6_2765:                             ;   in Loop: Header=BB6_2717 Depth=2
	v_bfe_u32 v67, v10, 24, 3
	s_delay_alu instid0(VALU_DEP_1) | instskip(NEXT) | instid1(VALU_DEP_1)
	v_clz_i32_u32_e32 v68, v67
	v_min_u32_e32 v68, 32, v68
	s_delay_alu instid0(VALU_DEP_1) | instskip(SKIP_1) | instid1(VALU_DEP_2)
	v_subrev_nc_u32_e32 v70, 28, v68
	v_sub_nc_u32_e32 v68, 29, v68
	v_lshlrev_b32_e32 v66, v70, v66
	v_bfe_u32 v70, v10, 27, 4
	v_and_b32_e32 v10, 0x80000000, v10
	s_delay_alu instid0(VALU_DEP_3) | instskip(NEXT) | instid1(VALU_DEP_3)
	v_and_b32_e32 v66, 7, v66
	v_cmp_eq_u32_e32 vcc_lo, 0, v70
	v_cndmask_b32_e32 v68, v70, v68, vcc_lo
	s_delay_alu instid0(VALU_DEP_3) | instskip(NEXT) | instid1(VALU_DEP_2)
	v_cndmask_b32_e32 v66, v67, v66, vcc_lo
	v_lshl_add_u32 v67, v68, 23, 0x3b800000
	s_delay_alu instid0(VALU_DEP_2) | instskip(NEXT) | instid1(VALU_DEP_1)
	v_lshlrev_b32_e32 v66, 20, v66
	v_or3_b32 v67, v10, v67, v66
.LBB6_2766:                             ;   in Loop: Header=BB6_2717 Depth=2
	s_or_b32 exec_lo, exec_lo, s28
	s_delay_alu instid0(VALU_DEP_1) | instskip(SKIP_2) | instid1(VALU_DEP_2)
	v_mul_f32_e32 v10, s27, v67
	v_mov_b32_e32 v128, 0x80
	s_mov_b32 s28, exec_lo
	v_and_b32_e32 v66, 0x7f800000, v10
	s_delay_alu instid0(VALU_DEP_1)
	v_cmpx_ne_u32_e32 0x7f800000, v66
	s_cbranch_execz .LBB6_2774
; %bb.2767:                             ;   in Loop: Header=BB6_2717 Depth=2
	v_mov_b32_e32 v128, 0
	s_mov_b32 s29, exec_lo
	v_cmpx_ne_u32_e32 0, v10
	s_cbranch_execz .LBB6_2773
; %bb.2768:                             ;   in Loop: Header=BB6_2717 Depth=2
	v_bfe_u32 v66, v10, 23, 8
	s_delay_alu instid0(VALU_DEP_1) | instskip(SKIP_1) | instid1(VALU_DEP_2)
	v_sub_nc_u32_e32 v68, 0x78, v66
	v_cmp_gt_u32_e32 vcc_lo, 0x79, v66
	v_dual_cndmask_b32 v68, 0, v68 :: v_dual_and_b32 v67, 0x7fffff, v10
	s_delay_alu instid0(VALU_DEP_1) | instskip(SKIP_2) | instid1(VALU_DEP_4)
	v_or_b32_e32 v70, 0x800000, v67
	v_cmp_eq_u32_e32 vcc_lo, 0, v66
	v_add_nc_u32_e32 v66, 0xffffff89, v66
	v_cndmask_b32_e64 v68, v68, 0x77, vcc_lo
	s_delay_alu instid0(VALU_DEP_4) | instskip(NEXT) | instid1(VALU_DEP_3)
	v_cndmask_b32_e32 v67, v70, v67, vcc_lo
	v_cndmask_b32_e64 v66, v66, 0xffffff8a, vcc_lo
	s_delay_alu instid0(VALU_DEP_3) | instskip(NEXT) | instid1(VALU_DEP_3)
	v_lshl_add_u32 v70, 0x100000, v68, -1
	v_lshrrev_b32_e32 v71, v68, v67
	v_lshlrev_b32_e64 v115, v68, 0x80000
	s_delay_alu instid0(VALU_DEP_4) | instskip(NEXT) | instid1(VALU_DEP_4)
	v_add_nc_u32_e32 v68, v68, v66
	v_and_b32_e32 v67, v70, v67
	s_delay_alu instid0(VALU_DEP_4) | instskip(NEXT) | instid1(VALU_DEP_2)
	v_bfe_u32 v114, v71, 20, 1
	v_cmp_eq_u32_e64 s12, v67, v115
	s_delay_alu instid0(VALU_DEP_2) | instskip(NEXT) | instid1(VALU_DEP_1)
	v_add_nc_u32_e32 v70, -1, v114
	v_cndmask_b32_e64 v67, 0, v70, s12
	v_lshrrev_b32_e32 v70, 23, v71
	s_mov_b32 s12, exec_lo
	s_delay_alu instid0(VALU_DEP_2) | instskip(NEXT) | instid1(VALU_DEP_2)
	v_add_nc_u32_e32 v67, v67, v71
	v_xor_b32_e32 v70, 1, v70
	s_delay_alu instid0(VALU_DEP_2) | instskip(NEXT) | instid1(VALU_DEP_1)
	v_and_b32_e32 v66, 0xfffff, v67
	v_add_nc_u32_e32 v67, v66, v71
                                        ; implicit-def: $vgpr66
	s_delay_alu instid0(VALU_DEP_3)
	v_cmpx_ne_u32_e64 v68, v70
	s_xor_b32 s12, exec_lo, s12
; %bb.2769:                             ;   in Loop: Header=BB6_2717 Depth=2
	s_delay_alu instid0(VALU_DEP_2) | instskip(SKIP_2) | instid1(VALU_DEP_2)
	v_cmp_lt_u32_e32 vcc_lo, 0xffffff, v67
	v_sub_nc_u32_e32 v66, v68, v70
	v_cndmask_b32_e64 v68, 0, 1, vcc_lo
	v_add_co_ci_u32_e32 v66, vcc_lo, 0, v66, vcc_lo
	s_delay_alu instid0(VALU_DEP_2)
	v_lshrrev_b32_e32 v67, v68, v67
; %bb.2770:                             ;   in Loop: Header=BB6_2717 Depth=2
	s_and_not1_saveexec_b32 s12, s12
; %bb.2771:                             ;   in Loop: Header=BB6_2717 Depth=2
	s_delay_alu instid0(VALU_DEP_1)
	v_bfe_u32 v66, v67, 23, 1
; %bb.2772:                             ;   in Loop: Header=BB6_2717 Depth=2
	s_or_b32 exec_lo, exec_lo, s12
	v_lshrrev_b32_e32 v67, 20, v67
	s_delay_alu instid0(VALU_DEP_2) | instskip(SKIP_2) | instid1(VALU_DEP_2)
	v_cmp_gt_i32_e32 vcc_lo, 16, v66
	v_lshrrev_b32_e32 v10, 24, v10
	v_min_i32_e32 v68, 15, v66
	v_dual_cndmask_b32 v67, 7, v67 :: v_dual_and_b32 v10, 0x80, v10
	s_delay_alu instid0(VALU_DEP_2) | instskip(NEXT) | instid1(VALU_DEP_2)
	v_lshlrev_b32_e32 v68, 3, v68
	v_and_b32_e32 v70, 7, v67
	v_or_b32_e32 v66, v66, v67
	s_delay_alu instid0(VALU_DEP_2) | instskip(NEXT) | instid1(VALU_DEP_2)
	v_or3_b32 v10, v68, v10, v70
	v_cmp_ne_u32_e32 vcc_lo, 0, v66
	s_delay_alu instid0(VALU_DEP_2)
	v_cndmask_b32_e32 v128, 0, v10, vcc_lo
.LBB6_2773:                             ;   in Loop: Header=BB6_2717 Depth=2
	s_or_b32 exec_lo, exec_lo, s29
.LBB6_2774:                             ;   in Loop: Header=BB6_2717 Depth=2
	s_delay_alu instid0(SALU_CYCLE_1) | instskip(SKIP_3) | instid1(VALU_DEP_1)
	s_or_b32 exec_lo, exec_lo, s28
	v_and_b32_e32 v66, 0xff, v11
	s_mov_b32 s12, 0
	s_mov_b32 s29, exec_lo
                                        ; implicit-def: $sgpr28
	v_cmpx_lt_i16_e32 0x7f, v66
	s_xor_b32 s29, exec_lo, s29
	s_cbranch_execnz .LBB6_3188
; %bb.2775:                             ;   in Loop: Header=BB6_2717 Depth=2
	s_or_saveexec_b32 s29, s29
	v_mov_b32_e32 v10, s28
	s_xor_b32 exec_lo, exec_lo, s29
	s_cbranch_execnz .LBB6_3191
.LBB6_2776:                             ;   in Loop: Header=BB6_2717 Depth=2
	s_or_b32 exec_lo, exec_lo, s29
	s_and_saveexec_b32 s28, s12
	s_cbranch_execz .LBB6_2778
.LBB6_2777:                             ;   in Loop: Header=BB6_2717 Depth=2
	v_and_b32_e32 v10, 7, v11
	v_bfe_u32 v68, v11, 3, 4
	v_lshlrev_b32_e32 v70, 24, v11
	s_delay_alu instid0(VALU_DEP_3) | instskip(NEXT) | instid1(VALU_DEP_3)
	v_clz_i32_u32_e32 v66, v10
	v_cmp_eq_u32_e32 vcc_lo, 0, v68
	s_delay_alu instid0(VALU_DEP_2) | instskip(NEXT) | instid1(VALU_DEP_1)
	v_min_u32_e32 v66, 32, v66
	v_subrev_nc_u32_e32 v67, 28, v66
	v_sub_nc_u32_e32 v66, 29, v66
	s_delay_alu instid0(VALU_DEP_1) | instskip(NEXT) | instid1(VALU_DEP_1)
	v_dual_cndmask_b32 v66, v68, v66 :: v_dual_lshlrev_b32 v67, v67, v11
	v_and_b32_e32 v67, 7, v67
	s_delay_alu instid0(VALU_DEP_2) | instskip(NEXT) | instid1(VALU_DEP_2)
	v_lshl_add_u32 v66, v66, 23, 0x3b800000
	v_dual_cndmask_b32 v10, v10, v67 :: v_dual_and_b32 v67, 0x80000000, v70
	s_delay_alu instid0(VALU_DEP_1) | instskip(NEXT) | instid1(VALU_DEP_1)
	v_lshlrev_b32_e32 v10, 20, v10
	v_or3_b32 v10, v67, v66, v10
.LBB6_2778:                             ;   in Loop: Header=BB6_2717 Depth=2
	s_or_b32 exec_lo, exec_lo, s28
	s_delay_alu instid0(VALU_DEP_1) | instskip(SKIP_1) | instid1(VALU_DEP_1)
	v_dual_mul_f32 v10, s27, v10 :: v_dual_mov_b32 v119, 0x80
	s_mov_b32 s28, exec_lo
	v_and_b32_e32 v66, 0x7f800000, v10
	s_delay_alu instid0(VALU_DEP_1)
	v_cmpx_ne_u32_e32 0x7f800000, v66
	s_cbranch_execz .LBB6_2786
; %bb.2779:                             ;   in Loop: Header=BB6_2717 Depth=2
	v_mov_b32_e32 v119, 0
	s_mov_b32 s29, exec_lo
	v_cmpx_ne_u32_e32 0, v10
	s_cbranch_execz .LBB6_2785
; %bb.2780:                             ;   in Loop: Header=BB6_2717 Depth=2
	v_bfe_u32 v66, v10, 23, 8
	s_delay_alu instid0(VALU_DEP_1) | instskip(SKIP_1) | instid1(VALU_DEP_2)
	v_sub_nc_u32_e32 v68, 0x78, v66
	v_cmp_gt_u32_e32 vcc_lo, 0x79, v66
	v_dual_cndmask_b32 v68, 0, v68 :: v_dual_and_b32 v67, 0x7fffff, v10
	s_delay_alu instid0(VALU_DEP_1) | instskip(SKIP_2) | instid1(VALU_DEP_4)
	v_or_b32_e32 v70, 0x800000, v67
	v_cmp_eq_u32_e32 vcc_lo, 0, v66
	v_add_nc_u32_e32 v66, 0xffffff89, v66
	v_cndmask_b32_e64 v68, v68, 0x77, vcc_lo
	s_delay_alu instid0(VALU_DEP_4) | instskip(NEXT) | instid1(VALU_DEP_3)
	v_cndmask_b32_e32 v67, v70, v67, vcc_lo
	v_cndmask_b32_e64 v66, v66, 0xffffff8a, vcc_lo
	s_delay_alu instid0(VALU_DEP_3) | instskip(NEXT) | instid1(VALU_DEP_3)
	v_lshl_add_u32 v70, 0x100000, v68, -1
	v_lshrrev_b32_e32 v71, v68, v67
	v_lshlrev_b32_e64 v115, v68, 0x80000
	s_delay_alu instid0(VALU_DEP_4) | instskip(NEXT) | instid1(VALU_DEP_4)
	v_add_nc_u32_e32 v68, v68, v66
	v_and_b32_e32 v67, v70, v67
	s_delay_alu instid0(VALU_DEP_4) | instskip(NEXT) | instid1(VALU_DEP_2)
	v_bfe_u32 v114, v71, 20, 1
	v_cmp_eq_u32_e64 s12, v67, v115
	s_delay_alu instid0(VALU_DEP_2) | instskip(NEXT) | instid1(VALU_DEP_1)
	v_add_nc_u32_e32 v70, -1, v114
	v_cndmask_b32_e64 v67, 0, v70, s12
	v_lshrrev_b32_e32 v70, 23, v71
	s_mov_b32 s12, exec_lo
	s_delay_alu instid0(VALU_DEP_2) | instskip(NEXT) | instid1(VALU_DEP_2)
	v_add_nc_u32_e32 v67, v67, v71
	v_xor_b32_e32 v70, 1, v70
	s_delay_alu instid0(VALU_DEP_2) | instskip(NEXT) | instid1(VALU_DEP_1)
	v_and_b32_e32 v66, 0xfffff, v67
	v_add_nc_u32_e32 v67, v66, v71
                                        ; implicit-def: $vgpr66
	s_delay_alu instid0(VALU_DEP_3)
	v_cmpx_ne_u32_e64 v68, v70
	s_xor_b32 s12, exec_lo, s12
; %bb.2781:                             ;   in Loop: Header=BB6_2717 Depth=2
	s_delay_alu instid0(VALU_DEP_2) | instskip(SKIP_2) | instid1(VALU_DEP_2)
	v_cmp_lt_u32_e32 vcc_lo, 0xffffff, v67
	v_sub_nc_u32_e32 v66, v68, v70
	v_cndmask_b32_e64 v68, 0, 1, vcc_lo
	v_add_co_ci_u32_e32 v66, vcc_lo, 0, v66, vcc_lo
	s_delay_alu instid0(VALU_DEP_2)
	v_lshrrev_b32_e32 v67, v68, v67
; %bb.2782:                             ;   in Loop: Header=BB6_2717 Depth=2
	s_and_not1_saveexec_b32 s12, s12
; %bb.2783:                             ;   in Loop: Header=BB6_2717 Depth=2
	s_delay_alu instid0(VALU_DEP_1)
	v_bfe_u32 v66, v67, 23, 1
; %bb.2784:                             ;   in Loop: Header=BB6_2717 Depth=2
	s_or_b32 exec_lo, exec_lo, s12
	v_lshrrev_b32_e32 v67, 20, v67
	s_delay_alu instid0(VALU_DEP_2) | instskip(SKIP_2) | instid1(VALU_DEP_2)
	v_cmp_gt_i32_e32 vcc_lo, 16, v66
	v_min_i32_e32 v68, 15, v66
	v_lshrrev_b32_e32 v10, 24, v10
	v_dual_cndmask_b32 v67, 7, v67 :: v_dual_lshlrev_b32 v68, 3, v68
	s_delay_alu instid0(VALU_DEP_2) | instskip(NEXT) | instid1(VALU_DEP_2)
	v_and_b32_e32 v10, 0x80, v10
	v_or_b32_e32 v66, v66, v67
	s_delay_alu instid0(VALU_DEP_3) | instskip(NEXT) | instid1(VALU_DEP_2)
	v_and_b32_e32 v68, 0xf8, v68
	v_cmp_ne_u32_e32 vcc_lo, 0, v66
	v_and_b32_e32 v70, 7, v67
	s_delay_alu instid0(VALU_DEP_1) | instskip(NEXT) | instid1(VALU_DEP_1)
	v_or3_b32 v10, v68, v10, v70
	v_cndmask_b32_e32 v119, 0, v10, vcc_lo
.LBB6_2785:                             ;   in Loop: Header=BB6_2717 Depth=2
	s_or_b32 exec_lo, exec_lo, s29
.LBB6_2786:                             ;   in Loop: Header=BB6_2717 Depth=2
	s_delay_alu instid0(SALU_CYCLE_1) | instskip(SKIP_3) | instid1(VALU_DEP_1)
	s_or_b32 exec_lo, exec_lo, s28
	v_lshrrev_b16 v10, 8, v11
	s_mov_b32 s12, 0
	s_mov_b32 s29, exec_lo
                                        ; implicit-def: $sgpr28
	v_cmpx_lt_i16_e32 0x7f, v10
	s_xor_b32 s29, exec_lo, s29
	s_cbranch_execnz .LBB6_3192
; %bb.2787:                             ;   in Loop: Header=BB6_2717 Depth=2
	s_or_saveexec_b32 s29, s29
	v_mov_b32_e32 v66, s28
	s_xor_b32 exec_lo, exec_lo, s29
	s_cbranch_execnz .LBB6_3195
.LBB6_2788:                             ;   in Loop: Header=BB6_2717 Depth=2
	s_or_b32 exec_lo, exec_lo, s29
	s_and_saveexec_b32 s28, s12
	s_cbranch_execz .LBB6_2790
.LBB6_2789:                             ;   in Loop: Header=BB6_2717 Depth=2
	v_and_b32_e32 v66, 0xffff, v10
	v_lshlrev_b32_e32 v10, 24, v10
	s_delay_alu instid0(VALU_DEP_2) | instskip(NEXT) | instid1(VALU_DEP_2)
	v_and_b32_e32 v67, 7, v66
	v_and_b32_e32 v10, 0x80000000, v10
	s_delay_alu instid0(VALU_DEP_2) | instskip(NEXT) | instid1(VALU_DEP_1)
	v_clz_i32_u32_e32 v68, v67
	v_min_u32_e32 v68, 32, v68
	s_delay_alu instid0(VALU_DEP_1) | instskip(SKIP_1) | instid1(VALU_DEP_2)
	v_subrev_nc_u32_e32 v70, 28, v68
	v_sub_nc_u32_e32 v68, 29, v68
	v_lshlrev_b32_e32 v70, v70, v66
	v_bfe_u32 v66, v66, 3, 4
	s_delay_alu instid0(VALU_DEP_2) | instskip(NEXT) | instid1(VALU_DEP_2)
	v_and_b32_e32 v70, 7, v70
	v_cmp_eq_u32_e32 vcc_lo, 0, v66
	s_delay_alu instid0(VALU_DEP_2) | instskip(NEXT) | instid1(VALU_DEP_1)
	v_dual_cndmask_b32 v66, v66, v68 :: v_dual_cndmask_b32 v67, v67, v70
	v_lshl_add_u32 v66, v66, 23, 0x3b800000
	s_delay_alu instid0(VALU_DEP_2) | instskip(NEXT) | instid1(VALU_DEP_1)
	v_lshlrev_b32_e32 v67, 20, v67
	v_or3_b32 v66, v10, v66, v67
.LBB6_2790:                             ;   in Loop: Header=BB6_2717 Depth=2
	s_or_b32 exec_lo, exec_lo, s28
	s_delay_alu instid0(VALU_DEP_1) | instskip(SKIP_2) | instid1(VALU_DEP_2)
	v_mul_f32_e32 v10, s27, v66
	v_mov_b32_e32 v130, 0x8000
	s_mov_b32 s28, exec_lo
	v_and_b32_e32 v66, 0x7f800000, v10
	s_delay_alu instid0(VALU_DEP_1)
	v_cmpx_ne_u32_e32 0x7f800000, v66
	s_cbranch_execz .LBB6_2798
; %bb.2791:                             ;   in Loop: Header=BB6_2717 Depth=2
	v_mov_b32_e32 v130, 0
	s_mov_b32 s29, exec_lo
	v_cmpx_ne_u32_e32 0, v10
	s_cbranch_execz .LBB6_2797
; %bb.2792:                             ;   in Loop: Header=BB6_2717 Depth=2
	v_bfe_u32 v66, v10, 23, 8
	s_delay_alu instid0(VALU_DEP_1) | instskip(SKIP_1) | instid1(VALU_DEP_2)
	v_sub_nc_u32_e32 v68, 0x78, v66
	v_cmp_gt_u32_e32 vcc_lo, 0x79, v66
	v_dual_cndmask_b32 v68, 0, v68 :: v_dual_and_b32 v67, 0x7fffff, v10
	s_delay_alu instid0(VALU_DEP_1) | instskip(SKIP_2) | instid1(VALU_DEP_4)
	v_or_b32_e32 v70, 0x800000, v67
	v_cmp_eq_u32_e32 vcc_lo, 0, v66
	v_add_nc_u32_e32 v66, 0xffffff89, v66
	v_cndmask_b32_e64 v68, v68, 0x77, vcc_lo
	s_delay_alu instid0(VALU_DEP_4) | instskip(NEXT) | instid1(VALU_DEP_3)
	v_cndmask_b32_e32 v67, v70, v67, vcc_lo
	v_cndmask_b32_e64 v66, v66, 0xffffff8a, vcc_lo
	s_delay_alu instid0(VALU_DEP_3) | instskip(NEXT) | instid1(VALU_DEP_3)
	v_lshl_add_u32 v70, 0x100000, v68, -1
	v_lshrrev_b32_e32 v71, v68, v67
	v_lshlrev_b32_e64 v115, v68, 0x80000
	s_delay_alu instid0(VALU_DEP_4) | instskip(NEXT) | instid1(VALU_DEP_4)
	v_add_nc_u32_e32 v68, v68, v66
	v_and_b32_e32 v67, v70, v67
	s_delay_alu instid0(VALU_DEP_4) | instskip(NEXT) | instid1(VALU_DEP_2)
	v_bfe_u32 v114, v71, 20, 1
	v_cmp_eq_u32_e64 s12, v67, v115
	s_delay_alu instid0(VALU_DEP_2) | instskip(NEXT) | instid1(VALU_DEP_1)
	v_add_nc_u32_e32 v70, -1, v114
	v_cndmask_b32_e64 v67, 0, v70, s12
	v_lshrrev_b32_e32 v70, 23, v71
	s_mov_b32 s12, exec_lo
	s_delay_alu instid0(VALU_DEP_2) | instskip(NEXT) | instid1(VALU_DEP_2)
	v_add_nc_u32_e32 v67, v67, v71
	v_xor_b32_e32 v70, 1, v70
	s_delay_alu instid0(VALU_DEP_2) | instskip(NEXT) | instid1(VALU_DEP_1)
	v_and_b32_e32 v66, 0xfffff, v67
	v_add_nc_u32_e32 v67, v66, v71
                                        ; implicit-def: $vgpr66
	s_delay_alu instid0(VALU_DEP_3)
	v_cmpx_ne_u32_e64 v68, v70
	s_xor_b32 s12, exec_lo, s12
; %bb.2793:                             ;   in Loop: Header=BB6_2717 Depth=2
	s_delay_alu instid0(VALU_DEP_2) | instskip(SKIP_2) | instid1(VALU_DEP_2)
	v_cmp_lt_u32_e32 vcc_lo, 0xffffff, v67
	v_sub_nc_u32_e32 v66, v68, v70
	v_cndmask_b32_e64 v68, 0, 1, vcc_lo
	v_add_co_ci_u32_e32 v66, vcc_lo, 0, v66, vcc_lo
	s_delay_alu instid0(VALU_DEP_2)
	v_lshrrev_b32_e32 v67, v68, v67
; %bb.2794:                             ;   in Loop: Header=BB6_2717 Depth=2
	s_and_not1_saveexec_b32 s12, s12
; %bb.2795:                             ;   in Loop: Header=BB6_2717 Depth=2
	s_delay_alu instid0(VALU_DEP_1)
	v_bfe_u32 v66, v67, 23, 1
; %bb.2796:                             ;   in Loop: Header=BB6_2717 Depth=2
	s_or_b32 exec_lo, exec_lo, s12
	v_lshrrev_b32_e32 v67, 20, v67
	s_delay_alu instid0(VALU_DEP_2) | instskip(SKIP_2) | instid1(VALU_DEP_3)
	v_min_i32_e32 v68, 15, v66
	v_cmp_gt_i32_e32 vcc_lo, 16, v66
	v_lshrrev_b32_e32 v10, 24, v10
	v_dual_cndmask_b32 v67, 7, v67 :: v_dual_lshlrev_b32 v68, 3, v68
	s_delay_alu instid0(VALU_DEP_2) | instskip(NEXT) | instid1(VALU_DEP_2)
	v_and_b32_e32 v10, 0x80, v10
	v_and_b32_e32 v68, 0xf8, v68
	s_delay_alu instid0(VALU_DEP_3) | instskip(SKIP_1) | instid1(VALU_DEP_2)
	v_and_b32_e32 v70, 7, v67
	v_or_b32_e32 v66, v66, v67
	v_or3_b32 v10, v10, v68, v70
	s_delay_alu instid0(VALU_DEP_2) | instskip(NEXT) | instid1(VALU_DEP_2)
	v_cmp_ne_u32_e32 vcc_lo, 0, v66
	v_lshlrev_b32_e32 v10, 8, v10
	s_delay_alu instid0(VALU_DEP_1)
	v_cndmask_b32_e32 v130, 0, v10, vcc_lo
.LBB6_2797:                             ;   in Loop: Header=BB6_2717 Depth=2
	s_or_b32 exec_lo, exec_lo, s29
.LBB6_2798:                             ;   in Loop: Header=BB6_2717 Depth=2
	s_delay_alu instid0(SALU_CYCLE_1) | instskip(SKIP_3) | instid1(VALU_DEP_1)
	s_or_b32 exec_lo, exec_lo, s28
	v_lshrrev_b32_e32 v10, 16, v11
	s_mov_b32 s12, 0
	s_mov_b32 s29, exec_lo
                                        ; implicit-def: $sgpr28
	v_and_b32_e32 v67, 0xff, v10
	s_delay_alu instid0(VALU_DEP_1)
	v_cmpx_lt_i16_e32 0x7f, v67
	s_xor_b32 s29, exec_lo, s29
	s_cbranch_execnz .LBB6_3196
; %bb.2799:                             ;   in Loop: Header=BB6_2717 Depth=2
	s_or_saveexec_b32 s29, s29
	v_mov_b32_e32 v66, s28
	s_xor_b32 exec_lo, exec_lo, s29
	s_cbranch_execnz .LBB6_3199
.LBB6_2800:                             ;   in Loop: Header=BB6_2717 Depth=2
	s_or_b32 exec_lo, exec_lo, s29
	s_and_saveexec_b32 s28, s12
	s_cbranch_execz .LBB6_2802
.LBB6_2801:                             ;   in Loop: Header=BB6_2717 Depth=2
	v_bfe_u32 v66, v11, 16, 3
	v_lshlrev_b32_e32 v70, 8, v11
	s_delay_alu instid0(VALU_DEP_2) | instskip(NEXT) | instid1(VALU_DEP_1)
	v_clz_i32_u32_e32 v67, v66
	v_min_u32_e32 v67, 32, v67
	s_delay_alu instid0(VALU_DEP_1) | instskip(SKIP_1) | instid1(VALU_DEP_2)
	v_subrev_nc_u32_e32 v68, 28, v67
	v_sub_nc_u32_e32 v67, 29, v67
	v_lshlrev_b32_e32 v10, v68, v10
	v_bfe_u32 v68, v11, 19, 4
	s_delay_alu instid0(VALU_DEP_1) | instskip(NEXT) | instid1(VALU_DEP_3)
	v_cmp_eq_u32_e32 vcc_lo, 0, v68
	v_dual_cndmask_b32 v67, v68, v67 :: v_dual_and_b32 v10, 7, v10
	s_delay_alu instid0(VALU_DEP_1) | instskip(SKIP_1) | instid1(VALU_DEP_3)
	v_cndmask_b32_e32 v10, v66, v10, vcc_lo
	v_and_b32_e32 v66, 0x80000000, v70
	v_lshl_add_u32 v67, v67, 23, 0x3b800000
	s_delay_alu instid0(VALU_DEP_3) | instskip(NEXT) | instid1(VALU_DEP_1)
	v_lshlrev_b32_e32 v10, 20, v10
	v_or3_b32 v66, v66, v67, v10
.LBB6_2802:                             ;   in Loop: Header=BB6_2717 Depth=2
	s_or_b32 exec_lo, exec_lo, s28
	s_delay_alu instid0(VALU_DEP_1) | instskip(SKIP_2) | instid1(VALU_DEP_2)
	v_mul_f32_e32 v10, s27, v66
	v_mov_b32_e32 v118, 0x80
	s_mov_b32 s28, exec_lo
	v_and_b32_e32 v66, 0x7f800000, v10
	s_delay_alu instid0(VALU_DEP_1)
	v_cmpx_ne_u32_e32 0x7f800000, v66
	s_cbranch_execz .LBB6_2810
; %bb.2803:                             ;   in Loop: Header=BB6_2717 Depth=2
	v_mov_b32_e32 v118, 0
	s_mov_b32 s29, exec_lo
	v_cmpx_ne_u32_e32 0, v10
	s_cbranch_execz .LBB6_2809
; %bb.2804:                             ;   in Loop: Header=BB6_2717 Depth=2
	v_bfe_u32 v66, v10, 23, 8
	s_delay_alu instid0(VALU_DEP_1) | instskip(SKIP_1) | instid1(VALU_DEP_2)
	v_sub_nc_u32_e32 v68, 0x78, v66
	v_cmp_gt_u32_e32 vcc_lo, 0x79, v66
	v_dual_cndmask_b32 v68, 0, v68 :: v_dual_and_b32 v67, 0x7fffff, v10
	s_delay_alu instid0(VALU_DEP_1) | instskip(SKIP_2) | instid1(VALU_DEP_4)
	v_or_b32_e32 v70, 0x800000, v67
	v_cmp_eq_u32_e32 vcc_lo, 0, v66
	v_add_nc_u32_e32 v66, 0xffffff89, v66
	v_cndmask_b32_e64 v68, v68, 0x77, vcc_lo
	s_delay_alu instid0(VALU_DEP_4) | instskip(NEXT) | instid1(VALU_DEP_3)
	v_cndmask_b32_e32 v67, v70, v67, vcc_lo
	v_cndmask_b32_e64 v66, v66, 0xffffff8a, vcc_lo
	s_delay_alu instid0(VALU_DEP_3) | instskip(NEXT) | instid1(VALU_DEP_3)
	v_lshl_add_u32 v70, 0x100000, v68, -1
	v_lshrrev_b32_e32 v71, v68, v67
	v_lshlrev_b32_e64 v115, v68, 0x80000
	s_delay_alu instid0(VALU_DEP_4) | instskip(NEXT) | instid1(VALU_DEP_4)
	v_add_nc_u32_e32 v68, v68, v66
	v_and_b32_e32 v67, v70, v67
	s_delay_alu instid0(VALU_DEP_4) | instskip(NEXT) | instid1(VALU_DEP_2)
	v_bfe_u32 v114, v71, 20, 1
	v_cmp_eq_u32_e64 s12, v67, v115
	s_delay_alu instid0(VALU_DEP_2) | instskip(NEXT) | instid1(VALU_DEP_1)
	v_add_nc_u32_e32 v70, -1, v114
	v_cndmask_b32_e64 v67, 0, v70, s12
	v_lshrrev_b32_e32 v70, 23, v71
	s_mov_b32 s12, exec_lo
	s_delay_alu instid0(VALU_DEP_2) | instskip(NEXT) | instid1(VALU_DEP_2)
	v_add_nc_u32_e32 v67, v67, v71
	v_xor_b32_e32 v70, 1, v70
	s_delay_alu instid0(VALU_DEP_2) | instskip(NEXT) | instid1(VALU_DEP_1)
	v_and_b32_e32 v66, 0xfffff, v67
	v_add_nc_u32_e32 v67, v66, v71
                                        ; implicit-def: $vgpr66
	s_delay_alu instid0(VALU_DEP_3)
	v_cmpx_ne_u32_e64 v68, v70
	s_xor_b32 s12, exec_lo, s12
; %bb.2805:                             ;   in Loop: Header=BB6_2717 Depth=2
	s_delay_alu instid0(VALU_DEP_2) | instskip(SKIP_2) | instid1(VALU_DEP_2)
	v_cmp_lt_u32_e32 vcc_lo, 0xffffff, v67
	v_sub_nc_u32_e32 v66, v68, v70
	v_cndmask_b32_e64 v68, 0, 1, vcc_lo
	v_add_co_ci_u32_e32 v66, vcc_lo, 0, v66, vcc_lo
	s_delay_alu instid0(VALU_DEP_2)
	v_lshrrev_b32_e32 v67, v68, v67
; %bb.2806:                             ;   in Loop: Header=BB6_2717 Depth=2
	s_and_not1_saveexec_b32 s12, s12
; %bb.2807:                             ;   in Loop: Header=BB6_2717 Depth=2
	s_delay_alu instid0(VALU_DEP_1)
	v_bfe_u32 v66, v67, 23, 1
; %bb.2808:                             ;   in Loop: Header=BB6_2717 Depth=2
	s_or_b32 exec_lo, exec_lo, s12
	v_lshrrev_b32_e32 v67, 20, v67
	s_delay_alu instid0(VALU_DEP_2) | instskip(SKIP_2) | instid1(VALU_DEP_3)
	v_min_i32_e32 v68, 15, v66
	v_cmp_gt_i32_e32 vcc_lo, 16, v66
	v_lshrrev_b32_e32 v10, 24, v10
	v_dual_cndmask_b32 v67, 7, v67 :: v_dual_lshlrev_b32 v68, 3, v68
	s_delay_alu instid0(VALU_DEP_2) | instskip(NEXT) | instid1(VALU_DEP_2)
	v_and_b32_e32 v10, 0x80, v10
	v_and_b32_e32 v68, 0xf8, v68
	s_delay_alu instid0(VALU_DEP_3) | instskip(SKIP_1) | instid1(VALU_DEP_2)
	v_and_b32_e32 v70, 7, v67
	v_or_b32_e32 v66, v66, v67
	v_or3_b32 v10, v68, v10, v70
	s_delay_alu instid0(VALU_DEP_2) | instskip(NEXT) | instid1(VALU_DEP_2)
	v_cmp_ne_u32_e32 vcc_lo, 0, v66
	v_cndmask_b32_e32 v118, 0, v10, vcc_lo
.LBB6_2809:                             ;   in Loop: Header=BB6_2717 Depth=2
	s_or_b32 exec_lo, exec_lo, s29
.LBB6_2810:                             ;   in Loop: Header=BB6_2717 Depth=2
	s_delay_alu instid0(SALU_CYCLE_1) | instskip(SKIP_3) | instid1(VALU_DEP_1)
	s_or_b32 exec_lo, exec_lo, s28
	v_lshrrev_b32_e32 v10, 24, v11
	s_mov_b32 s12, 0
	s_mov_b32 s29, exec_lo
                                        ; implicit-def: $sgpr28
	v_cmpx_lt_i16_e32 0x7f, v10
	s_xor_b32 s29, exec_lo, s29
	s_cbranch_execnz .LBB6_3200
; %bb.2811:                             ;   in Loop: Header=BB6_2717 Depth=2
	s_or_saveexec_b32 s29, s29
	v_mov_b32_e32 v66, s28
	s_xor_b32 exec_lo, exec_lo, s29
	s_cbranch_execnz .LBB6_3203
.LBB6_2812:                             ;   in Loop: Header=BB6_2717 Depth=2
	s_or_b32 exec_lo, exec_lo, s29
	s_and_saveexec_b32 s28, s12
	s_cbranch_execz .LBB6_2814
.LBB6_2813:                             ;   in Loop: Header=BB6_2717 Depth=2
	v_bfe_u32 v66, v11, 24, 3
	s_delay_alu instid0(VALU_DEP_1) | instskip(NEXT) | instid1(VALU_DEP_1)
	v_clz_i32_u32_e32 v67, v66
	v_min_u32_e32 v67, 32, v67
	s_delay_alu instid0(VALU_DEP_1) | instskip(SKIP_1) | instid1(VALU_DEP_2)
	v_subrev_nc_u32_e32 v68, 28, v67
	v_sub_nc_u32_e32 v67, 29, v67
	v_lshlrev_b32_e32 v10, v68, v10
	v_bfe_u32 v68, v11, 27, 4
	v_and_b32_e32 v11, 0x80000000, v11
	s_delay_alu instid0(VALU_DEP_2) | instskip(NEXT) | instid1(VALU_DEP_4)
	v_cmp_eq_u32_e32 vcc_lo, 0, v68
	v_dual_cndmask_b32 v67, v68, v67 :: v_dual_and_b32 v10, 7, v10
	s_delay_alu instid0(VALU_DEP_1) | instskip(NEXT) | instid1(VALU_DEP_2)
	v_cndmask_b32_e32 v10, v66, v10, vcc_lo
	v_lshl_add_u32 v66, v67, 23, 0x3b800000
	s_delay_alu instid0(VALU_DEP_2) | instskip(NEXT) | instid1(VALU_DEP_1)
	v_lshlrev_b32_e32 v10, 20, v10
	v_or3_b32 v66, v11, v66, v10
.LBB6_2814:                             ;   in Loop: Header=BB6_2717 Depth=2
	s_or_b32 exec_lo, exec_lo, s28
	s_delay_alu instid0(VALU_DEP_1) | instskip(SKIP_1) | instid1(VALU_DEP_1)
	v_dual_mul_f32 v10, s27, v66 :: v_dual_mov_b32 v129, 0x8000
	s_mov_b32 s28, exec_lo
	v_and_b32_e32 v11, 0x7f800000, v10
	s_delay_alu instid0(VALU_DEP_1)
	v_cmpx_ne_u32_e32 0x7f800000, v11
	s_cbranch_execz .LBB6_2822
; %bb.2815:                             ;   in Loop: Header=BB6_2717 Depth=2
	v_mov_b32_e32 v129, 0
	s_mov_b32 s29, exec_lo
	v_cmpx_ne_u32_e32 0, v10
	s_cbranch_execz .LBB6_2821
; %bb.2816:                             ;   in Loop: Header=BB6_2717 Depth=2
	v_bfe_u32 v11, v10, 23, 8
	s_delay_alu instid0(VALU_DEP_1) | instskip(SKIP_1) | instid1(VALU_DEP_2)
	v_sub_nc_u32_e32 v67, 0x78, v11
	v_cmp_gt_u32_e32 vcc_lo, 0x79, v11
	v_dual_cndmask_b32 v67, 0, v67 :: v_dual_and_b32 v66, 0x7fffff, v10
	s_delay_alu instid0(VALU_DEP_1) | instskip(SKIP_2) | instid1(VALU_DEP_4)
	v_or_b32_e32 v68, 0x800000, v66
	v_cmp_eq_u32_e32 vcc_lo, 0, v11
	v_add_nc_u32_e32 v11, 0xffffff89, v11
	v_cndmask_b32_e64 v67, v67, 0x77, vcc_lo
	s_delay_alu instid0(VALU_DEP_4) | instskip(NEXT) | instid1(VALU_DEP_3)
	v_cndmask_b32_e32 v66, v68, v66, vcc_lo
	v_cndmask_b32_e64 v11, v11, 0xffffff8a, vcc_lo
	s_delay_alu instid0(VALU_DEP_3) | instskip(NEXT) | instid1(VALU_DEP_3)
	v_lshl_add_u32 v68, 0x100000, v67, -1
	v_lshrrev_b32_e32 v70, v67, v66
	v_lshlrev_b32_e64 v114, v67, 0x80000
	s_delay_alu instid0(VALU_DEP_4) | instskip(NEXT) | instid1(VALU_DEP_4)
	v_add_nc_u32_e32 v67, v67, v11
	v_and_b32_e32 v66, v68, v66
	s_delay_alu instid0(VALU_DEP_4) | instskip(NEXT) | instid1(VALU_DEP_2)
	v_bfe_u32 v71, v70, 20, 1
	v_cmp_eq_u32_e64 s12, v66, v114
	s_delay_alu instid0(VALU_DEP_2) | instskip(NEXT) | instid1(VALU_DEP_1)
	v_add_nc_u32_e32 v68, -1, v71
	v_cndmask_b32_e64 v66, 0, v68, s12
	v_lshrrev_b32_e32 v68, 23, v70
	s_mov_b32 s12, exec_lo
	s_delay_alu instid0(VALU_DEP_2) | instskip(NEXT) | instid1(VALU_DEP_2)
	v_add_nc_u32_e32 v66, v66, v70
	v_xor_b32_e32 v68, 1, v68
	s_delay_alu instid0(VALU_DEP_2) | instskip(NEXT) | instid1(VALU_DEP_1)
	v_and_b32_e32 v11, 0xfffff, v66
	v_add_nc_u32_e32 v66, v11, v70
                                        ; implicit-def: $vgpr11
	s_delay_alu instid0(VALU_DEP_3)
	v_cmpx_ne_u32_e64 v67, v68
	s_xor_b32 s12, exec_lo, s12
; %bb.2817:                             ;   in Loop: Header=BB6_2717 Depth=2
	s_delay_alu instid0(VALU_DEP_2) | instskip(SKIP_2) | instid1(VALU_DEP_2)
	v_cmp_lt_u32_e32 vcc_lo, 0xffffff, v66
	v_sub_nc_u32_e32 v11, v67, v68
	v_cndmask_b32_e64 v67, 0, 1, vcc_lo
	v_add_co_ci_u32_e32 v11, vcc_lo, 0, v11, vcc_lo
	s_delay_alu instid0(VALU_DEP_2)
	v_lshrrev_b32_e32 v66, v67, v66
; %bb.2818:                             ;   in Loop: Header=BB6_2717 Depth=2
	s_and_not1_saveexec_b32 s12, s12
; %bb.2819:                             ;   in Loop: Header=BB6_2717 Depth=2
	s_delay_alu instid0(VALU_DEP_1)
	v_bfe_u32 v11, v66, 23, 1
; %bb.2820:                             ;   in Loop: Header=BB6_2717 Depth=2
	s_or_b32 exec_lo, exec_lo, s12
	v_lshrrev_b32_e32 v66, 20, v66
	s_delay_alu instid0(VALU_DEP_2) | instskip(SKIP_2) | instid1(VALU_DEP_3)
	v_min_i32_e32 v67, 15, v11
	v_cmp_gt_i32_e32 vcc_lo, 16, v11
	v_lshrrev_b32_e32 v10, 24, v10
	v_dual_cndmask_b32 v66, 7, v66 :: v_dual_lshlrev_b32 v67, 3, v67
	s_delay_alu instid0(VALU_DEP_2) | instskip(NEXT) | instid1(VALU_DEP_2)
	v_and_b32_e32 v10, 0x80, v10
	v_and_b32_e32 v67, 0xf8, v67
	s_delay_alu instid0(VALU_DEP_3) | instskip(SKIP_1) | instid1(VALU_DEP_2)
	v_and_b32_e32 v68, 7, v66
	v_or_b32_e32 v11, v11, v66
	v_or3_b32 v10, v10, v67, v68
	s_delay_alu instid0(VALU_DEP_2) | instskip(NEXT) | instid1(VALU_DEP_2)
	v_cmp_ne_u32_e32 vcc_lo, 0, v11
	v_lshlrev_b32_e32 v10, 8, v10
	s_delay_alu instid0(VALU_DEP_1)
	v_cndmask_b32_e32 v129, 0, v10, vcc_lo
.LBB6_2821:                             ;   in Loop: Header=BB6_2717 Depth=2
	s_or_b32 exec_lo, exec_lo, s29
.LBB6_2822:                             ;   in Loop: Header=BB6_2717 Depth=2
	s_delay_alu instid0(SALU_CYCLE_1) | instskip(SKIP_3) | instid1(VALU_DEP_1)
	s_or_b32 exec_lo, exec_lo, s28
	v_and_b32_e32 v11, 0xff, v12
	s_mov_b32 s12, 0
	s_mov_b32 s29, exec_lo
                                        ; implicit-def: $sgpr28
	v_cmpx_lt_i16_e32 0x7f, v11
	s_xor_b32 s29, exec_lo, s29
	s_cbranch_execnz .LBB6_3204
; %bb.2823:                             ;   in Loop: Header=BB6_2717 Depth=2
	s_or_saveexec_b32 s29, s29
	v_mov_b32_e32 v10, s28
	s_xor_b32 exec_lo, exec_lo, s29
	s_cbranch_execnz .LBB6_3207
.LBB6_2824:                             ;   in Loop: Header=BB6_2717 Depth=2
	s_or_b32 exec_lo, exec_lo, s29
	s_and_saveexec_b32 s28, s12
	s_cbranch_execz .LBB6_2826
.LBB6_2825:                             ;   in Loop: Header=BB6_2717 Depth=2
	v_bfe_u32 v67, v12, 3, 4
	v_lshlrev_b32_e32 v68, 24, v12
	s_delay_alu instid0(VALU_DEP_2) | instskip(SKIP_1) | instid1(VALU_DEP_1)
	v_cmp_eq_u32_e32 vcc_lo, 0, v67
	v_and_b32_e32 v10, 7, v12
	v_clz_i32_u32_e32 v11, v10
	s_delay_alu instid0(VALU_DEP_1) | instskip(NEXT) | instid1(VALU_DEP_1)
	v_min_u32_e32 v11, 32, v11
	v_subrev_nc_u32_e32 v66, 28, v11
	v_sub_nc_u32_e32 v11, 29, v11
	s_delay_alu instid0(VALU_DEP_1) | instskip(NEXT) | instid1(VALU_DEP_1)
	v_dual_cndmask_b32 v11, v67, v11 :: v_dual_lshlrev_b32 v66, v66, v12
	v_and_b32_e32 v66, 7, v66
	s_delay_alu instid0(VALU_DEP_2) | instskip(NEXT) | instid1(VALU_DEP_2)
	v_lshl_add_u32 v11, v11, 23, 0x3b800000
	v_cndmask_b32_e32 v10, v10, v66, vcc_lo
	v_and_b32_e32 v66, 0x80000000, v68
	s_delay_alu instid0(VALU_DEP_2) | instskip(NEXT) | instid1(VALU_DEP_1)
	v_lshlrev_b32_e32 v10, 20, v10
	v_or3_b32 v10, v66, v11, v10
.LBB6_2826:                             ;   in Loop: Header=BB6_2717 Depth=2
	s_or_b32 exec_lo, exec_lo, s28
	s_delay_alu instid0(VALU_DEP_1) | instskip(SKIP_2) | instid1(VALU_DEP_2)
	v_mul_f32_e32 v10, s27, v10
	v_mov_b32_e32 v116, 0x80
	s_mov_b32 s28, exec_lo
	v_and_b32_e32 v11, 0x7f800000, v10
	s_delay_alu instid0(VALU_DEP_1)
	v_cmpx_ne_u32_e32 0x7f800000, v11
	s_cbranch_execz .LBB6_2834
; %bb.2827:                             ;   in Loop: Header=BB6_2717 Depth=2
	v_mov_b32_e32 v116, 0
	s_mov_b32 s29, exec_lo
	v_cmpx_ne_u32_e32 0, v10
	s_cbranch_execz .LBB6_2833
; %bb.2828:                             ;   in Loop: Header=BB6_2717 Depth=2
	v_bfe_u32 v11, v10, 23, 8
	s_delay_alu instid0(VALU_DEP_1) | instskip(SKIP_1) | instid1(VALU_DEP_2)
	v_sub_nc_u32_e32 v67, 0x78, v11
	v_cmp_gt_u32_e32 vcc_lo, 0x79, v11
	v_dual_cndmask_b32 v67, 0, v67 :: v_dual_and_b32 v66, 0x7fffff, v10
	s_delay_alu instid0(VALU_DEP_1) | instskip(SKIP_2) | instid1(VALU_DEP_4)
	v_or_b32_e32 v68, 0x800000, v66
	v_cmp_eq_u32_e32 vcc_lo, 0, v11
	v_add_nc_u32_e32 v11, 0xffffff89, v11
	v_cndmask_b32_e64 v67, v67, 0x77, vcc_lo
	s_delay_alu instid0(VALU_DEP_4) | instskip(NEXT) | instid1(VALU_DEP_3)
	v_cndmask_b32_e32 v66, v68, v66, vcc_lo
	v_cndmask_b32_e64 v11, v11, 0xffffff8a, vcc_lo
	s_delay_alu instid0(VALU_DEP_3) | instskip(NEXT) | instid1(VALU_DEP_3)
	v_lshl_add_u32 v68, 0x100000, v67, -1
	v_lshrrev_b32_e32 v70, v67, v66
	v_lshlrev_b32_e64 v114, v67, 0x80000
	s_delay_alu instid0(VALU_DEP_4) | instskip(NEXT) | instid1(VALU_DEP_4)
	v_add_nc_u32_e32 v67, v67, v11
	v_and_b32_e32 v66, v68, v66
	s_delay_alu instid0(VALU_DEP_4) | instskip(NEXT) | instid1(VALU_DEP_2)
	v_bfe_u32 v71, v70, 20, 1
	v_cmp_eq_u32_e64 s12, v66, v114
	s_delay_alu instid0(VALU_DEP_2) | instskip(NEXT) | instid1(VALU_DEP_1)
	v_add_nc_u32_e32 v68, -1, v71
	v_cndmask_b32_e64 v66, 0, v68, s12
	v_lshrrev_b32_e32 v68, 23, v70
	s_mov_b32 s12, exec_lo
	s_delay_alu instid0(VALU_DEP_2) | instskip(NEXT) | instid1(VALU_DEP_2)
	v_add_nc_u32_e32 v66, v66, v70
	v_xor_b32_e32 v68, 1, v68
	s_delay_alu instid0(VALU_DEP_2) | instskip(NEXT) | instid1(VALU_DEP_1)
	v_and_b32_e32 v11, 0xfffff, v66
	v_add_nc_u32_e32 v66, v11, v70
                                        ; implicit-def: $vgpr11
	s_delay_alu instid0(VALU_DEP_3)
	v_cmpx_ne_u32_e64 v67, v68
	s_xor_b32 s12, exec_lo, s12
; %bb.2829:                             ;   in Loop: Header=BB6_2717 Depth=2
	s_delay_alu instid0(VALU_DEP_2) | instskip(SKIP_2) | instid1(VALU_DEP_2)
	v_cmp_lt_u32_e32 vcc_lo, 0xffffff, v66
	v_sub_nc_u32_e32 v11, v67, v68
	v_cndmask_b32_e64 v67, 0, 1, vcc_lo
	v_add_co_ci_u32_e32 v11, vcc_lo, 0, v11, vcc_lo
	s_delay_alu instid0(VALU_DEP_2)
	v_lshrrev_b32_e32 v66, v67, v66
; %bb.2830:                             ;   in Loop: Header=BB6_2717 Depth=2
	s_and_not1_saveexec_b32 s12, s12
; %bb.2831:                             ;   in Loop: Header=BB6_2717 Depth=2
	s_delay_alu instid0(VALU_DEP_1)
	v_bfe_u32 v11, v66, 23, 1
; %bb.2832:                             ;   in Loop: Header=BB6_2717 Depth=2
	s_or_b32 exec_lo, exec_lo, s12
	v_lshrrev_b32_e32 v66, 20, v66
	s_delay_alu instid0(VALU_DEP_2) | instskip(SKIP_2) | instid1(VALU_DEP_4)
	v_cmp_gt_i32_e32 vcc_lo, 16, v11
	v_lshrrev_b32_e32 v10, 24, v10
	v_min_i32_e32 v67, 15, v11
	v_cndmask_b32_e32 v66, 7, v66, vcc_lo
	s_delay_alu instid0(VALU_DEP_3) | instskip(NEXT) | instid1(VALU_DEP_3)
	v_and_b32_e32 v10, 0x80, v10
	v_lshlrev_b32_e32 v67, 3, v67
	s_delay_alu instid0(VALU_DEP_3) | instskip(SKIP_1) | instid1(VALU_DEP_2)
	v_and_b32_e32 v68, 7, v66
	v_or_b32_e32 v11, v11, v66
	v_or3_b32 v10, v67, v10, v68
	s_delay_alu instid0(VALU_DEP_2) | instskip(NEXT) | instid1(VALU_DEP_2)
	v_cmp_ne_u32_e32 vcc_lo, 0, v11
	v_cndmask_b32_e32 v116, 0, v10, vcc_lo
.LBB6_2833:                             ;   in Loop: Header=BB6_2717 Depth=2
	s_or_b32 exec_lo, exec_lo, s29
.LBB6_2834:                             ;   in Loop: Header=BB6_2717 Depth=2
	s_delay_alu instid0(SALU_CYCLE_1) | instskip(SKIP_3) | instid1(VALU_DEP_1)
	s_or_b32 exec_lo, exec_lo, s28
	v_lshrrev_b16 v10, 8, v12
	s_mov_b32 s12, 0
	s_mov_b32 s29, exec_lo
                                        ; implicit-def: $sgpr28
	v_cmpx_lt_i16_e32 0x7f, v10
	s_xor_b32 s29, exec_lo, s29
	s_cbranch_execnz .LBB6_3208
; %bb.2835:                             ;   in Loop: Header=BB6_2717 Depth=2
	s_or_saveexec_b32 s29, s29
	v_mov_b32_e32 v11, s28
	s_xor_b32 exec_lo, exec_lo, s29
	s_cbranch_execnz .LBB6_3211
.LBB6_2836:                             ;   in Loop: Header=BB6_2717 Depth=2
	s_or_b32 exec_lo, exec_lo, s29
	s_and_saveexec_b32 s28, s12
	s_cbranch_execz .LBB6_2838
.LBB6_2837:                             ;   in Loop: Header=BB6_2717 Depth=2
	v_and_b32_e32 v11, 0xffff, v10
	v_lshlrev_b32_e32 v10, 24, v10
	s_delay_alu instid0(VALU_DEP_2) | instskip(NEXT) | instid1(VALU_DEP_2)
	v_and_b32_e32 v66, 7, v11
	v_and_b32_e32 v10, 0x80000000, v10
	s_delay_alu instid0(VALU_DEP_2) | instskip(NEXT) | instid1(VALU_DEP_1)
	v_clz_i32_u32_e32 v67, v66
	v_min_u32_e32 v67, 32, v67
	s_delay_alu instid0(VALU_DEP_1) | instskip(SKIP_1) | instid1(VALU_DEP_2)
	v_subrev_nc_u32_e32 v68, 28, v67
	v_sub_nc_u32_e32 v67, 29, v67
	v_lshlrev_b32_e32 v68, v68, v11
	v_bfe_u32 v11, v11, 3, 4
	s_delay_alu instid0(VALU_DEP_1) | instskip(NEXT) | instid1(VALU_DEP_3)
	v_cmp_eq_u32_e32 vcc_lo, 0, v11
	v_dual_cndmask_b32 v11, v11, v67 :: v_dual_and_b32 v68, 7, v68
	s_delay_alu instid0(VALU_DEP_1) | instskip(NEXT) | instid1(VALU_DEP_2)
	v_cndmask_b32_e32 v66, v66, v68, vcc_lo
	v_lshl_add_u32 v11, v11, 23, 0x3b800000
	s_delay_alu instid0(VALU_DEP_2) | instskip(NEXT) | instid1(VALU_DEP_1)
	v_lshlrev_b32_e32 v66, 20, v66
	v_or3_b32 v11, v10, v11, v66
.LBB6_2838:                             ;   in Loop: Header=BB6_2717 Depth=2
	s_or_b32 exec_lo, exec_lo, s28
	s_delay_alu instid0(VALU_DEP_1) | instskip(SKIP_2) | instid1(VALU_DEP_2)
	v_mul_f32_e32 v10, s27, v11
	v_mov_b32_e32 v114, 0x80
	s_mov_b32 s28, exec_lo
	v_and_b32_e32 v11, 0x7f800000, v10
	s_delay_alu instid0(VALU_DEP_1)
	v_cmpx_ne_u32_e32 0x7f800000, v11
	s_cbranch_execz .LBB6_2846
; %bb.2839:                             ;   in Loop: Header=BB6_2717 Depth=2
	v_mov_b32_e32 v114, 0
	s_mov_b32 s29, exec_lo
	v_cmpx_ne_u32_e32 0, v10
	s_cbranch_execz .LBB6_2845
; %bb.2840:                             ;   in Loop: Header=BB6_2717 Depth=2
	v_bfe_u32 v11, v10, 23, 8
	s_delay_alu instid0(VALU_DEP_1) | instskip(SKIP_1) | instid1(VALU_DEP_2)
	v_sub_nc_u32_e32 v67, 0x78, v11
	v_cmp_gt_u32_e32 vcc_lo, 0x79, v11
	v_dual_cndmask_b32 v67, 0, v67 :: v_dual_and_b32 v66, 0x7fffff, v10
	s_delay_alu instid0(VALU_DEP_1) | instskip(SKIP_2) | instid1(VALU_DEP_4)
	v_or_b32_e32 v68, 0x800000, v66
	v_cmp_eq_u32_e32 vcc_lo, 0, v11
	v_add_nc_u32_e32 v11, 0xffffff89, v11
	v_cndmask_b32_e64 v67, v67, 0x77, vcc_lo
	s_delay_alu instid0(VALU_DEP_4) | instskip(NEXT) | instid1(VALU_DEP_3)
	v_cndmask_b32_e32 v66, v68, v66, vcc_lo
	v_cndmask_b32_e64 v11, v11, 0xffffff8a, vcc_lo
	s_delay_alu instid0(VALU_DEP_3) | instskip(NEXT) | instid1(VALU_DEP_3)
	v_lshl_add_u32 v68, 0x100000, v67, -1
	v_lshrrev_b32_e32 v70, v67, v66
	v_lshlrev_b32_e64 v114, v67, 0x80000
	s_delay_alu instid0(VALU_DEP_4) | instskip(NEXT) | instid1(VALU_DEP_4)
	v_add_nc_u32_e32 v67, v67, v11
	v_and_b32_e32 v66, v68, v66
	s_delay_alu instid0(VALU_DEP_4) | instskip(NEXT) | instid1(VALU_DEP_2)
	v_bfe_u32 v71, v70, 20, 1
	v_cmp_eq_u32_e64 s12, v66, v114
	s_delay_alu instid0(VALU_DEP_2) | instskip(NEXT) | instid1(VALU_DEP_1)
	v_add_nc_u32_e32 v68, -1, v71
	v_cndmask_b32_e64 v66, 0, v68, s12
	v_lshrrev_b32_e32 v68, 23, v70
	s_mov_b32 s12, exec_lo
	s_delay_alu instid0(VALU_DEP_2) | instskip(NEXT) | instid1(VALU_DEP_2)
	v_add_nc_u32_e32 v66, v66, v70
	v_xor_b32_e32 v68, 1, v68
	s_delay_alu instid0(VALU_DEP_2) | instskip(NEXT) | instid1(VALU_DEP_1)
	v_and_b32_e32 v11, 0xfffff, v66
	v_add_nc_u32_e32 v66, v11, v70
                                        ; implicit-def: $vgpr11
	s_delay_alu instid0(VALU_DEP_3)
	v_cmpx_ne_u32_e64 v67, v68
	s_xor_b32 s12, exec_lo, s12
; %bb.2841:                             ;   in Loop: Header=BB6_2717 Depth=2
	s_delay_alu instid0(VALU_DEP_2) | instskip(SKIP_2) | instid1(VALU_DEP_2)
	v_cmp_lt_u32_e32 vcc_lo, 0xffffff, v66
	v_sub_nc_u32_e32 v11, v67, v68
	v_cndmask_b32_e64 v67, 0, 1, vcc_lo
	v_add_co_ci_u32_e32 v11, vcc_lo, 0, v11, vcc_lo
	s_delay_alu instid0(VALU_DEP_2)
	v_lshrrev_b32_e32 v66, v67, v66
; %bb.2842:                             ;   in Loop: Header=BB6_2717 Depth=2
	s_and_not1_saveexec_b32 s12, s12
; %bb.2843:                             ;   in Loop: Header=BB6_2717 Depth=2
	s_delay_alu instid0(VALU_DEP_1)
	v_bfe_u32 v11, v66, 23, 1
; %bb.2844:                             ;   in Loop: Header=BB6_2717 Depth=2
	s_or_b32 exec_lo, exec_lo, s12
	v_lshrrev_b32_e32 v66, 20, v66
	s_delay_alu instid0(VALU_DEP_2) | instskip(SKIP_2) | instid1(VALU_DEP_4)
	v_cmp_gt_i32_e32 vcc_lo, 16, v11
	v_lshrrev_b32_e32 v10, 24, v10
	v_min_i32_e32 v67, 15, v11
	v_cndmask_b32_e32 v66, 7, v66, vcc_lo
	s_delay_alu instid0(VALU_DEP_3) | instskip(NEXT) | instid1(VALU_DEP_3)
	v_and_b32_e32 v10, 0x80, v10
	v_lshlrev_b32_e32 v67, 3, v67
	s_delay_alu instid0(VALU_DEP_3) | instskip(SKIP_1) | instid1(VALU_DEP_2)
	v_and_b32_e32 v68, 7, v66
	v_or_b32_e32 v11, v11, v66
	v_or3_b32 v10, v67, v10, v68
	s_delay_alu instid0(VALU_DEP_2) | instskip(NEXT) | instid1(VALU_DEP_2)
	v_cmp_ne_u32_e32 vcc_lo, 0, v11
	v_cndmask_b32_e32 v114, 0, v10, vcc_lo
.LBB6_2845:                             ;   in Loop: Header=BB6_2717 Depth=2
	s_or_b32 exec_lo, exec_lo, s29
.LBB6_2846:                             ;   in Loop: Header=BB6_2717 Depth=2
	s_delay_alu instid0(SALU_CYCLE_1) | instskip(SKIP_3) | instid1(VALU_DEP_1)
	s_or_b32 exec_lo, exec_lo, s28
	v_lshrrev_b32_e32 v10, 16, v12
	s_mov_b32 s12, 0
	s_mov_b32 s29, exec_lo
                                        ; implicit-def: $sgpr28
	v_and_b32_e32 v66, 0xff, v10
	s_delay_alu instid0(VALU_DEP_1)
	v_cmpx_lt_i16_e32 0x7f, v66
	s_xor_b32 s29, exec_lo, s29
	s_cbranch_execnz .LBB6_3212
; %bb.2847:                             ;   in Loop: Header=BB6_2717 Depth=2
	s_or_saveexec_b32 s29, s29
	v_mov_b32_e32 v11, s28
	s_xor_b32 exec_lo, exec_lo, s29
	s_cbranch_execnz .LBB6_3215
.LBB6_2848:                             ;   in Loop: Header=BB6_2717 Depth=2
	s_or_b32 exec_lo, exec_lo, s29
	s_and_saveexec_b32 s28, s12
	s_cbranch_execz .LBB6_2850
.LBB6_2849:                             ;   in Loop: Header=BB6_2717 Depth=2
	v_bfe_u32 v11, v12, 16, 3
	v_lshlrev_b32_e32 v68, 8, v12
	s_delay_alu instid0(VALU_DEP_2) | instskip(NEXT) | instid1(VALU_DEP_1)
	v_clz_i32_u32_e32 v66, v11
	v_min_u32_e32 v66, 32, v66
	s_delay_alu instid0(VALU_DEP_1) | instskip(SKIP_1) | instid1(VALU_DEP_2)
	v_subrev_nc_u32_e32 v67, 28, v66
	v_sub_nc_u32_e32 v66, 29, v66
	v_lshlrev_b32_e32 v10, v67, v10
	v_bfe_u32 v67, v12, 19, 4
	s_delay_alu instid0(VALU_DEP_2) | instskip(NEXT) | instid1(VALU_DEP_2)
	v_and_b32_e32 v10, 7, v10
	v_cmp_eq_u32_e32 vcc_lo, 0, v67
	v_cndmask_b32_e32 v66, v67, v66, vcc_lo
	s_delay_alu instid0(VALU_DEP_3) | instskip(NEXT) | instid1(VALU_DEP_2)
	v_dual_cndmask_b32 v10, v11, v10 :: v_dual_and_b32 v11, 0x80000000, v68
	v_lshl_add_u32 v66, v66, 23, 0x3b800000
	s_delay_alu instid0(VALU_DEP_2) | instskip(NEXT) | instid1(VALU_DEP_1)
	v_lshlrev_b32_e32 v10, 20, v10
	v_or3_b32 v11, v11, v66, v10
.LBB6_2850:                             ;   in Loop: Header=BB6_2717 Depth=2
	s_or_b32 exec_lo, exec_lo, s28
	s_delay_alu instid0(VALU_DEP_1) | instskip(SKIP_1) | instid1(VALU_DEP_1)
	v_dual_mul_f32 v10, s27, v11 :: v_dual_mov_b32 v71, 0x80
	s_mov_b32 s28, exec_lo
	v_and_b32_e32 v11, 0x7f800000, v10
	s_delay_alu instid0(VALU_DEP_1)
	v_cmpx_ne_u32_e32 0x7f800000, v11
	s_cbranch_execz .LBB6_2858
; %bb.2851:                             ;   in Loop: Header=BB6_2717 Depth=2
	v_mov_b32_e32 v71, 0
	s_mov_b32 s29, exec_lo
	v_cmpx_ne_u32_e32 0, v10
	s_cbranch_execz .LBB6_2857
; %bb.2852:                             ;   in Loop: Header=BB6_2717 Depth=2
	v_bfe_u32 v11, v10, 23, 8
	s_delay_alu instid0(VALU_DEP_1) | instskip(SKIP_1) | instid1(VALU_DEP_2)
	v_sub_nc_u32_e32 v67, 0x78, v11
	v_cmp_gt_u32_e32 vcc_lo, 0x79, v11
	v_dual_cndmask_b32 v67, 0, v67 :: v_dual_and_b32 v66, 0x7fffff, v10
	s_delay_alu instid0(VALU_DEP_1) | instskip(SKIP_2) | instid1(VALU_DEP_4)
	v_or_b32_e32 v68, 0x800000, v66
	v_cmp_eq_u32_e32 vcc_lo, 0, v11
	v_add_nc_u32_e32 v11, 0xffffff89, v11
	v_cndmask_b32_e64 v67, v67, 0x77, vcc_lo
	s_delay_alu instid0(VALU_DEP_4) | instskip(NEXT) | instid1(VALU_DEP_3)
	v_cndmask_b32_e32 v66, v68, v66, vcc_lo
	v_cndmask_b32_e64 v11, v11, 0xffffff8a, vcc_lo
	s_delay_alu instid0(VALU_DEP_3) | instskip(NEXT) | instid1(VALU_DEP_3)
	v_lshl_add_u32 v68, 0x100000, v67, -1
	v_lshrrev_b32_e32 v70, v67, v66
	v_lshlrev_b32_e64 v115, v67, 0x80000
	s_delay_alu instid0(VALU_DEP_4) | instskip(NEXT) | instid1(VALU_DEP_4)
	v_add_nc_u32_e32 v67, v67, v11
	v_and_b32_e32 v66, v68, v66
	s_delay_alu instid0(VALU_DEP_4) | instskip(NEXT) | instid1(VALU_DEP_2)
	v_bfe_u32 v71, v70, 20, 1
	v_cmp_eq_u32_e64 s12, v66, v115
	s_delay_alu instid0(VALU_DEP_2) | instskip(NEXT) | instid1(VALU_DEP_1)
	v_add_nc_u32_e32 v68, -1, v71
	v_cndmask_b32_e64 v66, 0, v68, s12
	v_lshrrev_b32_e32 v68, 23, v70
	s_mov_b32 s12, exec_lo
	s_delay_alu instid0(VALU_DEP_2) | instskip(NEXT) | instid1(VALU_DEP_2)
	v_add_nc_u32_e32 v66, v66, v70
	v_xor_b32_e32 v68, 1, v68
	s_delay_alu instid0(VALU_DEP_2) | instskip(NEXT) | instid1(VALU_DEP_1)
	v_and_b32_e32 v11, 0xfffff, v66
	v_add_nc_u32_e32 v66, v11, v70
                                        ; implicit-def: $vgpr11
	s_delay_alu instid0(VALU_DEP_3)
	v_cmpx_ne_u32_e64 v67, v68
	s_xor_b32 s12, exec_lo, s12
; %bb.2853:                             ;   in Loop: Header=BB6_2717 Depth=2
	s_delay_alu instid0(VALU_DEP_2) | instskip(SKIP_2) | instid1(VALU_DEP_2)
	v_cmp_lt_u32_e32 vcc_lo, 0xffffff, v66
	v_sub_nc_u32_e32 v11, v67, v68
	v_cndmask_b32_e64 v67, 0, 1, vcc_lo
	v_add_co_ci_u32_e32 v11, vcc_lo, 0, v11, vcc_lo
	s_delay_alu instid0(VALU_DEP_2)
	v_lshrrev_b32_e32 v66, v67, v66
; %bb.2854:                             ;   in Loop: Header=BB6_2717 Depth=2
	s_and_not1_saveexec_b32 s12, s12
; %bb.2855:                             ;   in Loop: Header=BB6_2717 Depth=2
	s_delay_alu instid0(VALU_DEP_1)
	v_bfe_u32 v11, v66, 23, 1
; %bb.2856:                             ;   in Loop: Header=BB6_2717 Depth=2
	s_or_b32 exec_lo, exec_lo, s12
	v_lshrrev_b32_e32 v66, 20, v66
	s_delay_alu instid0(VALU_DEP_2) | instskip(SKIP_2) | instid1(VALU_DEP_4)
	v_cmp_gt_i32_e32 vcc_lo, 16, v11
	v_lshrrev_b32_e32 v10, 24, v10
	v_min_i32_e32 v67, 15, v11
	v_cndmask_b32_e32 v66, 7, v66, vcc_lo
	s_delay_alu instid0(VALU_DEP_3) | instskip(NEXT) | instid1(VALU_DEP_3)
	v_and_b32_e32 v10, 0x80, v10
	v_lshlrev_b32_e32 v67, 3, v67
	s_delay_alu instid0(VALU_DEP_3) | instskip(SKIP_1) | instid1(VALU_DEP_2)
	v_and_b32_e32 v68, 7, v66
	v_or_b32_e32 v11, v11, v66
	v_or3_b32 v10, v67, v10, v68
	s_delay_alu instid0(VALU_DEP_2) | instskip(NEXT) | instid1(VALU_DEP_2)
	v_cmp_ne_u32_e32 vcc_lo, 0, v11
	v_cndmask_b32_e32 v71, 0, v10, vcc_lo
.LBB6_2857:                             ;   in Loop: Header=BB6_2717 Depth=2
	s_or_b32 exec_lo, exec_lo, s29
.LBB6_2858:                             ;   in Loop: Header=BB6_2717 Depth=2
	s_delay_alu instid0(SALU_CYCLE_1) | instskip(SKIP_3) | instid1(VALU_DEP_1)
	s_or_b32 exec_lo, exec_lo, s28
	v_lshrrev_b32_e32 v10, 24, v12
	s_mov_b32 s12, 0
	s_mov_b32 s29, exec_lo
                                        ; implicit-def: $sgpr28
	v_cmpx_lt_i16_e32 0x7f, v10
	s_xor_b32 s29, exec_lo, s29
	s_cbranch_execnz .LBB6_3216
; %bb.2859:                             ;   in Loop: Header=BB6_2717 Depth=2
	s_or_saveexec_b32 s29, s29
	v_mov_b32_e32 v11, s28
	s_xor_b32 exec_lo, exec_lo, s29
	s_cbranch_execnz .LBB6_3219
.LBB6_2860:                             ;   in Loop: Header=BB6_2717 Depth=2
	s_or_b32 exec_lo, exec_lo, s29
	s_and_saveexec_b32 s28, s12
	s_cbranch_execz .LBB6_2862
.LBB6_2861:                             ;   in Loop: Header=BB6_2717 Depth=2
	v_bfe_u32 v11, v12, 24, 3
	s_delay_alu instid0(VALU_DEP_1) | instskip(NEXT) | instid1(VALU_DEP_1)
	v_clz_i32_u32_e32 v66, v11
	v_min_u32_e32 v66, 32, v66
	s_delay_alu instid0(VALU_DEP_1) | instskip(SKIP_1) | instid1(VALU_DEP_2)
	v_subrev_nc_u32_e32 v67, 28, v66
	v_sub_nc_u32_e32 v66, 29, v66
	v_lshlrev_b32_e32 v10, v67, v10
	v_bfe_u32 v67, v12, 27, 4
	s_delay_alu instid0(VALU_DEP_2) | instskip(NEXT) | instid1(VALU_DEP_2)
	v_and_b32_e32 v10, 7, v10
	v_cmp_eq_u32_e32 vcc_lo, 0, v67
	v_cndmask_b32_e32 v66, v67, v66, vcc_lo
	s_delay_alu instid0(VALU_DEP_3) | instskip(NEXT) | instid1(VALU_DEP_2)
	v_dual_cndmask_b32 v10, v11, v10 :: v_dual_and_b32 v11, 0x80000000, v12
	v_lshl_add_u32 v12, v66, 23, 0x3b800000
	s_delay_alu instid0(VALU_DEP_2) | instskip(NEXT) | instid1(VALU_DEP_1)
	v_lshlrev_b32_e32 v10, 20, v10
	v_or3_b32 v11, v11, v12, v10
.LBB6_2862:                             ;   in Loop: Header=BB6_2717 Depth=2
	s_or_b32 exec_lo, exec_lo, s28
	s_delay_alu instid0(VALU_DEP_1) | instskip(SKIP_2) | instid1(VALU_DEP_2)
	v_mul_f32_e32 v10, s27, v11
	v_mov_b32_e32 v68, 0x80
	s_mov_b32 s28, exec_lo
	v_and_b32_e32 v11, 0x7f800000, v10
	s_delay_alu instid0(VALU_DEP_1)
	v_cmpx_ne_u32_e32 0x7f800000, v11
	s_cbranch_execz .LBB6_2870
; %bb.2863:                             ;   in Loop: Header=BB6_2717 Depth=2
	v_mov_b32_e32 v68, 0
	s_mov_b32 s29, exec_lo
	v_cmpx_ne_u32_e32 0, v10
	s_cbranch_execz .LBB6_2869
; %bb.2864:                             ;   in Loop: Header=BB6_2717 Depth=2
	v_bfe_u32 v11, v10, 23, 8
	v_and_b32_e32 v12, 0x7fffff, v10
	s_delay_alu instid0(VALU_DEP_2) | instskip(SKIP_1) | instid1(VALU_DEP_3)
	v_sub_nc_u32_e32 v66, 0x78, v11
	v_cmp_gt_u32_e32 vcc_lo, 0x79, v11
	v_or_b32_e32 v67, 0x800000, v12
	s_delay_alu instid0(VALU_DEP_3) | instskip(SKIP_2) | instid1(VALU_DEP_3)
	v_cndmask_b32_e32 v66, 0, v66, vcc_lo
	v_cmp_eq_u32_e32 vcc_lo, 0, v11
	v_add_nc_u32_e32 v11, 0xffffff89, v11
	v_cndmask_b32_e64 v66, v66, 0x77, vcc_lo
	v_cndmask_b32_e32 v12, v67, v12, vcc_lo
	s_delay_alu instid0(VALU_DEP_3) | instskip(NEXT) | instid1(VALU_DEP_3)
	v_cndmask_b32_e64 v11, v11, 0xffffff8a, vcc_lo
	v_lshl_add_u32 v67, 0x100000, v66, -1
	s_delay_alu instid0(VALU_DEP_3) | instskip(SKIP_1) | instid1(VALU_DEP_4)
	v_lshrrev_b32_e32 v68, v66, v12
	v_lshlrev_b32_e64 v115, v66, 0x80000
	v_add_nc_u32_e32 v66, v66, v11
	s_delay_alu instid0(VALU_DEP_4) | instskip(NEXT) | instid1(VALU_DEP_4)
	v_and_b32_e32 v12, v67, v12
	v_bfe_u32 v70, v68, 20, 1
	s_delay_alu instid0(VALU_DEP_2) | instskip(NEXT) | instid1(VALU_DEP_2)
	v_cmp_eq_u32_e64 s12, v12, v115
	v_add_nc_u32_e32 v67, -1, v70
	s_delay_alu instid0(VALU_DEP_1) | instskip(SKIP_2) | instid1(VALU_DEP_2)
	v_cndmask_b32_e64 v12, 0, v67, s12
	v_lshrrev_b32_e32 v67, 23, v68
	s_mov_b32 s12, exec_lo
	v_add_nc_u32_e32 v12, v12, v68
	s_delay_alu instid0(VALU_DEP_2) | instskip(NEXT) | instid1(VALU_DEP_2)
	v_xor_b32_e32 v67, 1, v67
	v_and_b32_e32 v11, 0xfffff, v12
	s_delay_alu instid0(VALU_DEP_1) | instskip(NEXT) | instid1(VALU_DEP_3)
	v_add_nc_u32_e32 v12, v11, v68
                                        ; implicit-def: $vgpr11
	v_cmpx_ne_u32_e64 v66, v67
	s_xor_b32 s12, exec_lo, s12
; %bb.2865:                             ;   in Loop: Header=BB6_2717 Depth=2
	s_delay_alu instid0(VALU_DEP_2) | instskip(SKIP_2) | instid1(VALU_DEP_2)
	v_cmp_lt_u32_e32 vcc_lo, 0xffffff, v12
	v_sub_nc_u32_e32 v11, v66, v67
	v_cndmask_b32_e64 v66, 0, 1, vcc_lo
	v_add_co_ci_u32_e32 v11, vcc_lo, 0, v11, vcc_lo
	s_delay_alu instid0(VALU_DEP_2)
	v_lshrrev_b32_e32 v12, v66, v12
; %bb.2866:                             ;   in Loop: Header=BB6_2717 Depth=2
	s_and_not1_saveexec_b32 s12, s12
; %bb.2867:                             ;   in Loop: Header=BB6_2717 Depth=2
	s_delay_alu instid0(VALU_DEP_1)
	v_bfe_u32 v11, v12, 23, 1
; %bb.2868:                             ;   in Loop: Header=BB6_2717 Depth=2
	s_or_b32 exec_lo, exec_lo, s12
	v_lshrrev_b32_e32 v12, 20, v12
	s_delay_alu instid0(VALU_DEP_2) | instskip(SKIP_2) | instid1(VALU_DEP_4)
	v_cmp_gt_i32_e32 vcc_lo, 16, v11
	v_lshrrev_b32_e32 v10, 24, v10
	v_min_i32_e32 v66, 15, v11
	v_cndmask_b32_e32 v12, 7, v12, vcc_lo
	s_delay_alu instid0(VALU_DEP_3) | instskip(NEXT) | instid1(VALU_DEP_3)
	v_and_b32_e32 v10, 0x80, v10
	v_lshlrev_b32_e32 v66, 3, v66
	s_delay_alu instid0(VALU_DEP_3) | instskip(NEXT) | instid1(VALU_DEP_1)
	v_or_b32_e32 v11, v11, v12
	v_cmp_ne_u32_e32 vcc_lo, 0, v11
	v_and_b32_e32 v67, 7, v12
	s_delay_alu instid0(VALU_DEP_1) | instskip(NEXT) | instid1(VALU_DEP_1)
	v_or3_b32 v10, v66, v10, v67
	v_cndmask_b32_e32 v68, 0, v10, vcc_lo
.LBB6_2869:                             ;   in Loop: Header=BB6_2717 Depth=2
	s_or_b32 exec_lo, exec_lo, s29
.LBB6_2870:                             ;   in Loop: Header=BB6_2717 Depth=2
	s_delay_alu instid0(SALU_CYCLE_1) | instskip(SKIP_3) | instid1(VALU_DEP_1)
	s_or_b32 exec_lo, exec_lo, s28
	v_and_b32_e32 v11, 0xff, v13
	s_mov_b32 s12, 0
	s_mov_b32 s29, exec_lo
                                        ; implicit-def: $sgpr28
	v_cmpx_lt_i16_e32 0x7f, v11
	s_xor_b32 s29, exec_lo, s29
	s_cbranch_execnz .LBB6_3220
; %bb.2871:                             ;   in Loop: Header=BB6_2717 Depth=2
	s_or_saveexec_b32 s29, s29
	v_mov_b32_e32 v10, s28
	s_xor_b32 exec_lo, exec_lo, s29
	s_cbranch_execnz .LBB6_3223
.LBB6_2872:                             ;   in Loop: Header=BB6_2717 Depth=2
	s_or_b32 exec_lo, exec_lo, s29
	s_and_saveexec_b32 s28, s12
	s_cbranch_execz .LBB6_2874
.LBB6_2873:                             ;   in Loop: Header=BB6_2717 Depth=2
	v_bfe_u32 v66, v13, 3, 4
	s_delay_alu instid0(VALU_DEP_1) | instskip(SKIP_1) | instid1(VALU_DEP_1)
	v_cmp_eq_u32_e32 vcc_lo, 0, v66
	v_and_b32_e32 v10, 7, v13
	v_clz_i32_u32_e32 v11, v10
	s_delay_alu instid0(VALU_DEP_1) | instskip(NEXT) | instid1(VALU_DEP_1)
	v_min_u32_e32 v11, 32, v11
	v_subrev_nc_u32_e32 v12, 28, v11
	v_sub_nc_u32_e32 v11, 29, v11
	s_delay_alu instid0(VALU_DEP_1) | instskip(NEXT) | instid1(VALU_DEP_1)
	v_dual_cndmask_b32 v11, v66, v11 :: v_dual_lshlrev_b32 v12, v12, v13
	v_and_b32_e32 v12, 7, v12
	v_lshlrev_b32_e32 v67, 24, v13
	s_delay_alu instid0(VALU_DEP_3) | instskip(NEXT) | instid1(VALU_DEP_3)
	v_lshl_add_u32 v11, v11, 23, 0x3b800000
	v_cndmask_b32_e32 v10, v10, v12, vcc_lo
	s_delay_alu instid0(VALU_DEP_3) | instskip(NEXT) | instid1(VALU_DEP_2)
	v_and_b32_e32 v12, 0x80000000, v67
	v_lshlrev_b32_e32 v10, 20, v10
	s_delay_alu instid0(VALU_DEP_1)
	v_or3_b32 v10, v12, v11, v10
.LBB6_2874:                             ;   in Loop: Header=BB6_2717 Depth=2
	s_or_b32 exec_lo, exec_lo, s28
	s_delay_alu instid0(VALU_DEP_1) | instskip(SKIP_1) | instid1(VALU_DEP_1)
	v_dual_mul_f32 v10, s27, v10 :: v_dual_mov_b32 v67, 0x80
	s_mov_b32 s28, exec_lo
	v_and_b32_e32 v11, 0x7f800000, v10
	s_delay_alu instid0(VALU_DEP_1)
	v_cmpx_ne_u32_e32 0x7f800000, v11
	s_cbranch_execz .LBB6_2882
; %bb.2875:                             ;   in Loop: Header=BB6_2717 Depth=2
	v_mov_b32_e32 v67, 0
	s_mov_b32 s29, exec_lo
	v_cmpx_ne_u32_e32 0, v10
	s_cbranch_execz .LBB6_2881
; %bb.2876:                             ;   in Loop: Header=BB6_2717 Depth=2
	v_bfe_u32 v11, v10, 23, 8
	v_and_b32_e32 v12, 0x7fffff, v10
	s_delay_alu instid0(VALU_DEP_2) | instskip(SKIP_1) | instid1(VALU_DEP_3)
	v_sub_nc_u32_e32 v66, 0x78, v11
	v_cmp_gt_u32_e32 vcc_lo, 0x79, v11
	v_or_b32_e32 v67, 0x800000, v12
	s_delay_alu instid0(VALU_DEP_3) | instskip(SKIP_2) | instid1(VALU_DEP_3)
	v_cndmask_b32_e32 v66, 0, v66, vcc_lo
	v_cmp_eq_u32_e32 vcc_lo, 0, v11
	v_add_nc_u32_e32 v11, 0xffffff89, v11
	v_cndmask_b32_e64 v66, v66, 0x77, vcc_lo
	v_cndmask_b32_e32 v12, v67, v12, vcc_lo
	s_delay_alu instid0(VALU_DEP_3) | instskip(NEXT) | instid1(VALU_DEP_3)
	v_cndmask_b32_e64 v11, v11, 0xffffff8a, vcc_lo
	v_lshl_add_u32 v67, 0x100000, v66, -1
	s_delay_alu instid0(VALU_DEP_3) | instskip(SKIP_1) | instid1(VALU_DEP_4)
	v_lshrrev_b32_e32 v70, v66, v12
	v_lshlrev_b32_e64 v131, v66, 0x80000
	v_add_nc_u32_e32 v66, v66, v11
	s_delay_alu instid0(VALU_DEP_4) | instskip(NEXT) | instid1(VALU_DEP_4)
	v_and_b32_e32 v12, v67, v12
	v_bfe_u32 v115, v70, 20, 1
	s_delay_alu instid0(VALU_DEP_2) | instskip(NEXT) | instid1(VALU_DEP_2)
	v_cmp_eq_u32_e64 s12, v12, v131
	v_add_nc_u32_e32 v67, -1, v115
	s_delay_alu instid0(VALU_DEP_1) | instskip(SKIP_2) | instid1(VALU_DEP_2)
	v_cndmask_b32_e64 v12, 0, v67, s12
	v_lshrrev_b32_e32 v67, 23, v70
	s_mov_b32 s12, exec_lo
	v_add_nc_u32_e32 v12, v12, v70
	s_delay_alu instid0(VALU_DEP_2) | instskip(NEXT) | instid1(VALU_DEP_2)
	v_xor_b32_e32 v67, 1, v67
	v_and_b32_e32 v11, 0xfffff, v12
	s_delay_alu instid0(VALU_DEP_1) | instskip(NEXT) | instid1(VALU_DEP_3)
	v_add_nc_u32_e32 v12, v11, v70
                                        ; implicit-def: $vgpr11
	v_cmpx_ne_u32_e64 v66, v67
	s_xor_b32 s12, exec_lo, s12
; %bb.2877:                             ;   in Loop: Header=BB6_2717 Depth=2
	s_delay_alu instid0(VALU_DEP_2) | instskip(SKIP_2) | instid1(VALU_DEP_2)
	v_cmp_lt_u32_e32 vcc_lo, 0xffffff, v12
	v_sub_nc_u32_e32 v11, v66, v67
	v_cndmask_b32_e64 v66, 0, 1, vcc_lo
	v_add_co_ci_u32_e32 v11, vcc_lo, 0, v11, vcc_lo
	s_delay_alu instid0(VALU_DEP_2)
	v_lshrrev_b32_e32 v12, v66, v12
; %bb.2878:                             ;   in Loop: Header=BB6_2717 Depth=2
	s_and_not1_saveexec_b32 s12, s12
; %bb.2879:                             ;   in Loop: Header=BB6_2717 Depth=2
	s_delay_alu instid0(VALU_DEP_1)
	v_bfe_u32 v11, v12, 23, 1
; %bb.2880:                             ;   in Loop: Header=BB6_2717 Depth=2
	s_or_b32 exec_lo, exec_lo, s12
	v_lshrrev_b32_e32 v12, 20, v12
	s_delay_alu instid0(VALU_DEP_2) | instskip(SKIP_2) | instid1(VALU_DEP_3)
	v_min_i32_e32 v66, 15, v11
	v_cmp_gt_i32_e32 vcc_lo, 16, v11
	v_lshrrev_b32_e32 v10, 24, v10
	v_lshlrev_b32_e32 v66, 3, v66
	v_cndmask_b32_e32 v12, 7, v12, vcc_lo
	s_delay_alu instid0(VALU_DEP_3) | instskip(NEXT) | instid1(VALU_DEP_3)
	v_and_b32_e32 v10, 0x80, v10
	v_and_b32_e32 v66, 0xf8, v66
	s_delay_alu instid0(VALU_DEP_3) | instskip(SKIP_1) | instid1(VALU_DEP_2)
	v_and_b32_e32 v67, 7, v12
	v_or_b32_e32 v11, v11, v12
	v_or3_b32 v10, v66, v10, v67
	s_delay_alu instid0(VALU_DEP_2) | instskip(NEXT) | instid1(VALU_DEP_2)
	v_cmp_ne_u32_e32 vcc_lo, 0, v11
	v_cndmask_b32_e32 v67, 0, v10, vcc_lo
.LBB6_2881:                             ;   in Loop: Header=BB6_2717 Depth=2
	s_or_b32 exec_lo, exec_lo, s29
.LBB6_2882:                             ;   in Loop: Header=BB6_2717 Depth=2
	s_delay_alu instid0(SALU_CYCLE_1) | instskip(SKIP_3) | instid1(VALU_DEP_1)
	s_or_b32 exec_lo, exec_lo, s28
	v_lshrrev_b16 v10, 8, v13
	s_mov_b32 s12, 0
	s_mov_b32 s29, exec_lo
                                        ; implicit-def: $sgpr28
	v_cmpx_lt_i16_e32 0x7f, v10
	s_xor_b32 s29, exec_lo, s29
	s_cbranch_execnz .LBB6_3224
; %bb.2883:                             ;   in Loop: Header=BB6_2717 Depth=2
	s_or_saveexec_b32 s29, s29
	v_mov_b32_e32 v11, s28
	s_xor_b32 exec_lo, exec_lo, s29
	s_cbranch_execnz .LBB6_3227
.LBB6_2884:                             ;   in Loop: Header=BB6_2717 Depth=2
	s_or_b32 exec_lo, exec_lo, s29
	s_and_saveexec_b32 s28, s12
	s_cbranch_execz .LBB6_2886
.LBB6_2885:                             ;   in Loop: Header=BB6_2717 Depth=2
	v_and_b32_e32 v11, 0xffff, v10
	v_lshlrev_b32_e32 v10, 24, v10
	s_delay_alu instid0(VALU_DEP_2) | instskip(NEXT) | instid1(VALU_DEP_2)
	v_and_b32_e32 v12, 7, v11
	v_and_b32_e32 v10, 0x80000000, v10
	s_delay_alu instid0(VALU_DEP_2) | instskip(NEXT) | instid1(VALU_DEP_1)
	v_clz_i32_u32_e32 v66, v12
	v_min_u32_e32 v66, 32, v66
	s_delay_alu instid0(VALU_DEP_1) | instskip(SKIP_1) | instid1(VALU_DEP_2)
	v_subrev_nc_u32_e32 v70, 28, v66
	v_sub_nc_u32_e32 v66, 29, v66
	v_lshlrev_b32_e32 v70, v70, v11
	v_bfe_u32 v11, v11, 3, 4
	s_delay_alu instid0(VALU_DEP_2) | instskip(NEXT) | instid1(VALU_DEP_2)
	v_and_b32_e32 v70, 7, v70
	v_cmp_eq_u32_e32 vcc_lo, 0, v11
	v_cndmask_b32_e32 v11, v11, v66, vcc_lo
	s_delay_alu instid0(VALU_DEP_3) | instskip(NEXT) | instid1(VALU_DEP_2)
	v_cndmask_b32_e32 v12, v12, v70, vcc_lo
	v_lshl_add_u32 v11, v11, 23, 0x3b800000
	s_delay_alu instid0(VALU_DEP_2) | instskip(NEXT) | instid1(VALU_DEP_1)
	v_lshlrev_b32_e32 v12, 20, v12
	v_or3_b32 v11, v10, v11, v12
.LBB6_2886:                             ;   in Loop: Header=BB6_2717 Depth=2
	s_or_b32 exec_lo, exec_lo, s28
	s_delay_alu instid0(VALU_DEP_1) | instskip(SKIP_1) | instid1(VALU_DEP_1)
	v_dual_mul_f32 v10, s27, v11 :: v_dual_mov_b32 v115, 0x8000
	s_mov_b32 s28, exec_lo
	v_and_b32_e32 v11, 0x7f800000, v10
	s_delay_alu instid0(VALU_DEP_1)
	v_cmpx_ne_u32_e32 0x7f800000, v11
	s_cbranch_execz .LBB6_2894
; %bb.2887:                             ;   in Loop: Header=BB6_2717 Depth=2
	v_mov_b32_e32 v115, 0
	s_mov_b32 s29, exec_lo
	v_cmpx_ne_u32_e32 0, v10
	s_cbranch_execz .LBB6_2893
; %bb.2888:                             ;   in Loop: Header=BB6_2717 Depth=2
	v_bfe_u32 v11, v10, 23, 8
	v_and_b32_e32 v12, 0x7fffff, v10
	s_delay_alu instid0(VALU_DEP_2) | instskip(SKIP_1) | instid1(VALU_DEP_3)
	v_sub_nc_u32_e32 v66, 0x78, v11
	v_cmp_gt_u32_e32 vcc_lo, 0x79, v11
	v_or_b32_e32 v70, 0x800000, v12
	s_delay_alu instid0(VALU_DEP_3) | instskip(SKIP_2) | instid1(VALU_DEP_3)
	v_cndmask_b32_e32 v66, 0, v66, vcc_lo
	v_cmp_eq_u32_e32 vcc_lo, 0, v11
	v_add_nc_u32_e32 v11, 0xffffff89, v11
	v_cndmask_b32_e64 v66, v66, 0x77, vcc_lo
	v_cndmask_b32_e32 v12, v70, v12, vcc_lo
	s_delay_alu instid0(VALU_DEP_3) | instskip(NEXT) | instid1(VALU_DEP_3)
	v_cndmask_b32_e64 v11, v11, 0xffffff8a, vcc_lo
	v_lshl_add_u32 v70, 0x100000, v66, -1
	s_delay_alu instid0(VALU_DEP_3) | instskip(SKIP_1) | instid1(VALU_DEP_4)
	v_lshrrev_b32_e32 v115, v66, v12
	v_lshlrev_b32_e64 v132, v66, 0x80000
	v_add_nc_u32_e32 v66, v66, v11
	s_delay_alu instid0(VALU_DEP_4) | instskip(NEXT) | instid1(VALU_DEP_4)
	v_and_b32_e32 v12, v70, v12
	v_bfe_u32 v131, v115, 20, 1
	s_delay_alu instid0(VALU_DEP_2) | instskip(NEXT) | instid1(VALU_DEP_2)
	v_cmp_eq_u32_e64 s12, v12, v132
	v_add_nc_u32_e32 v70, -1, v131
	s_delay_alu instid0(VALU_DEP_1) | instskip(SKIP_2) | instid1(VALU_DEP_2)
	v_cndmask_b32_e64 v12, 0, v70, s12
	v_lshrrev_b32_e32 v70, 23, v115
	s_mov_b32 s12, exec_lo
	v_add_nc_u32_e32 v12, v12, v115
	s_delay_alu instid0(VALU_DEP_2) | instskip(NEXT) | instid1(VALU_DEP_2)
	v_xor_b32_e32 v70, 1, v70
	v_and_b32_e32 v11, 0xfffff, v12
	s_delay_alu instid0(VALU_DEP_1) | instskip(NEXT) | instid1(VALU_DEP_3)
	v_add_nc_u32_e32 v12, v11, v115
                                        ; implicit-def: $vgpr11
	v_cmpx_ne_u32_e64 v66, v70
	s_xor_b32 s12, exec_lo, s12
; %bb.2889:                             ;   in Loop: Header=BB6_2717 Depth=2
	s_delay_alu instid0(VALU_DEP_2) | instskip(SKIP_2) | instid1(VALU_DEP_2)
	v_cmp_lt_u32_e32 vcc_lo, 0xffffff, v12
	v_sub_nc_u32_e32 v11, v66, v70
	v_cndmask_b32_e64 v66, 0, 1, vcc_lo
	v_add_co_ci_u32_e32 v11, vcc_lo, 0, v11, vcc_lo
	s_delay_alu instid0(VALU_DEP_2)
	v_lshrrev_b32_e32 v12, v66, v12
; %bb.2890:                             ;   in Loop: Header=BB6_2717 Depth=2
	s_and_not1_saveexec_b32 s12, s12
; %bb.2891:                             ;   in Loop: Header=BB6_2717 Depth=2
	s_delay_alu instid0(VALU_DEP_1)
	v_bfe_u32 v11, v12, 23, 1
; %bb.2892:                             ;   in Loop: Header=BB6_2717 Depth=2
	s_or_b32 exec_lo, exec_lo, s12
	v_lshrrev_b32_e32 v12, 20, v12
	s_delay_alu instid0(VALU_DEP_2) | instskip(SKIP_2) | instid1(VALU_DEP_3)
	v_min_i32_e32 v66, 15, v11
	v_cmp_gt_i32_e32 vcc_lo, 16, v11
	v_lshrrev_b32_e32 v10, 24, v10
	v_lshlrev_b32_e32 v66, 3, v66
	v_cndmask_b32_e32 v12, 7, v12, vcc_lo
	s_delay_alu instid0(VALU_DEP_3) | instskip(NEXT) | instid1(VALU_DEP_3)
	v_and_b32_e32 v10, 0x80, v10
	v_and_b32_e32 v66, 0xf8, v66
	s_delay_alu instid0(VALU_DEP_3) | instskip(SKIP_1) | instid1(VALU_DEP_2)
	v_and_b32_e32 v70, 7, v12
	v_or_b32_e32 v11, v11, v12
	v_or3_b32 v10, v10, v66, v70
	s_delay_alu instid0(VALU_DEP_2) | instskip(NEXT) | instid1(VALU_DEP_2)
	v_cmp_ne_u32_e32 vcc_lo, 0, v11
	v_lshlrev_b32_e32 v10, 8, v10
	s_delay_alu instid0(VALU_DEP_1)
	v_cndmask_b32_e32 v115, 0, v10, vcc_lo
.LBB6_2893:                             ;   in Loop: Header=BB6_2717 Depth=2
	s_or_b32 exec_lo, exec_lo, s29
.LBB6_2894:                             ;   in Loop: Header=BB6_2717 Depth=2
	s_delay_alu instid0(SALU_CYCLE_1) | instskip(SKIP_3) | instid1(VALU_DEP_1)
	s_or_b32 exec_lo, exec_lo, s28
	v_lshrrev_b32_e32 v10, 16, v13
	s_mov_b32 s12, 0
	s_mov_b32 s29, exec_lo
                                        ; implicit-def: $sgpr28
	v_and_b32_e32 v12, 0xff, v10
	s_delay_alu instid0(VALU_DEP_1)
	v_cmpx_lt_i16_e32 0x7f, v12
	s_xor_b32 s29, exec_lo, s29
	s_cbranch_execnz .LBB6_3228
; %bb.2895:                             ;   in Loop: Header=BB6_2717 Depth=2
	s_or_saveexec_b32 s29, s29
	v_mov_b32_e32 v11, s28
	s_xor_b32 exec_lo, exec_lo, s29
	s_cbranch_execnz .LBB6_3231
.LBB6_2896:                             ;   in Loop: Header=BB6_2717 Depth=2
	s_or_b32 exec_lo, exec_lo, s29
	s_and_saveexec_b32 s28, s12
	s_cbranch_execz .LBB6_2898
.LBB6_2897:                             ;   in Loop: Header=BB6_2717 Depth=2
	v_bfe_u32 v11, v13, 16, 3
	v_lshlrev_b32_e32 v70, 8, v13
	s_delay_alu instid0(VALU_DEP_2) | instskip(NEXT) | instid1(VALU_DEP_1)
	v_clz_i32_u32_e32 v12, v11
	v_min_u32_e32 v12, 32, v12
	s_delay_alu instid0(VALU_DEP_1) | instskip(SKIP_1) | instid1(VALU_DEP_2)
	v_subrev_nc_u32_e32 v66, 28, v12
	v_sub_nc_u32_e32 v12, 29, v12
	v_lshlrev_b32_e32 v10, v66, v10
	v_bfe_u32 v66, v13, 19, 4
	s_delay_alu instid0(VALU_DEP_2) | instskip(NEXT) | instid1(VALU_DEP_2)
	v_and_b32_e32 v10, 7, v10
	v_cmp_eq_u32_e32 vcc_lo, 0, v66
	v_cndmask_b32_e32 v12, v66, v12, vcc_lo
	s_delay_alu instid0(VALU_DEP_3) | instskip(SKIP_1) | instid1(VALU_DEP_3)
	v_cndmask_b32_e32 v10, v11, v10, vcc_lo
	v_and_b32_e32 v11, 0x80000000, v70
	v_lshl_add_u32 v12, v12, 23, 0x3b800000
	s_delay_alu instid0(VALU_DEP_3) | instskip(NEXT) | instid1(VALU_DEP_1)
	v_lshlrev_b32_e32 v10, 20, v10
	v_or3_b32 v11, v11, v12, v10
.LBB6_2898:                             ;   in Loop: Header=BB6_2717 Depth=2
	s_or_b32 exec_lo, exec_lo, s28
	s_delay_alu instid0(VALU_DEP_1) | instskip(SKIP_2) | instid1(VALU_DEP_2)
	v_mul_f32_e32 v10, s27, v11
	v_mov_b32_e32 v66, 0x80
	s_mov_b32 s28, exec_lo
	v_and_b32_e32 v11, 0x7f800000, v10
	s_delay_alu instid0(VALU_DEP_1)
	v_cmpx_ne_u32_e32 0x7f800000, v11
	s_cbranch_execz .LBB6_2906
; %bb.2899:                             ;   in Loop: Header=BB6_2717 Depth=2
	v_mov_b32_e32 v66, 0
	s_mov_b32 s29, exec_lo
	v_cmpx_ne_u32_e32 0, v10
	s_cbranch_execz .LBB6_2905
; %bb.2900:                             ;   in Loop: Header=BB6_2717 Depth=2
	v_bfe_u32 v11, v10, 23, 8
	v_and_b32_e32 v12, 0x7fffff, v10
	s_delay_alu instid0(VALU_DEP_2) | instskip(SKIP_1) | instid1(VALU_DEP_3)
	v_sub_nc_u32_e32 v66, 0x78, v11
	v_cmp_gt_u32_e32 vcc_lo, 0x79, v11
	v_or_b32_e32 v70, 0x800000, v12
	s_delay_alu instid0(VALU_DEP_3) | instskip(SKIP_2) | instid1(VALU_DEP_3)
	v_cndmask_b32_e32 v66, 0, v66, vcc_lo
	v_cmp_eq_u32_e32 vcc_lo, 0, v11
	v_add_nc_u32_e32 v11, 0xffffff89, v11
	v_cndmask_b32_e64 v66, v66, 0x77, vcc_lo
	v_cndmask_b32_e32 v12, v70, v12, vcc_lo
	s_delay_alu instid0(VALU_DEP_3) | instskip(NEXT) | instid1(VALU_DEP_3)
	v_cndmask_b32_e64 v11, v11, 0xffffff8a, vcc_lo
	v_lshl_add_u32 v70, 0x100000, v66, -1
	s_delay_alu instid0(VALU_DEP_3) | instskip(SKIP_1) | instid1(VALU_DEP_4)
	v_lshrrev_b32_e32 v131, v66, v12
	v_lshlrev_b32_e64 v133, v66, 0x80000
	v_add_nc_u32_e32 v66, v66, v11
	s_delay_alu instid0(VALU_DEP_4) | instskip(NEXT) | instid1(VALU_DEP_4)
	v_and_b32_e32 v12, v70, v12
	v_bfe_u32 v132, v131, 20, 1
	s_delay_alu instid0(VALU_DEP_2) | instskip(NEXT) | instid1(VALU_DEP_2)
	v_cmp_eq_u32_e64 s12, v12, v133
	v_add_nc_u32_e32 v70, -1, v132
	s_delay_alu instid0(VALU_DEP_1) | instskip(SKIP_2) | instid1(VALU_DEP_2)
	v_cndmask_b32_e64 v12, 0, v70, s12
	v_lshrrev_b32_e32 v70, 23, v131
	s_mov_b32 s12, exec_lo
	v_add_nc_u32_e32 v12, v12, v131
	s_delay_alu instid0(VALU_DEP_2) | instskip(NEXT) | instid1(VALU_DEP_2)
	v_xor_b32_e32 v70, 1, v70
	v_and_b32_e32 v11, 0xfffff, v12
	s_delay_alu instid0(VALU_DEP_1) | instskip(NEXT) | instid1(VALU_DEP_3)
	v_add_nc_u32_e32 v12, v11, v131
                                        ; implicit-def: $vgpr11
	v_cmpx_ne_u32_e64 v66, v70
	s_xor_b32 s12, exec_lo, s12
; %bb.2901:                             ;   in Loop: Header=BB6_2717 Depth=2
	s_delay_alu instid0(VALU_DEP_2) | instskip(SKIP_2) | instid1(VALU_DEP_2)
	v_cmp_lt_u32_e32 vcc_lo, 0xffffff, v12
	v_sub_nc_u32_e32 v11, v66, v70
	v_cndmask_b32_e64 v66, 0, 1, vcc_lo
	v_add_co_ci_u32_e32 v11, vcc_lo, 0, v11, vcc_lo
	s_delay_alu instid0(VALU_DEP_2)
	v_lshrrev_b32_e32 v12, v66, v12
; %bb.2902:                             ;   in Loop: Header=BB6_2717 Depth=2
	s_and_not1_saveexec_b32 s12, s12
; %bb.2903:                             ;   in Loop: Header=BB6_2717 Depth=2
	s_delay_alu instid0(VALU_DEP_1)
	v_bfe_u32 v11, v12, 23, 1
; %bb.2904:                             ;   in Loop: Header=BB6_2717 Depth=2
	s_or_b32 exec_lo, exec_lo, s12
	v_lshrrev_b32_e32 v12, 20, v12
	s_delay_alu instid0(VALU_DEP_2) | instskip(SKIP_2) | instid1(VALU_DEP_3)
	v_min_i32_e32 v66, 15, v11
	v_cmp_gt_i32_e32 vcc_lo, 16, v11
	v_lshrrev_b32_e32 v10, 24, v10
	v_lshlrev_b32_e32 v66, 3, v66
	v_cndmask_b32_e32 v12, 7, v12, vcc_lo
	s_delay_alu instid0(VALU_DEP_3) | instskip(NEXT) | instid1(VALU_DEP_3)
	v_and_b32_e32 v10, 0x80, v10
	v_and_b32_e32 v66, 0xf8, v66
	s_delay_alu instid0(VALU_DEP_3) | instskip(SKIP_1) | instid1(VALU_DEP_2)
	v_and_b32_e32 v70, 7, v12
	v_or_b32_e32 v11, v11, v12
	v_or3_b32 v10, v66, v10, v70
	s_delay_alu instid0(VALU_DEP_2) | instskip(NEXT) | instid1(VALU_DEP_2)
	v_cmp_ne_u32_e32 vcc_lo, 0, v11
	v_cndmask_b32_e32 v66, 0, v10, vcc_lo
.LBB6_2905:                             ;   in Loop: Header=BB6_2717 Depth=2
	s_or_b32 exec_lo, exec_lo, s29
.LBB6_2906:                             ;   in Loop: Header=BB6_2717 Depth=2
	s_delay_alu instid0(SALU_CYCLE_1) | instskip(SKIP_3) | instid1(VALU_DEP_1)
	s_or_b32 exec_lo, exec_lo, s28
	v_lshrrev_b32_e32 v10, 24, v13
	s_mov_b32 s12, 0
	s_mov_b32 s29, exec_lo
                                        ; implicit-def: $sgpr28
	v_cmpx_lt_i16_e32 0x7f, v10
	s_xor_b32 s29, exec_lo, s29
	s_cbranch_execnz .LBB6_3232
; %bb.2907:                             ;   in Loop: Header=BB6_2717 Depth=2
	s_or_saveexec_b32 s29, s29
	v_mov_b32_e32 v11, s28
	s_xor_b32 exec_lo, exec_lo, s29
	s_cbranch_execnz .LBB6_3235
.LBB6_2908:                             ;   in Loop: Header=BB6_2717 Depth=2
	s_or_b32 exec_lo, exec_lo, s29
	s_and_saveexec_b32 s28, s12
	s_cbranch_execz .LBB6_2910
.LBB6_2909:                             ;   in Loop: Header=BB6_2717 Depth=2
	v_bfe_u32 v11, v13, 24, 3
	s_delay_alu instid0(VALU_DEP_1) | instskip(NEXT) | instid1(VALU_DEP_1)
	v_clz_i32_u32_e32 v12, v11
	v_min_u32_e32 v12, 32, v12
	s_delay_alu instid0(VALU_DEP_1) | instskip(SKIP_1) | instid1(VALU_DEP_2)
	v_subrev_nc_u32_e32 v70, 28, v12
	v_sub_nc_u32_e32 v12, 29, v12
	v_lshlrev_b32_e32 v10, v70, v10
	v_bfe_u32 v70, v13, 27, 4
	s_delay_alu instid0(VALU_DEP_2) | instskip(NEXT) | instid1(VALU_DEP_2)
	v_and_b32_e32 v10, 7, v10
	v_cmp_eq_u32_e32 vcc_lo, 0, v70
	v_cndmask_b32_e32 v12, v70, v12, vcc_lo
	s_delay_alu instid0(VALU_DEP_3) | instskip(NEXT) | instid1(VALU_DEP_2)
	v_dual_cndmask_b32 v10, v11, v10 :: v_dual_and_b32 v11, 0x80000000, v13
	v_lshl_add_u32 v12, v12, 23, 0x3b800000
	s_delay_alu instid0(VALU_DEP_2) | instskip(NEXT) | instid1(VALU_DEP_1)
	v_lshlrev_b32_e32 v10, 20, v10
	v_or3_b32 v11, v11, v12, v10
.LBB6_2910:                             ;   in Loop: Header=BB6_2717 Depth=2
	s_or_b32 exec_lo, exec_lo, s28
	s_delay_alu instid0(VALU_DEP_1) | instskip(SKIP_2) | instid1(VALU_DEP_2)
	v_mul_f32_e32 v10, s27, v11
	v_mov_b32_e32 v70, 0x8000
	s_mov_b32 s27, exec_lo
	v_and_b32_e32 v11, 0x7f800000, v10
	s_delay_alu instid0(VALU_DEP_1)
	v_cmpx_ne_u32_e32 0x7f800000, v11
	s_cbranch_execz .LBB6_2918
; %bb.2911:                             ;   in Loop: Header=BB6_2717 Depth=2
	v_mov_b32_e32 v70, 0
	s_mov_b32 s28, exec_lo
	v_cmpx_ne_u32_e32 0, v10
	s_cbranch_execz .LBB6_2917
; %bb.2912:                             ;   in Loop: Header=BB6_2717 Depth=2
	v_bfe_u32 v11, v10, 23, 8
	s_delay_alu instid0(VALU_DEP_1) | instskip(SKIP_1) | instid1(VALU_DEP_2)
	v_sub_nc_u32_e32 v13, 0x78, v11
	v_cmp_gt_u32_e32 vcc_lo, 0x79, v11
	v_dual_cndmask_b32 v13, 0, v13 :: v_dual_and_b32 v12, 0x7fffff, v10
	s_delay_alu instid0(VALU_DEP_1) | instskip(SKIP_2) | instid1(VALU_DEP_4)
	v_or_b32_e32 v70, 0x800000, v12
	v_cmp_eq_u32_e32 vcc_lo, 0, v11
	v_add_nc_u32_e32 v11, 0xffffff89, v11
	v_cndmask_b32_e64 v13, v13, 0x77, vcc_lo
	s_delay_alu instid0(VALU_DEP_4) | instskip(NEXT) | instid1(VALU_DEP_3)
	v_cndmask_b32_e32 v12, v70, v12, vcc_lo
	v_cndmask_b32_e64 v11, v11, 0xffffff8a, vcc_lo
	s_delay_alu instid0(VALU_DEP_3) | instskip(NEXT) | instid1(VALU_DEP_3)
	v_lshl_add_u32 v70, 0x100000, v13, -1
	v_lshrrev_b32_e32 v131, v13, v12
	v_lshlrev_b32_e64 v133, v13, 0x80000
	s_delay_alu instid0(VALU_DEP_4) | instskip(NEXT) | instid1(VALU_DEP_4)
	v_add_nc_u32_e32 v13, v13, v11
	v_and_b32_e32 v12, v70, v12
	s_delay_alu instid0(VALU_DEP_4) | instskip(NEXT) | instid1(VALU_DEP_2)
	v_bfe_u32 v132, v131, 20, 1
	v_cmp_eq_u32_e64 s12, v12, v133
	s_delay_alu instid0(VALU_DEP_2) | instskip(NEXT) | instid1(VALU_DEP_1)
	v_add_nc_u32_e32 v70, -1, v132
	v_cndmask_b32_e64 v12, 0, v70, s12
	v_lshrrev_b32_e32 v70, 23, v131
	s_mov_b32 s12, exec_lo
	s_delay_alu instid0(VALU_DEP_2) | instskip(NEXT) | instid1(VALU_DEP_2)
	v_add_nc_u32_e32 v12, v12, v131
	v_xor_b32_e32 v70, 1, v70
	s_delay_alu instid0(VALU_DEP_2) | instskip(NEXT) | instid1(VALU_DEP_1)
	v_and_b32_e32 v11, 0xfffff, v12
	v_add_nc_u32_e32 v12, v11, v131
                                        ; implicit-def: $vgpr11
	s_delay_alu instid0(VALU_DEP_3)
	v_cmpx_ne_u32_e64 v13, v70
	s_xor_b32 s12, exec_lo, s12
; %bb.2913:                             ;   in Loop: Header=BB6_2717 Depth=2
	s_delay_alu instid0(VALU_DEP_2) | instskip(SKIP_2) | instid1(VALU_DEP_2)
	v_cmp_lt_u32_e32 vcc_lo, 0xffffff, v12
	v_sub_nc_u32_e32 v11, v13, v70
	v_cndmask_b32_e64 v13, 0, 1, vcc_lo
	v_add_co_ci_u32_e32 v11, vcc_lo, 0, v11, vcc_lo
	s_delay_alu instid0(VALU_DEP_2)
	v_lshrrev_b32_e32 v12, v13, v12
; %bb.2914:                             ;   in Loop: Header=BB6_2717 Depth=2
	s_and_not1_saveexec_b32 s12, s12
; %bb.2915:                             ;   in Loop: Header=BB6_2717 Depth=2
	s_delay_alu instid0(VALU_DEP_1)
	v_bfe_u32 v11, v12, 23, 1
; %bb.2916:                             ;   in Loop: Header=BB6_2717 Depth=2
	s_or_b32 exec_lo, exec_lo, s12
	v_lshrrev_b32_e32 v12, 20, v12
	s_delay_alu instid0(VALU_DEP_2) | instskip(SKIP_2) | instid1(VALU_DEP_2)
	v_cmp_gt_i32_e32 vcc_lo, 16, v11
	v_min_i32_e32 v13, 15, v11
	v_lshrrev_b32_e32 v10, 24, v10
	v_dual_cndmask_b32 v12, 7, v12 :: v_dual_lshlrev_b32 v13, 3, v13
	s_delay_alu instid0(VALU_DEP_2) | instskip(NEXT) | instid1(VALU_DEP_2)
	v_and_b32_e32 v10, 0x80, v10
	v_or_b32_e32 v11, v11, v12
	v_and_b32_e32 v70, 7, v12
	s_delay_alu instid0(VALU_DEP_2) | instskip(SKIP_1) | instid1(VALU_DEP_1)
	v_cmp_ne_u32_e32 vcc_lo, 0, v11
	v_and_b32_e32 v13, 0xf8, v13
	v_or3_b32 v10, v10, v13, v70
	s_delay_alu instid0(VALU_DEP_1) | instskip(NEXT) | instid1(VALU_DEP_1)
	v_lshlrev_b32_e32 v10, 8, v10
	v_cndmask_b32_e32 v70, 0, v10, vcc_lo
.LBB6_2917:                             ;   in Loop: Header=BB6_2717 Depth=2
	s_or_b32 exec_lo, exec_lo, s28
.LBB6_2918:                             ;   in Loop: Header=BB6_2717 Depth=2
	s_delay_alu instid0(SALU_CYCLE_1) | instskip(SKIP_4) | instid1(VALU_DEP_1)
	s_or_b32 exec_lo, exec_lo, s27
	global_load_b128 v[10:13], v[16:17], off slc dlc
	v_and_b32_e32 v132, 0xff, v25
	s_mov_b32 s12, 0
	s_mov_b32 s28, exec_lo
                                        ; implicit-def: $sgpr27
	v_cmpx_lt_i16_e64 0x7f, v132
	s_xor_b32 s28, exec_lo, s28
	s_cbranch_execnz .LBB6_3236
; %bb.2919:                             ;   in Loop: Header=BB6_2717 Depth=2
	s_or_saveexec_b32 s28, s28
	v_mov_b32_e32 v131, s27
	s_xor_b32 exec_lo, exec_lo, s28
	s_cbranch_execnz .LBB6_3239
.LBB6_2920:                             ;   in Loop: Header=BB6_2717 Depth=2
	s_or_b32 exec_lo, exec_lo, s28
	s_and_saveexec_b32 s27, s12
	s_cbranch_execz .LBB6_2922
.LBB6_2921:                             ;   in Loop: Header=BB6_2717 Depth=2
	v_bfe_u32 v134, v25, 3, 4
	s_delay_alu instid0(VALU_DEP_1) | instskip(SKIP_1) | instid1(VALU_DEP_1)
	v_cmp_eq_u32_e32 vcc_lo, 0, v134
	v_and_b32_e32 v131, 7, v25
	v_clz_i32_u32_e32 v132, v131
	s_delay_alu instid0(VALU_DEP_1) | instskip(NEXT) | instid1(VALU_DEP_1)
	v_min_u32_e32 v132, 32, v132
	v_subrev_nc_u32_e32 v133, 28, v132
	v_sub_nc_u32_e32 v132, 29, v132
	s_delay_alu instid0(VALU_DEP_1) | instskip(SKIP_1) | instid1(VALU_DEP_2)
	v_dual_cndmask_b32 v132, v134, v132 :: v_dual_lshlrev_b32 v133, v133, v25
	v_lshlrev_b32_e32 v25, 24, v25
	v_and_b32_e32 v133, 7, v133
	s_delay_alu instid0(VALU_DEP_3) | instskip(NEXT) | instid1(VALU_DEP_3)
	v_lshl_add_u32 v132, v132, 23, 0x3b800000
	v_and_b32_e32 v25, 0x80000000, v25
	s_delay_alu instid0(VALU_DEP_3) | instskip(NEXT) | instid1(VALU_DEP_1)
	v_cndmask_b32_e32 v131, v131, v133, vcc_lo
	v_lshlrev_b32_e32 v131, 20, v131
	s_delay_alu instid0(VALU_DEP_1)
	v_or3_b32 v131, v25, v132, v131
.LBB6_2922:                             ;   in Loop: Header=BB6_2717 Depth=2
	s_or_b32 exec_lo, exec_lo, s27
	s_waitcnt vmcnt(0)
	v_and_b32_e32 v132, 0xff, v10
	s_mov_b32 s12, 0
	s_mov_b32 s28, exec_lo
                                        ; implicit-def: $sgpr27
	s_delay_alu instid0(VALU_DEP_1)
	v_cmpx_lt_i16_e64 0x7f, v132
	s_xor_b32 s28, exec_lo, s28
	s_cbranch_execnz .LBB6_3240
; %bb.2923:                             ;   in Loop: Header=BB6_2717 Depth=2
	s_or_saveexec_b32 s28, s28
	v_mov_b32_e32 v25, s27
	s_xor_b32 exec_lo, exec_lo, s28
	s_cbranch_execnz .LBB6_3243
.LBB6_2924:                             ;   in Loop: Header=BB6_2717 Depth=2
	s_or_b32 exec_lo, exec_lo, s28
	s_and_saveexec_b32 s27, s12
	s_cbranch_execz .LBB6_2926
.LBB6_2925:                             ;   in Loop: Header=BB6_2717 Depth=2
	v_bfe_u32 v134, v10, 3, 4
	v_lshlrev_b32_e32 v135, 24, v10
	s_delay_alu instid0(VALU_DEP_2) | instskip(SKIP_1) | instid1(VALU_DEP_1)
	v_cmp_eq_u32_e32 vcc_lo, 0, v134
	v_and_b32_e32 v25, 7, v10
	v_clz_i32_u32_e32 v132, v25
	s_delay_alu instid0(VALU_DEP_1) | instskip(NEXT) | instid1(VALU_DEP_1)
	v_min_u32_e32 v132, 32, v132
	v_subrev_nc_u32_e32 v133, 28, v132
	v_sub_nc_u32_e32 v132, 29, v132
	s_delay_alu instid0(VALU_DEP_1) | instskip(NEXT) | instid1(VALU_DEP_1)
	v_dual_cndmask_b32 v132, v134, v132 :: v_dual_lshlrev_b32 v133, v133, v10
	v_and_b32_e32 v133, 7, v133
	s_delay_alu instid0(VALU_DEP_2) | instskip(NEXT) | instid1(VALU_DEP_2)
	v_lshl_add_u32 v132, v132, 23, 0x3b800000
	v_cndmask_b32_e32 v25, v25, v133, vcc_lo
	v_and_b32_e32 v133, 0x80000000, v135
	s_delay_alu instid0(VALU_DEP_2) | instskip(NEXT) | instid1(VALU_DEP_1)
	v_lshlrev_b32_e32 v25, 20, v25
	v_or3_b32 v25, v133, v132, v25
.LBB6_2926:                             ;   in Loop: Header=BB6_2717 Depth=2
	s_or_b32 exec_lo, exec_lo, s27
	s_delay_alu instid0(VALU_DEP_1) | instskip(NEXT) | instid1(VALU_DEP_1)
	v_add_f32_e32 v131, v131, v25
	v_and_b32_e32 v25, 0x7f800000, v131
	s_delay_alu instid0(VALU_DEP_1)
	v_cmp_ne_u32_e32 vcc_lo, 0x7f800000, v25
	v_mov_b32_e32 v25, 0x80
	s_and_saveexec_b32 s27, vcc_lo
	s_cbranch_execz .LBB6_2934
; %bb.2927:                             ;   in Loop: Header=BB6_2717 Depth=2
	v_mov_b32_e32 v25, 0
	s_mov_b32 s28, exec_lo
	v_cmpx_ne_u32_e32 0, v131
	s_cbranch_execz .LBB6_2933
; %bb.2928:                             ;   in Loop: Header=BB6_2717 Depth=2
	v_bfe_u32 v25, v131, 23, 8
	s_delay_alu instid0(VALU_DEP_1) | instskip(SKIP_1) | instid1(VALU_DEP_2)
	v_sub_nc_u32_e32 v133, 0x78, v25
	v_cmp_gt_u32_e32 vcc_lo, 0x79, v25
	v_dual_cndmask_b32 v133, 0, v133 :: v_dual_and_b32 v132, 0x7fffff, v131
	s_delay_alu instid0(VALU_DEP_1) | instskip(SKIP_2) | instid1(VALU_DEP_4)
	v_or_b32_e32 v134, 0x800000, v132
	v_cmp_eq_u32_e32 vcc_lo, 0, v25
	v_add_nc_u32_e32 v25, 0xffffff89, v25
	v_cndmask_b32_e64 v133, v133, 0x77, vcc_lo
	s_delay_alu instid0(VALU_DEP_4) | instskip(NEXT) | instid1(VALU_DEP_3)
	v_cndmask_b32_e32 v132, v134, v132, vcc_lo
	v_cndmask_b32_e64 v25, v25, 0xffffff8a, vcc_lo
	s_delay_alu instid0(VALU_DEP_3) | instskip(NEXT) | instid1(VALU_DEP_3)
	v_lshl_add_u32 v134, 0x100000, v133, -1
	v_lshrrev_b32_e32 v135, v133, v132
	v_lshlrev_b32_e64 v145, v133, 0x80000
	s_delay_alu instid0(VALU_DEP_4) | instskip(NEXT) | instid1(VALU_DEP_4)
	v_add_nc_u32_e32 v133, v133, v25
	v_and_b32_e32 v132, v134, v132
	s_delay_alu instid0(VALU_DEP_4) | instskip(NEXT) | instid1(VALU_DEP_2)
	v_bfe_u32 v144, v135, 20, 1
	v_cmp_eq_u32_e64 s12, v132, v145
	s_delay_alu instid0(VALU_DEP_2) | instskip(NEXT) | instid1(VALU_DEP_1)
	v_add_nc_u32_e32 v134, -1, v144
	v_cndmask_b32_e64 v132, 0, v134, s12
	v_lshrrev_b32_e32 v134, 23, v135
	s_mov_b32 s12, exec_lo
	s_delay_alu instid0(VALU_DEP_2) | instskip(NEXT) | instid1(VALU_DEP_2)
	v_add_nc_u32_e32 v132, v132, v135
	v_xor_b32_e32 v134, 1, v134
	s_delay_alu instid0(VALU_DEP_2) | instskip(NEXT) | instid1(VALU_DEP_1)
	v_and_b32_e32 v25, 0xfffff, v132
	v_add_nc_u32_e32 v132, v25, v135
                                        ; implicit-def: $vgpr25
	s_delay_alu instid0(VALU_DEP_3)
	v_cmpx_ne_u32_e64 v133, v134
	s_xor_b32 s12, exec_lo, s12
; %bb.2929:                             ;   in Loop: Header=BB6_2717 Depth=2
	s_delay_alu instid0(VALU_DEP_2) | instskip(SKIP_2) | instid1(VALU_DEP_2)
	v_cmp_lt_u32_e32 vcc_lo, 0xffffff, v132
	v_sub_nc_u32_e32 v25, v133, v134
	v_cndmask_b32_e64 v133, 0, 1, vcc_lo
	v_add_co_ci_u32_e32 v25, vcc_lo, 0, v25, vcc_lo
	s_delay_alu instid0(VALU_DEP_2)
	v_lshrrev_b32_e32 v132, v133, v132
; %bb.2930:                             ;   in Loop: Header=BB6_2717 Depth=2
	s_and_not1_saveexec_b32 s12, s12
; %bb.2931:                             ;   in Loop: Header=BB6_2717 Depth=2
	s_delay_alu instid0(VALU_DEP_1)
	v_bfe_u32 v25, v132, 23, 1
; %bb.2932:                             ;   in Loop: Header=BB6_2717 Depth=2
	s_or_b32 exec_lo, exec_lo, s12
	v_lshrrev_b32_e32 v132, 20, v132
	s_delay_alu instid0(VALU_DEP_2) | instskip(SKIP_2) | instid1(VALU_DEP_2)
	v_cmp_gt_i32_e32 vcc_lo, 16, v25
	v_lshrrev_b32_e32 v131, 24, v131
	v_min_i32_e32 v133, 15, v25
	v_dual_cndmask_b32 v132, 7, v132 :: v_dual_and_b32 v131, 0x80, v131
	s_delay_alu instid0(VALU_DEP_2) | instskip(NEXT) | instid1(VALU_DEP_2)
	v_lshlrev_b32_e32 v133, 3, v133
	v_or_b32_e32 v25, v25, v132
	s_delay_alu instid0(VALU_DEP_1) | instskip(SKIP_1) | instid1(VALU_DEP_1)
	v_cmp_ne_u32_e32 vcc_lo, 0, v25
	v_and_b32_e32 v134, 7, v132
	v_or3_b32 v131, v133, v131, v134
	s_delay_alu instid0(VALU_DEP_1)
	v_cndmask_b32_e32 v25, 0, v131, vcc_lo
.LBB6_2933:                             ;   in Loop: Header=BB6_2717 Depth=2
	s_or_b32 exec_lo, exec_lo, s28
.LBB6_2934:                             ;   in Loop: Header=BB6_2717 Depth=2
	s_delay_alu instid0(SALU_CYCLE_1) | instskip(SKIP_3) | instid1(VALU_DEP_1)
	s_or_b32 exec_lo, exec_lo, s27
	v_and_b32_e32 v132, 0xff, v69
	s_mov_b32 s12, 0
	s_mov_b32 s28, exec_lo
                                        ; implicit-def: $sgpr27
	v_cmpx_lt_i16_e64 0x7f, v132
	s_xor_b32 s28, exec_lo, s28
	s_cbranch_execnz .LBB6_3244
; %bb.2935:                             ;   in Loop: Header=BB6_2717 Depth=2
	s_or_saveexec_b32 s28, s28
	v_mov_b32_e32 v131, s27
	s_xor_b32 exec_lo, exec_lo, s28
	s_cbranch_execnz .LBB6_3247
.LBB6_2936:                             ;   in Loop: Header=BB6_2717 Depth=2
	s_or_b32 exec_lo, exec_lo, s28
	s_and_saveexec_b32 s27, s12
	s_cbranch_execz .LBB6_2938
.LBB6_2937:                             ;   in Loop: Header=BB6_2717 Depth=2
	v_bfe_u32 v134, v69, 3, 4
	s_delay_alu instid0(VALU_DEP_1) | instskip(SKIP_1) | instid1(VALU_DEP_1)
	v_cmp_eq_u32_e32 vcc_lo, 0, v134
	v_and_b32_e32 v131, 7, v69
	v_clz_i32_u32_e32 v132, v131
	s_delay_alu instid0(VALU_DEP_1) | instskip(NEXT) | instid1(VALU_DEP_1)
	v_min_u32_e32 v132, 32, v132
	v_subrev_nc_u32_e32 v133, 28, v132
	v_sub_nc_u32_e32 v132, 29, v132
	s_delay_alu instid0(VALU_DEP_1) | instskip(SKIP_1) | instid1(VALU_DEP_2)
	v_dual_cndmask_b32 v132, v134, v132 :: v_dual_lshlrev_b32 v133, v133, v69
	v_lshlrev_b32_e32 v69, 24, v69
	v_and_b32_e32 v133, 7, v133
	s_delay_alu instid0(VALU_DEP_3) | instskip(NEXT) | instid1(VALU_DEP_3)
	v_lshl_add_u32 v132, v132, 23, 0x3b800000
	v_and_b32_e32 v69, 0x80000000, v69
	s_delay_alu instid0(VALU_DEP_3) | instskip(NEXT) | instid1(VALU_DEP_1)
	v_cndmask_b32_e32 v131, v131, v133, vcc_lo
	v_lshlrev_b32_e32 v131, 20, v131
	s_delay_alu instid0(VALU_DEP_1)
	v_or3_b32 v131, v69, v132, v131
.LBB6_2938:                             ;   in Loop: Header=BB6_2717 Depth=2
	s_or_b32 exec_lo, exec_lo, s27
	v_lshrrev_b16 v69, 8, v10
	s_mov_b32 s12, 0
	s_mov_b32 s28, exec_lo
                                        ; implicit-def: $sgpr27
	s_delay_alu instid0(VALU_DEP_1)
	v_cmpx_lt_i16_e32 0x7f, v69
	s_xor_b32 s28, exec_lo, s28
	s_cbranch_execnz .LBB6_3248
; %bb.2939:                             ;   in Loop: Header=BB6_2717 Depth=2
	s_or_saveexec_b32 s28, s28
	v_mov_b32_e32 v132, s27
	s_xor_b32 exec_lo, exec_lo, s28
	s_cbranch_execnz .LBB6_3251
.LBB6_2940:                             ;   in Loop: Header=BB6_2717 Depth=2
	s_or_b32 exec_lo, exec_lo, s28
	s_and_saveexec_b32 s27, s12
	s_cbranch_execz .LBB6_2942
.LBB6_2941:                             ;   in Loop: Header=BB6_2717 Depth=2
	v_and_b32_e32 v132, 0xffff, v69
	v_lshlrev_b32_e32 v69, 24, v69
	s_delay_alu instid0(VALU_DEP_2) | instskip(NEXT) | instid1(VALU_DEP_2)
	v_and_b32_e32 v133, 7, v132
	v_and_b32_e32 v69, 0x80000000, v69
	s_delay_alu instid0(VALU_DEP_2) | instskip(NEXT) | instid1(VALU_DEP_1)
	v_clz_i32_u32_e32 v134, v133
	v_min_u32_e32 v134, 32, v134
	s_delay_alu instid0(VALU_DEP_1) | instskip(SKIP_1) | instid1(VALU_DEP_2)
	v_subrev_nc_u32_e32 v135, 28, v134
	v_sub_nc_u32_e32 v134, 29, v134
	v_lshlrev_b32_e32 v135, v135, v132
	v_bfe_u32 v132, v132, 3, 4
	s_delay_alu instid0(VALU_DEP_2) | instskip(NEXT) | instid1(VALU_DEP_2)
	v_and_b32_e32 v135, 7, v135
	v_cmp_eq_u32_e32 vcc_lo, 0, v132
	s_delay_alu instid0(VALU_DEP_2) | instskip(NEXT) | instid1(VALU_DEP_1)
	v_dual_cndmask_b32 v132, v132, v134 :: v_dual_cndmask_b32 v133, v133, v135
	v_lshl_add_u32 v132, v132, 23, 0x3b800000
	s_delay_alu instid0(VALU_DEP_2) | instskip(NEXT) | instid1(VALU_DEP_1)
	v_lshlrev_b32_e32 v133, 20, v133
	v_or3_b32 v132, v69, v132, v133
.LBB6_2942:                             ;   in Loop: Header=BB6_2717 Depth=2
	s_or_b32 exec_lo, exec_lo, s27
	s_delay_alu instid0(VALU_DEP_1) | instskip(NEXT) | instid1(VALU_DEP_1)
	v_add_f32_e32 v131, v131, v132
	v_and_b32_e32 v69, 0x7f800000, v131
	s_delay_alu instid0(VALU_DEP_1)
	v_cmp_ne_u32_e32 vcc_lo, 0x7f800000, v69
	v_mov_b32_e32 v69, 0x80
	s_and_saveexec_b32 s27, vcc_lo
	s_cbranch_execz .LBB6_2950
; %bb.2943:                             ;   in Loop: Header=BB6_2717 Depth=2
	v_mov_b32_e32 v69, 0
	s_mov_b32 s28, exec_lo
	v_cmpx_ne_u32_e32 0, v131
	s_cbranch_execz .LBB6_2949
; %bb.2944:                             ;   in Loop: Header=BB6_2717 Depth=2
	v_bfe_u32 v69, v131, 23, 8
	s_delay_alu instid0(VALU_DEP_1) | instskip(SKIP_1) | instid1(VALU_DEP_2)
	v_sub_nc_u32_e32 v133, 0x78, v69
	v_cmp_gt_u32_e32 vcc_lo, 0x79, v69
	v_dual_cndmask_b32 v133, 0, v133 :: v_dual_and_b32 v132, 0x7fffff, v131
	s_delay_alu instid0(VALU_DEP_1) | instskip(SKIP_2) | instid1(VALU_DEP_4)
	v_or_b32_e32 v134, 0x800000, v132
	v_cmp_eq_u32_e32 vcc_lo, 0, v69
	v_add_nc_u32_e32 v69, 0xffffff89, v69
	v_cndmask_b32_e64 v133, v133, 0x77, vcc_lo
	s_delay_alu instid0(VALU_DEP_4) | instskip(NEXT) | instid1(VALU_DEP_3)
	v_cndmask_b32_e32 v132, v134, v132, vcc_lo
	v_cndmask_b32_e64 v69, v69, 0xffffff8a, vcc_lo
	s_delay_alu instid0(VALU_DEP_3) | instskip(NEXT) | instid1(VALU_DEP_3)
	v_lshl_add_u32 v134, 0x100000, v133, -1
	v_lshrrev_b32_e32 v135, v133, v132
	v_lshlrev_b32_e64 v145, v133, 0x80000
	s_delay_alu instid0(VALU_DEP_4) | instskip(NEXT) | instid1(VALU_DEP_4)
	v_add_nc_u32_e32 v133, v133, v69
	v_and_b32_e32 v132, v134, v132
	s_delay_alu instid0(VALU_DEP_4) | instskip(NEXT) | instid1(VALU_DEP_2)
	v_bfe_u32 v144, v135, 20, 1
	v_cmp_eq_u32_e64 s12, v132, v145
	s_delay_alu instid0(VALU_DEP_2) | instskip(NEXT) | instid1(VALU_DEP_1)
	v_add_nc_u32_e32 v134, -1, v144
	v_cndmask_b32_e64 v132, 0, v134, s12
	v_lshrrev_b32_e32 v134, 23, v135
	s_mov_b32 s12, exec_lo
	s_delay_alu instid0(VALU_DEP_2) | instskip(NEXT) | instid1(VALU_DEP_2)
	v_add_nc_u32_e32 v132, v132, v135
	v_xor_b32_e32 v134, 1, v134
	s_delay_alu instid0(VALU_DEP_2) | instskip(NEXT) | instid1(VALU_DEP_1)
	v_and_b32_e32 v69, 0xfffff, v132
	v_add_nc_u32_e32 v132, v69, v135
                                        ; implicit-def: $vgpr69
	s_delay_alu instid0(VALU_DEP_3)
	v_cmpx_ne_u32_e64 v133, v134
	s_xor_b32 s12, exec_lo, s12
; %bb.2945:                             ;   in Loop: Header=BB6_2717 Depth=2
	s_delay_alu instid0(VALU_DEP_2) | instskip(SKIP_2) | instid1(VALU_DEP_2)
	v_cmp_lt_u32_e32 vcc_lo, 0xffffff, v132
	v_sub_nc_u32_e32 v69, v133, v134
	v_cndmask_b32_e64 v133, 0, 1, vcc_lo
	v_add_co_ci_u32_e32 v69, vcc_lo, 0, v69, vcc_lo
	s_delay_alu instid0(VALU_DEP_2)
	v_lshrrev_b32_e32 v132, v133, v132
; %bb.2946:                             ;   in Loop: Header=BB6_2717 Depth=2
	s_and_not1_saveexec_b32 s12, s12
; %bb.2947:                             ;   in Loop: Header=BB6_2717 Depth=2
	s_delay_alu instid0(VALU_DEP_1)
	v_bfe_u32 v69, v132, 23, 1
; %bb.2948:                             ;   in Loop: Header=BB6_2717 Depth=2
	s_or_b32 exec_lo, exec_lo, s12
	v_lshrrev_b32_e32 v132, 20, v132
	s_delay_alu instid0(VALU_DEP_2) | instskip(SKIP_2) | instid1(VALU_DEP_2)
	v_cmp_gt_i32_e32 vcc_lo, 16, v69
	v_lshrrev_b32_e32 v131, 24, v131
	v_min_i32_e32 v133, 15, v69
	v_dual_cndmask_b32 v132, 7, v132 :: v_dual_and_b32 v131, 0x80, v131
	s_delay_alu instid0(VALU_DEP_2) | instskip(NEXT) | instid1(VALU_DEP_2)
	v_lshlrev_b32_e32 v133, 3, v133
	v_or_b32_e32 v69, v69, v132
	s_delay_alu instid0(VALU_DEP_1) | instskip(SKIP_1) | instid1(VALU_DEP_1)
	v_cmp_ne_u32_e32 vcc_lo, 0, v69
	v_and_b32_e32 v134, 7, v132
	v_or3_b32 v131, v133, v131, v134
	s_delay_alu instid0(VALU_DEP_1)
	v_cndmask_b32_e32 v69, 0, v131, vcc_lo
.LBB6_2949:                             ;   in Loop: Header=BB6_2717 Depth=2
	s_or_b32 exec_lo, exec_lo, s28
.LBB6_2950:                             ;   in Loop: Header=BB6_2717 Depth=2
	s_delay_alu instid0(SALU_CYCLE_1) | instskip(SKIP_3) | instid1(VALU_DEP_1)
	s_or_b32 exec_lo, exec_lo, s27
	v_and_b32_e32 v132, 0xff, v117
	s_mov_b32 s12, 0
	s_mov_b32 s28, exec_lo
                                        ; implicit-def: $sgpr27
	v_cmpx_lt_i16_e64 0x7f, v132
	s_xor_b32 s28, exec_lo, s28
	s_cbranch_execnz .LBB6_3252
; %bb.2951:                             ;   in Loop: Header=BB6_2717 Depth=2
	s_or_saveexec_b32 s28, s28
	v_mov_b32_e32 v131, s27
	s_xor_b32 exec_lo, exec_lo, s28
	s_cbranch_execnz .LBB6_3255
.LBB6_2952:                             ;   in Loop: Header=BB6_2717 Depth=2
	s_or_b32 exec_lo, exec_lo, s28
	s_and_saveexec_b32 s27, s12
	s_cbranch_execz .LBB6_2954
.LBB6_2953:                             ;   in Loop: Header=BB6_2717 Depth=2
	v_bfe_u32 v134, v117, 3, 4
	s_delay_alu instid0(VALU_DEP_1) | instskip(SKIP_1) | instid1(VALU_DEP_1)
	v_cmp_eq_u32_e32 vcc_lo, 0, v134
	v_and_b32_e32 v131, 7, v117
	v_clz_i32_u32_e32 v132, v131
	s_delay_alu instid0(VALU_DEP_1) | instskip(NEXT) | instid1(VALU_DEP_1)
	v_min_u32_e32 v132, 32, v132
	v_subrev_nc_u32_e32 v133, 28, v132
	v_sub_nc_u32_e32 v132, 29, v132
	s_delay_alu instid0(VALU_DEP_1) | instskip(SKIP_1) | instid1(VALU_DEP_2)
	v_dual_cndmask_b32 v132, v134, v132 :: v_dual_lshlrev_b32 v133, v133, v117
	v_lshlrev_b32_e32 v117, 24, v117
	v_and_b32_e32 v133, 7, v133
	s_delay_alu instid0(VALU_DEP_3) | instskip(NEXT) | instid1(VALU_DEP_3)
	v_lshl_add_u32 v132, v132, 23, 0x3b800000
	v_and_b32_e32 v117, 0x80000000, v117
	s_delay_alu instid0(VALU_DEP_3) | instskip(NEXT) | instid1(VALU_DEP_1)
	v_cndmask_b32_e32 v131, v131, v133, vcc_lo
	v_lshlrev_b32_e32 v131, 20, v131
	s_delay_alu instid0(VALU_DEP_1)
	v_or3_b32 v131, v117, v132, v131
.LBB6_2954:                             ;   in Loop: Header=BB6_2717 Depth=2
	s_or_b32 exec_lo, exec_lo, s27
	v_lshrrev_b32_e32 v117, 16, v10
	s_mov_b32 s12, 0
	s_mov_b32 s28, exec_lo
                                        ; implicit-def: $sgpr27
	s_delay_alu instid0(VALU_DEP_1) | instskip(NEXT) | instid1(VALU_DEP_1)
	v_and_b32_e32 v133, 0xff, v117
	v_cmpx_lt_i16_e64 0x7f, v133
	s_xor_b32 s28, exec_lo, s28
	s_cbranch_execnz .LBB6_3256
; %bb.2955:                             ;   in Loop: Header=BB6_2717 Depth=2
	s_or_saveexec_b32 s28, s28
	v_mov_b32_e32 v132, s27
	s_xor_b32 exec_lo, exec_lo, s28
	s_cbranch_execnz .LBB6_3259
.LBB6_2956:                             ;   in Loop: Header=BB6_2717 Depth=2
	s_or_b32 exec_lo, exec_lo, s28
	s_and_saveexec_b32 s27, s12
	s_cbranch_execz .LBB6_2958
.LBB6_2957:                             ;   in Loop: Header=BB6_2717 Depth=2
	v_bfe_u32 v132, v10, 16, 3
	v_lshlrev_b32_e32 v135, 8, v10
	s_delay_alu instid0(VALU_DEP_2) | instskip(NEXT) | instid1(VALU_DEP_1)
	v_clz_i32_u32_e32 v133, v132
	v_min_u32_e32 v133, 32, v133
	s_delay_alu instid0(VALU_DEP_1) | instskip(SKIP_1) | instid1(VALU_DEP_2)
	v_subrev_nc_u32_e32 v134, 28, v133
	v_sub_nc_u32_e32 v133, 29, v133
	v_lshlrev_b32_e32 v117, v134, v117
	v_bfe_u32 v134, v10, 19, 4
	s_delay_alu instid0(VALU_DEP_2) | instskip(NEXT) | instid1(VALU_DEP_2)
	v_and_b32_e32 v117, 7, v117
	v_cmp_eq_u32_e32 vcc_lo, 0, v134
	v_cndmask_b32_e32 v133, v134, v133, vcc_lo
	s_delay_alu instid0(VALU_DEP_3) | instskip(NEXT) | instid1(VALU_DEP_2)
	v_dual_cndmask_b32 v117, v132, v117 :: v_dual_and_b32 v132, 0x80000000, v135
	v_lshl_add_u32 v133, v133, 23, 0x3b800000
	s_delay_alu instid0(VALU_DEP_2) | instskip(NEXT) | instid1(VALU_DEP_1)
	v_lshlrev_b32_e32 v117, 20, v117
	v_or3_b32 v132, v132, v133, v117
.LBB6_2958:                             ;   in Loop: Header=BB6_2717 Depth=2
	s_or_b32 exec_lo, exec_lo, s27
	s_delay_alu instid0(VALU_DEP_1) | instskip(NEXT) | instid1(VALU_DEP_1)
	v_add_f32_e32 v131, v131, v132
	v_and_b32_e32 v117, 0x7f800000, v131
	s_delay_alu instid0(VALU_DEP_1)
	v_cmp_ne_u32_e32 vcc_lo, 0x7f800000, v117
	v_mov_b32_e32 v117, 0x80
	s_and_saveexec_b32 s27, vcc_lo
	s_cbranch_execz .LBB6_2966
; %bb.2959:                             ;   in Loop: Header=BB6_2717 Depth=2
	v_mov_b32_e32 v117, 0
	s_mov_b32 s28, exec_lo
	v_cmpx_ne_u32_e32 0, v131
	s_cbranch_execz .LBB6_2965
; %bb.2960:                             ;   in Loop: Header=BB6_2717 Depth=2
	v_bfe_u32 v117, v131, 23, 8
	s_delay_alu instid0(VALU_DEP_1) | instskip(SKIP_1) | instid1(VALU_DEP_2)
	v_sub_nc_u32_e32 v133, 0x78, v117
	v_cmp_gt_u32_e32 vcc_lo, 0x79, v117
	v_dual_cndmask_b32 v133, 0, v133 :: v_dual_and_b32 v132, 0x7fffff, v131
	s_delay_alu instid0(VALU_DEP_1) | instskip(SKIP_2) | instid1(VALU_DEP_4)
	v_or_b32_e32 v134, 0x800000, v132
	v_cmp_eq_u32_e32 vcc_lo, 0, v117
	v_add_nc_u32_e32 v117, 0xffffff89, v117
	v_cndmask_b32_e64 v133, v133, 0x77, vcc_lo
	s_delay_alu instid0(VALU_DEP_4) | instskip(NEXT) | instid1(VALU_DEP_3)
	v_cndmask_b32_e32 v132, v134, v132, vcc_lo
	v_cndmask_b32_e64 v117, v117, 0xffffff8a, vcc_lo
	s_delay_alu instid0(VALU_DEP_3) | instskip(NEXT) | instid1(VALU_DEP_3)
	v_lshl_add_u32 v134, 0x100000, v133, -1
	v_lshrrev_b32_e32 v135, v133, v132
	v_lshlrev_b32_e64 v145, v133, 0x80000
	s_delay_alu instid0(VALU_DEP_4) | instskip(NEXT) | instid1(VALU_DEP_4)
	v_add_nc_u32_e32 v133, v133, v117
	v_and_b32_e32 v132, v134, v132
	s_delay_alu instid0(VALU_DEP_4) | instskip(NEXT) | instid1(VALU_DEP_2)
	v_bfe_u32 v144, v135, 20, 1
	v_cmp_eq_u32_e64 s12, v132, v145
	s_delay_alu instid0(VALU_DEP_2) | instskip(NEXT) | instid1(VALU_DEP_1)
	v_add_nc_u32_e32 v134, -1, v144
	v_cndmask_b32_e64 v132, 0, v134, s12
	v_lshrrev_b32_e32 v134, 23, v135
	s_mov_b32 s12, exec_lo
	s_delay_alu instid0(VALU_DEP_2) | instskip(NEXT) | instid1(VALU_DEP_2)
	v_add_nc_u32_e32 v132, v132, v135
	v_xor_b32_e32 v134, 1, v134
	s_delay_alu instid0(VALU_DEP_2) | instskip(NEXT) | instid1(VALU_DEP_1)
	v_and_b32_e32 v117, 0xfffff, v132
	v_add_nc_u32_e32 v132, v117, v135
                                        ; implicit-def: $vgpr117
	s_delay_alu instid0(VALU_DEP_3)
	v_cmpx_ne_u32_e64 v133, v134
	s_xor_b32 s12, exec_lo, s12
; %bb.2961:                             ;   in Loop: Header=BB6_2717 Depth=2
	s_delay_alu instid0(VALU_DEP_2) | instskip(SKIP_2) | instid1(VALU_DEP_2)
	v_cmp_lt_u32_e32 vcc_lo, 0xffffff, v132
	v_sub_nc_u32_e32 v117, v133, v134
	v_cndmask_b32_e64 v133, 0, 1, vcc_lo
	v_add_co_ci_u32_e32 v117, vcc_lo, 0, v117, vcc_lo
	s_delay_alu instid0(VALU_DEP_2)
	v_lshrrev_b32_e32 v132, v133, v132
; %bb.2962:                             ;   in Loop: Header=BB6_2717 Depth=2
	s_and_not1_saveexec_b32 s12, s12
; %bb.2963:                             ;   in Loop: Header=BB6_2717 Depth=2
	s_delay_alu instid0(VALU_DEP_1)
	v_bfe_u32 v117, v132, 23, 1
; %bb.2964:                             ;   in Loop: Header=BB6_2717 Depth=2
	s_or_b32 exec_lo, exec_lo, s12
	v_lshrrev_b32_e32 v132, 20, v132
	s_delay_alu instid0(VALU_DEP_2) | instskip(SKIP_2) | instid1(VALU_DEP_2)
	v_cmp_gt_i32_e32 vcc_lo, 16, v117
	v_lshrrev_b32_e32 v131, 24, v131
	v_min_i32_e32 v133, 15, v117
	v_dual_cndmask_b32 v132, 7, v132 :: v_dual_and_b32 v131, 0x80, v131
	s_delay_alu instid0(VALU_DEP_2) | instskip(NEXT) | instid1(VALU_DEP_2)
	v_lshlrev_b32_e32 v133, 3, v133
	v_or_b32_e32 v117, v117, v132
	s_delay_alu instid0(VALU_DEP_1) | instskip(SKIP_1) | instid1(VALU_DEP_1)
	v_cmp_ne_u32_e32 vcc_lo, 0, v117
	v_and_b32_e32 v134, 7, v132
	v_or3_b32 v131, v133, v131, v134
	s_delay_alu instid0(VALU_DEP_1)
	v_cndmask_b32_e32 v117, 0, v131, vcc_lo
.LBB6_2965:                             ;   in Loop: Header=BB6_2717 Depth=2
	s_or_b32 exec_lo, exec_lo, s28
.LBB6_2966:                             ;   in Loop: Header=BB6_2717 Depth=2
	s_delay_alu instid0(SALU_CYCLE_1) | instskip(SKIP_3) | instid1(VALU_DEP_1)
	s_or_b32 exec_lo, exec_lo, s27
	v_and_b32_e32 v132, 0xff, v128
	s_mov_b32 s12, 0
	s_mov_b32 s28, exec_lo
                                        ; implicit-def: $sgpr27
	v_cmpx_lt_i16_e64 0x7f, v132
	s_xor_b32 s28, exec_lo, s28
	s_cbranch_execnz .LBB6_3260
; %bb.2967:                             ;   in Loop: Header=BB6_2717 Depth=2
	s_or_saveexec_b32 s28, s28
	v_mov_b32_e32 v131, s27
	s_xor_b32 exec_lo, exec_lo, s28
	s_cbranch_execnz .LBB6_3263
.LBB6_2968:                             ;   in Loop: Header=BB6_2717 Depth=2
	s_or_b32 exec_lo, exec_lo, s28
	s_and_saveexec_b32 s27, s12
	s_cbranch_execz .LBB6_2970
.LBB6_2969:                             ;   in Loop: Header=BB6_2717 Depth=2
	v_lshlrev_b32_e32 v128, 8, v128
	s_delay_alu instid0(VALU_DEP_1) | instskip(SKIP_1) | instid1(VALU_DEP_2)
	v_and_b32_e32 v131, 0xff00, v128
	v_bfe_u32 v128, v128, 11, 4
	v_bfe_u32 v133, v131, 8, 3
	s_delay_alu instid0(VALU_DEP_2) | instskip(NEXT) | instid1(VALU_DEP_2)
	v_cmp_eq_u32_e32 vcc_lo, 0, v128
	v_clz_i32_u32_e32 v134, v133
	s_delay_alu instid0(VALU_DEP_1) | instskip(NEXT) | instid1(VALU_DEP_1)
	v_min_u32_e32 v134, 32, v134
	v_subrev_nc_u32_e32 v135, 28, v134
	v_sub_nc_u32_e32 v134, 29, v134
	s_delay_alu instid0(VALU_DEP_2) | instskip(NEXT) | instid1(VALU_DEP_2)
	v_lshlrev_b32_e32 v132, v135, v132
	v_cndmask_b32_e32 v128, v128, v134, vcc_lo
	s_delay_alu instid0(VALU_DEP_2) | instskip(SKIP_1) | instid1(VALU_DEP_3)
	v_and_b32_e32 v132, 7, v132
	v_lshlrev_b32_e32 v131, 16, v131
	v_lshl_add_u32 v128, v128, 23, 0x3b800000
	s_delay_alu instid0(VALU_DEP_2) | instskip(NEXT) | instid1(VALU_DEP_1)
	v_dual_cndmask_b32 v132, v133, v132 :: v_dual_and_b32 v131, 0x80000000, v131
	v_lshlrev_b32_e32 v132, 20, v132
	s_delay_alu instid0(VALU_DEP_1)
	v_or3_b32 v131, v131, v128, v132
.LBB6_2970:                             ;   in Loop: Header=BB6_2717 Depth=2
	s_or_b32 exec_lo, exec_lo, s27
	v_lshrrev_b32_e32 v128, 24, v10
	s_mov_b32 s12, 0
	s_mov_b32 s28, exec_lo
                                        ; implicit-def: $sgpr27
	s_delay_alu instid0(VALU_DEP_1)
	v_cmpx_lt_i16_e64 0x7f, v128
	s_xor_b32 s28, exec_lo, s28
	s_cbranch_execnz .LBB6_3264
; %bb.2971:                             ;   in Loop: Header=BB6_2717 Depth=2
	s_or_saveexec_b32 s28, s28
	v_mov_b32_e32 v132, s27
	s_xor_b32 exec_lo, exec_lo, s28
	s_cbranch_execnz .LBB6_3267
.LBB6_2972:                             ;   in Loop: Header=BB6_2717 Depth=2
	s_or_b32 exec_lo, exec_lo, s28
	s_and_saveexec_b32 s27, s12
	s_cbranch_execz .LBB6_2974
.LBB6_2973:                             ;   in Loop: Header=BB6_2717 Depth=2
	v_bfe_u32 v132, v10, 24, 3
	s_delay_alu instid0(VALU_DEP_1) | instskip(NEXT) | instid1(VALU_DEP_1)
	v_clz_i32_u32_e32 v133, v132
	v_min_u32_e32 v133, 32, v133
	s_delay_alu instid0(VALU_DEP_1) | instskip(SKIP_1) | instid1(VALU_DEP_2)
	v_subrev_nc_u32_e32 v134, 28, v133
	v_sub_nc_u32_e32 v133, 29, v133
	v_lshlrev_b32_e32 v128, v134, v128
	v_bfe_u32 v134, v10, 27, 4
	v_and_b32_e32 v10, 0x80000000, v10
	s_delay_alu instid0(VALU_DEP_2) | instskip(NEXT) | instid1(VALU_DEP_4)
	v_cmp_eq_u32_e32 vcc_lo, 0, v134
	v_dual_cndmask_b32 v133, v134, v133 :: v_dual_and_b32 v128, 7, v128
	s_delay_alu instid0(VALU_DEP_1) | instskip(NEXT) | instid1(VALU_DEP_2)
	v_cndmask_b32_e32 v128, v132, v128, vcc_lo
	v_lshl_add_u32 v132, v133, 23, 0x3b800000
	s_delay_alu instid0(VALU_DEP_2) | instskip(NEXT) | instid1(VALU_DEP_1)
	v_lshlrev_b32_e32 v128, 20, v128
	v_or3_b32 v132, v10, v132, v128
.LBB6_2974:                             ;   in Loop: Header=BB6_2717 Depth=2
	s_or_b32 exec_lo, exec_lo, s27
	s_delay_alu instid0(VALU_DEP_1) | instskip(NEXT) | instid1(VALU_DEP_1)
	v_add_f32_e32 v128, v131, v132
	v_and_b32_e32 v10, 0x7f800000, v128
	s_delay_alu instid0(VALU_DEP_1)
	v_cmp_ne_u32_e32 vcc_lo, 0x7f800000, v10
	v_mov_b32_e32 v10, 0x80
	s_and_saveexec_b32 s27, vcc_lo
	s_cbranch_execz .LBB6_2982
; %bb.2975:                             ;   in Loop: Header=BB6_2717 Depth=2
	v_mov_b32_e32 v10, 0
	s_mov_b32 s28, exec_lo
	v_cmpx_ne_u32_e32 0, v128
	s_cbranch_execz .LBB6_2981
; %bb.2976:                             ;   in Loop: Header=BB6_2717 Depth=2
	v_bfe_u32 v10, v128, 23, 8
	v_and_b32_e32 v131, 0x7fffff, v128
	s_delay_alu instid0(VALU_DEP_2) | instskip(SKIP_1) | instid1(VALU_DEP_3)
	v_sub_nc_u32_e32 v132, 0x78, v10
	v_cmp_gt_u32_e32 vcc_lo, 0x79, v10
	v_or_b32_e32 v133, 0x800000, v131
	s_delay_alu instid0(VALU_DEP_3) | instskip(SKIP_1) | instid1(VALU_DEP_3)
	v_cndmask_b32_e32 v132, 0, v132, vcc_lo
	v_cmp_eq_u32_e32 vcc_lo, 0, v10
	v_dual_cndmask_b32 v131, v133, v131 :: v_dual_add_nc_u32 v10, 0xffffff89, v10
	s_delay_alu instid0(VALU_DEP_3) | instskip(NEXT) | instid1(VALU_DEP_2)
	v_cndmask_b32_e64 v132, v132, 0x77, vcc_lo
	v_cndmask_b32_e64 v10, v10, 0xffffff8a, vcc_lo
	s_delay_alu instid0(VALU_DEP_2) | instskip(SKIP_2) | instid1(VALU_DEP_4)
	v_lshrrev_b32_e32 v134, v132, v131
	v_lshl_add_u32 v133, 0x100000, v132, -1
	v_lshlrev_b32_e64 v144, v132, 0x80000
	v_add_nc_u32_e32 v132, v132, v10
	s_delay_alu instid0(VALU_DEP_4) | instskip(NEXT) | instid1(VALU_DEP_4)
	v_bfe_u32 v135, v134, 20, 1
	v_and_b32_e32 v131, v133, v131
	s_delay_alu instid0(VALU_DEP_2) | instskip(NEXT) | instid1(VALU_DEP_2)
	v_add_nc_u32_e32 v133, -1, v135
	v_cmp_eq_u32_e64 s12, v131, v144
	s_delay_alu instid0(VALU_DEP_1) | instskip(SKIP_2) | instid1(VALU_DEP_2)
	v_cndmask_b32_e64 v131, 0, v133, s12
	v_lshrrev_b32_e32 v133, 23, v134
	s_mov_b32 s12, exec_lo
	v_add_nc_u32_e32 v131, v131, v134
	s_delay_alu instid0(VALU_DEP_2) | instskip(NEXT) | instid1(VALU_DEP_2)
	v_xor_b32_e32 v133, 1, v133
	v_and_b32_e32 v10, 0xfffff, v131
	s_delay_alu instid0(VALU_DEP_1) | instskip(NEXT) | instid1(VALU_DEP_3)
	v_add_nc_u32_e32 v131, v10, v134
                                        ; implicit-def: $vgpr10
	v_cmpx_ne_u32_e64 v132, v133
	s_xor_b32 s12, exec_lo, s12
; %bb.2977:                             ;   in Loop: Header=BB6_2717 Depth=2
	s_delay_alu instid0(VALU_DEP_2) | instskip(SKIP_2) | instid1(VALU_DEP_2)
	v_cmp_lt_u32_e32 vcc_lo, 0xffffff, v131
	v_sub_nc_u32_e32 v10, v132, v133
	v_cndmask_b32_e64 v132, 0, 1, vcc_lo
	v_add_co_ci_u32_e32 v10, vcc_lo, 0, v10, vcc_lo
	s_delay_alu instid0(VALU_DEP_2)
	v_lshrrev_b32_e32 v131, v132, v131
; %bb.2978:                             ;   in Loop: Header=BB6_2717 Depth=2
	s_and_not1_saveexec_b32 s12, s12
; %bb.2979:                             ;   in Loop: Header=BB6_2717 Depth=2
	s_delay_alu instid0(VALU_DEP_1)
	v_bfe_u32 v10, v131, 23, 1
; %bb.2980:                             ;   in Loop: Header=BB6_2717 Depth=2
	s_or_b32 exec_lo, exec_lo, s12
	v_lshrrev_b32_e32 v131, 20, v131
	s_delay_alu instid0(VALU_DEP_2) | instskip(SKIP_2) | instid1(VALU_DEP_2)
	v_cmp_gt_i32_e32 vcc_lo, 16, v10
	v_lshrrev_b32_e32 v128, 24, v128
	v_min_i32_e32 v132, 15, v10
	v_dual_cndmask_b32 v131, 7, v131 :: v_dual_and_b32 v128, 0x80, v128
	s_delay_alu instid0(VALU_DEP_2) | instskip(NEXT) | instid1(VALU_DEP_2)
	v_lshlrev_b32_e32 v132, 3, v132
	v_or_b32_e32 v10, v10, v131
	s_delay_alu instid0(VALU_DEP_1) | instskip(SKIP_1) | instid1(VALU_DEP_1)
	v_cmp_ne_u32_e32 vcc_lo, 0, v10
	v_and_b32_e32 v133, 7, v131
	v_or3_b32 v128, v132, v128, v133
	s_delay_alu instid0(VALU_DEP_1)
	v_cndmask_b32_e32 v10, 0, v128, vcc_lo
.LBB6_2981:                             ;   in Loop: Header=BB6_2717 Depth=2
	s_or_b32 exec_lo, exec_lo, s28
.LBB6_2982:                             ;   in Loop: Header=BB6_2717 Depth=2
	s_delay_alu instid0(SALU_CYCLE_1) | instskip(SKIP_3) | instid1(VALU_DEP_1)
	s_or_b32 exec_lo, exec_lo, s27
	v_or_b32_e32 v130, v130, v119
	s_mov_b32 s12, 0
	s_mov_b32 s28, exec_lo
                                        ; implicit-def: $sgpr27
	v_and_b32_e32 v128, 0xff, v130
	s_delay_alu instid0(VALU_DEP_1)
	v_cmpx_lt_i16_e64 0x7f, v128
	s_xor_b32 s28, exec_lo, s28
	s_cbranch_execnz .LBB6_3268
; %bb.2983:                             ;   in Loop: Header=BB6_2717 Depth=2
	s_or_saveexec_b32 s28, s28
	v_mov_b32_e32 v119, s27
	s_xor_b32 exec_lo, exec_lo, s28
	s_cbranch_execnz .LBB6_3271
.LBB6_2984:                             ;   in Loop: Header=BB6_2717 Depth=2
	s_or_b32 exec_lo, exec_lo, s28
	s_and_saveexec_b32 s27, s12
	s_cbranch_execz .LBB6_2986
.LBB6_2985:                             ;   in Loop: Header=BB6_2717 Depth=2
	v_bfe_u32 v132, v130, 3, 4
	v_lshlrev_b32_e32 v133, 24, v130
	s_delay_alu instid0(VALU_DEP_2) | instskip(SKIP_1) | instid1(VALU_DEP_1)
	v_cmp_eq_u32_e32 vcc_lo, 0, v132
	v_and_b32_e32 v119, 7, v130
	v_clz_i32_u32_e32 v128, v119
	s_delay_alu instid0(VALU_DEP_1) | instskip(NEXT) | instid1(VALU_DEP_1)
	v_min_u32_e32 v128, 32, v128
	v_subrev_nc_u32_e32 v131, 28, v128
	v_sub_nc_u32_e32 v128, 29, v128
	s_delay_alu instid0(VALU_DEP_1) | instskip(NEXT) | instid1(VALU_DEP_1)
	v_dual_cndmask_b32 v128, v132, v128 :: v_dual_lshlrev_b32 v131, v131, v130
	v_and_b32_e32 v131, 7, v131
	s_delay_alu instid0(VALU_DEP_2) | instskip(NEXT) | instid1(VALU_DEP_2)
	v_lshl_add_u32 v128, v128, 23, 0x3b800000
	v_cndmask_b32_e32 v119, v119, v131, vcc_lo
	v_and_b32_e32 v131, 0x80000000, v133
	s_delay_alu instid0(VALU_DEP_2) | instskip(NEXT) | instid1(VALU_DEP_1)
	v_lshlrev_b32_e32 v119, 20, v119
	v_or3_b32 v119, v131, v128, v119
.LBB6_2986:                             ;   in Loop: Header=BB6_2717 Depth=2
	s_or_b32 exec_lo, exec_lo, s27
	v_and_b32_e32 v131, 0xff, v11
	s_mov_b32 s12, 0
	s_mov_b32 s28, exec_lo
                                        ; implicit-def: $sgpr27
	s_delay_alu instid0(VALU_DEP_1)
	v_cmpx_lt_i16_e64 0x7f, v131
	s_xor_b32 s28, exec_lo, s28
	s_cbranch_execnz .LBB6_3272
; %bb.2987:                             ;   in Loop: Header=BB6_2717 Depth=2
	s_or_saveexec_b32 s28, s28
	v_mov_b32_e32 v128, s27
	s_xor_b32 exec_lo, exec_lo, s28
	s_cbranch_execnz .LBB6_3275
.LBB6_2988:                             ;   in Loop: Header=BB6_2717 Depth=2
	s_or_b32 exec_lo, exec_lo, s28
	s_and_saveexec_b32 s27, s12
	s_cbranch_execz .LBB6_2990
.LBB6_2989:                             ;   in Loop: Header=BB6_2717 Depth=2
	v_and_b32_e32 v128, 7, v11
	v_bfe_u32 v133, v11, 3, 4
	v_lshlrev_b32_e32 v134, 24, v11
	s_delay_alu instid0(VALU_DEP_3) | instskip(NEXT) | instid1(VALU_DEP_3)
	v_clz_i32_u32_e32 v131, v128
	v_cmp_eq_u32_e32 vcc_lo, 0, v133
	s_delay_alu instid0(VALU_DEP_2) | instskip(NEXT) | instid1(VALU_DEP_1)
	v_min_u32_e32 v131, 32, v131
	v_subrev_nc_u32_e32 v132, 28, v131
	v_sub_nc_u32_e32 v131, 29, v131
	s_delay_alu instid0(VALU_DEP_2) | instskip(NEXT) | instid1(VALU_DEP_1)
	v_lshlrev_b32_e32 v132, v132, v11
	v_dual_cndmask_b32 v131, v133, v131 :: v_dual_and_b32 v132, 7, v132
	s_delay_alu instid0(VALU_DEP_1) | instskip(NEXT) | instid1(VALU_DEP_2)
	v_lshl_add_u32 v131, v131, 23, 0x3b800000
	v_cndmask_b32_e32 v128, v128, v132, vcc_lo
	v_and_b32_e32 v132, 0x80000000, v134
	s_delay_alu instid0(VALU_DEP_2) | instskip(NEXT) | instid1(VALU_DEP_1)
	v_lshlrev_b32_e32 v128, 20, v128
	v_or3_b32 v128, v132, v131, v128
.LBB6_2990:                             ;   in Loop: Header=BB6_2717 Depth=2
	s_or_b32 exec_lo, exec_lo, s27
	s_delay_alu instid0(VALU_DEP_1) | instskip(NEXT) | instid1(VALU_DEP_1)
	v_add_f32_e32 v128, v119, v128
	v_and_b32_e32 v119, 0x7f800000, v128
	s_delay_alu instid0(VALU_DEP_1)
	v_cmp_ne_u32_e32 vcc_lo, 0x7f800000, v119
	v_mov_b32_e32 v119, 0x80
	s_and_saveexec_b32 s27, vcc_lo
	s_cbranch_execz .LBB6_2998
; %bb.2991:                             ;   in Loop: Header=BB6_2717 Depth=2
	v_mov_b32_e32 v119, 0
	s_mov_b32 s28, exec_lo
	v_cmpx_ne_u32_e32 0, v128
	s_cbranch_execz .LBB6_2997
; %bb.2992:                             ;   in Loop: Header=BB6_2717 Depth=2
	v_bfe_u32 v119, v128, 23, 8
	v_and_b32_e32 v131, 0x7fffff, v128
	s_delay_alu instid0(VALU_DEP_2) | instskip(SKIP_1) | instid1(VALU_DEP_3)
	v_sub_nc_u32_e32 v132, 0x78, v119
	v_cmp_gt_u32_e32 vcc_lo, 0x79, v119
	v_or_b32_e32 v133, 0x800000, v131
	s_delay_alu instid0(VALU_DEP_3) | instskip(SKIP_2) | instid1(VALU_DEP_4)
	v_cndmask_b32_e32 v132, 0, v132, vcc_lo
	v_cmp_eq_u32_e32 vcc_lo, 0, v119
	v_add_nc_u32_e32 v119, 0xffffff89, v119
	v_cndmask_b32_e32 v131, v133, v131, vcc_lo
	s_delay_alu instid0(VALU_DEP_4) | instskip(NEXT) | instid1(VALU_DEP_3)
	v_cndmask_b32_e64 v132, v132, 0x77, vcc_lo
	v_cndmask_b32_e64 v119, v119, 0xffffff8a, vcc_lo
	s_delay_alu instid0(VALU_DEP_2) | instskip(SKIP_2) | instid1(VALU_DEP_4)
	v_lshrrev_b32_e32 v134, v132, v131
	v_lshl_add_u32 v133, 0x100000, v132, -1
	v_lshlrev_b32_e64 v144, v132, 0x80000
	v_add_nc_u32_e32 v132, v132, v119
	s_delay_alu instid0(VALU_DEP_4) | instskip(NEXT) | instid1(VALU_DEP_4)
	v_bfe_u32 v135, v134, 20, 1
	v_and_b32_e32 v131, v133, v131
	s_delay_alu instid0(VALU_DEP_2) | instskip(NEXT) | instid1(VALU_DEP_2)
	v_add_nc_u32_e32 v133, -1, v135
	v_cmp_eq_u32_e64 s12, v131, v144
	s_delay_alu instid0(VALU_DEP_1) | instskip(SKIP_2) | instid1(VALU_DEP_2)
	v_cndmask_b32_e64 v131, 0, v133, s12
	v_lshrrev_b32_e32 v133, 23, v134
	s_mov_b32 s12, exec_lo
	v_add_nc_u32_e32 v131, v131, v134
	s_delay_alu instid0(VALU_DEP_2) | instskip(NEXT) | instid1(VALU_DEP_2)
	v_xor_b32_e32 v133, 1, v133
	v_and_b32_e32 v119, 0xfffff, v131
	s_delay_alu instid0(VALU_DEP_1) | instskip(NEXT) | instid1(VALU_DEP_3)
	v_add_nc_u32_e32 v131, v119, v134
                                        ; implicit-def: $vgpr119
	v_cmpx_ne_u32_e64 v132, v133
	s_xor_b32 s12, exec_lo, s12
; %bb.2993:                             ;   in Loop: Header=BB6_2717 Depth=2
	s_delay_alu instid0(VALU_DEP_2) | instskip(SKIP_2) | instid1(VALU_DEP_2)
	v_cmp_lt_u32_e32 vcc_lo, 0xffffff, v131
	v_sub_nc_u32_e32 v119, v132, v133
	v_cndmask_b32_e64 v132, 0, 1, vcc_lo
	v_add_co_ci_u32_e32 v119, vcc_lo, 0, v119, vcc_lo
	s_delay_alu instid0(VALU_DEP_2)
	v_lshrrev_b32_e32 v131, v132, v131
; %bb.2994:                             ;   in Loop: Header=BB6_2717 Depth=2
	s_and_not1_saveexec_b32 s12, s12
; %bb.2995:                             ;   in Loop: Header=BB6_2717 Depth=2
	s_delay_alu instid0(VALU_DEP_1)
	v_bfe_u32 v119, v131, 23, 1
; %bb.2996:                             ;   in Loop: Header=BB6_2717 Depth=2
	s_or_b32 exec_lo, exec_lo, s12
	v_lshrrev_b32_e32 v131, 20, v131
	s_delay_alu instid0(VALU_DEP_2) | instskip(SKIP_2) | instid1(VALU_DEP_2)
	v_cmp_gt_i32_e32 vcc_lo, 16, v119
	v_lshrrev_b32_e32 v128, 24, v128
	v_min_i32_e32 v132, 15, v119
	v_dual_cndmask_b32 v131, 7, v131 :: v_dual_and_b32 v128, 0x80, v128
	s_delay_alu instid0(VALU_DEP_2) | instskip(NEXT) | instid1(VALU_DEP_2)
	v_lshlrev_b32_e32 v132, 3, v132
	v_and_b32_e32 v133, 7, v131
	v_or_b32_e32 v119, v119, v131
	s_delay_alu instid0(VALU_DEP_2) | instskip(NEXT) | instid1(VALU_DEP_2)
	v_or3_b32 v128, v132, v128, v133
	v_cmp_ne_u32_e32 vcc_lo, 0, v119
	s_delay_alu instid0(VALU_DEP_2)
	v_cndmask_b32_e32 v119, 0, v128, vcc_lo
.LBB6_2997:                             ;   in Loop: Header=BB6_2717 Depth=2
	s_or_b32 exec_lo, exec_lo, s28
.LBB6_2998:                             ;   in Loop: Header=BB6_2717 Depth=2
	s_delay_alu instid0(SALU_CYCLE_1) | instskip(SKIP_3) | instid1(VALU_DEP_1)
	s_or_b32 exec_lo, exec_lo, s27
	v_lshrrev_b16 v131, 8, v130
	s_mov_b32 s12, 0
	s_mov_b32 s28, exec_lo
                                        ; implicit-def: $sgpr27
	v_cmpx_lt_i16_e64 0x7f, v131
	s_xor_b32 s28, exec_lo, s28
	s_cbranch_execnz .LBB6_3276
; %bb.2999:                             ;   in Loop: Header=BB6_2717 Depth=2
	s_or_saveexec_b32 s28, s28
	v_mov_b32_e32 v128, s27
	s_xor_b32 exec_lo, exec_lo, s28
	s_cbranch_execnz .LBB6_3279
.LBB6_3000:                             ;   in Loop: Header=BB6_2717 Depth=2
	s_or_b32 exec_lo, exec_lo, s28
	s_and_saveexec_b32 s27, s12
	s_cbranch_execz .LBB6_3002
.LBB6_3001:                             ;   in Loop: Header=BB6_2717 Depth=2
	v_and_b32_e32 v128, 0xffff, v131
	s_delay_alu instid0(VALU_DEP_1) | instskip(NEXT) | instid1(VALU_DEP_1)
	v_and_b32_e32 v132, 7, v128
	v_clz_i32_u32_e32 v133, v132
	s_delay_alu instid0(VALU_DEP_1) | instskip(NEXT) | instid1(VALU_DEP_1)
	v_min_u32_e32 v133, 32, v133
	v_subrev_nc_u32_e32 v134, 28, v133
	v_sub_nc_u32_e32 v133, 29, v133
	s_delay_alu instid0(VALU_DEP_2) | instskip(SKIP_1) | instid1(VALU_DEP_2)
	v_lshlrev_b32_e32 v134, v134, v128
	v_bfe_u32 v128, v128, 3, 4
	v_and_b32_e32 v134, 7, v134
	s_delay_alu instid0(VALU_DEP_2) | instskip(SKIP_1) | instid1(VALU_DEP_1)
	v_cmp_eq_u32_e32 vcc_lo, 0, v128
	v_dual_cndmask_b32 v128, v128, v133 :: v_dual_lshlrev_b32 v131, 24, v131
	v_dual_cndmask_b32 v132, v132, v134 :: v_dual_and_b32 v131, 0x80000000, v131
	s_delay_alu instid0(VALU_DEP_2) | instskip(NEXT) | instid1(VALU_DEP_2)
	v_lshl_add_u32 v128, v128, 23, 0x3b800000
	v_lshlrev_b32_e32 v132, 20, v132
	s_delay_alu instid0(VALU_DEP_1)
	v_or3_b32 v128, v131, v128, v132
.LBB6_3002:                             ;   in Loop: Header=BB6_2717 Depth=2
	s_or_b32 exec_lo, exec_lo, s27
	v_lshrrev_b16 v131, 8, v11
	s_mov_b32 s12, 0
	s_mov_b32 s28, exec_lo
                                        ; implicit-def: $sgpr27
	s_delay_alu instid0(VALU_DEP_1)
	v_cmpx_lt_i16_e64 0x7f, v131
	s_xor_b32 s28, exec_lo, s28
	s_cbranch_execnz .LBB6_3280
; %bb.3003:                             ;   in Loop: Header=BB6_2717 Depth=2
	s_or_saveexec_b32 s28, s28
	v_mov_b32_e32 v132, s27
	s_xor_b32 exec_lo, exec_lo, s28
	s_cbranch_execnz .LBB6_3283
.LBB6_3004:                             ;   in Loop: Header=BB6_2717 Depth=2
	s_or_b32 exec_lo, exec_lo, s28
	s_and_saveexec_b32 s27, s12
	s_cbranch_execz .LBB6_3006
.LBB6_3005:                             ;   in Loop: Header=BB6_2717 Depth=2
	v_and_b32_e32 v132, 0xffff, v131
	v_lshlrev_b32_e32 v131, 24, v131
	s_delay_alu instid0(VALU_DEP_2) | instskip(NEXT) | instid1(VALU_DEP_2)
	v_and_b32_e32 v133, 7, v132
	v_and_b32_e32 v131, 0x80000000, v131
	s_delay_alu instid0(VALU_DEP_2) | instskip(NEXT) | instid1(VALU_DEP_1)
	v_clz_i32_u32_e32 v134, v133
	v_min_u32_e32 v134, 32, v134
	s_delay_alu instid0(VALU_DEP_1) | instskip(SKIP_1) | instid1(VALU_DEP_2)
	v_subrev_nc_u32_e32 v135, 28, v134
	v_sub_nc_u32_e32 v134, 29, v134
	v_lshlrev_b32_e32 v135, v135, v132
	v_bfe_u32 v132, v132, 3, 4
	s_delay_alu instid0(VALU_DEP_2) | instskip(NEXT) | instid1(VALU_DEP_2)
	v_and_b32_e32 v135, 7, v135
	v_cmp_eq_u32_e32 vcc_lo, 0, v132
	s_delay_alu instid0(VALU_DEP_2) | instskip(NEXT) | instid1(VALU_DEP_1)
	v_dual_cndmask_b32 v132, v132, v134 :: v_dual_cndmask_b32 v133, v133, v135
	v_lshl_add_u32 v132, v132, 23, 0x3b800000
	s_delay_alu instid0(VALU_DEP_2) | instskip(NEXT) | instid1(VALU_DEP_1)
	v_lshlrev_b32_e32 v133, 20, v133
	v_or3_b32 v132, v131, v132, v133
.LBB6_3006:                             ;   in Loop: Header=BB6_2717 Depth=2
	s_or_b32 exec_lo, exec_lo, s27
	s_delay_alu instid0(VALU_DEP_1) | instskip(NEXT) | instid1(VALU_DEP_1)
	v_add_f32_e32 v131, v128, v132
	v_and_b32_e32 v128, 0x7f800000, v131
	s_delay_alu instid0(VALU_DEP_1)
	v_cmp_ne_u32_e32 vcc_lo, 0x7f800000, v128
	v_mov_b32_e32 v128, 0x8000
	s_and_saveexec_b32 s27, vcc_lo
	s_cbranch_execz .LBB6_3014
; %bb.3007:                             ;   in Loop: Header=BB6_2717 Depth=2
	v_mov_b32_e32 v128, 0
	s_mov_b32 s28, exec_lo
	v_cmpx_ne_u32_e32 0, v131
	s_cbranch_execz .LBB6_3013
; %bb.3008:                             ;   in Loop: Header=BB6_2717 Depth=2
	v_bfe_u32 v128, v131, 23, 8
	s_delay_alu instid0(VALU_DEP_1) | instskip(SKIP_1) | instid1(VALU_DEP_2)
	v_sub_nc_u32_e32 v133, 0x78, v128
	v_cmp_gt_u32_e32 vcc_lo, 0x79, v128
	v_dual_cndmask_b32 v133, 0, v133 :: v_dual_and_b32 v132, 0x7fffff, v131
	s_delay_alu instid0(VALU_DEP_1) | instskip(SKIP_2) | instid1(VALU_DEP_4)
	v_or_b32_e32 v134, 0x800000, v132
	v_cmp_eq_u32_e32 vcc_lo, 0, v128
	v_add_nc_u32_e32 v128, 0xffffff89, v128
	v_cndmask_b32_e64 v133, v133, 0x77, vcc_lo
	s_delay_alu instid0(VALU_DEP_4) | instskip(NEXT) | instid1(VALU_DEP_3)
	v_cndmask_b32_e32 v132, v134, v132, vcc_lo
	v_cndmask_b32_e64 v128, v128, 0xffffff8a, vcc_lo
	s_delay_alu instid0(VALU_DEP_3) | instskip(NEXT) | instid1(VALU_DEP_3)
	v_lshl_add_u32 v134, 0x100000, v133, -1
	v_lshrrev_b32_e32 v135, v133, v132
	v_lshlrev_b32_e64 v145, v133, 0x80000
	s_delay_alu instid0(VALU_DEP_4) | instskip(NEXT) | instid1(VALU_DEP_4)
	v_add_nc_u32_e32 v133, v133, v128
	v_and_b32_e32 v132, v134, v132
	s_delay_alu instid0(VALU_DEP_4) | instskip(NEXT) | instid1(VALU_DEP_2)
	v_bfe_u32 v144, v135, 20, 1
	v_cmp_eq_u32_e64 s12, v132, v145
	s_delay_alu instid0(VALU_DEP_2) | instskip(NEXT) | instid1(VALU_DEP_1)
	v_add_nc_u32_e32 v134, -1, v144
	v_cndmask_b32_e64 v132, 0, v134, s12
	v_lshrrev_b32_e32 v134, 23, v135
	s_mov_b32 s12, exec_lo
	s_delay_alu instid0(VALU_DEP_2) | instskip(NEXT) | instid1(VALU_DEP_2)
	v_add_nc_u32_e32 v132, v132, v135
	v_xor_b32_e32 v134, 1, v134
	s_delay_alu instid0(VALU_DEP_2) | instskip(NEXT) | instid1(VALU_DEP_1)
	v_and_b32_e32 v128, 0xfffff, v132
	v_add_nc_u32_e32 v132, v128, v135
                                        ; implicit-def: $vgpr128
	s_delay_alu instid0(VALU_DEP_3)
	v_cmpx_ne_u32_e64 v133, v134
	s_xor_b32 s12, exec_lo, s12
; %bb.3009:                             ;   in Loop: Header=BB6_2717 Depth=2
	s_delay_alu instid0(VALU_DEP_2) | instskip(SKIP_2) | instid1(VALU_DEP_2)
	v_cmp_lt_u32_e32 vcc_lo, 0xffffff, v132
	v_sub_nc_u32_e32 v128, v133, v134
	v_cndmask_b32_e64 v133, 0, 1, vcc_lo
	v_add_co_ci_u32_e32 v128, vcc_lo, 0, v128, vcc_lo
	s_delay_alu instid0(VALU_DEP_2)
	v_lshrrev_b32_e32 v132, v133, v132
; %bb.3010:                             ;   in Loop: Header=BB6_2717 Depth=2
	s_and_not1_saveexec_b32 s12, s12
; %bb.3011:                             ;   in Loop: Header=BB6_2717 Depth=2
	s_delay_alu instid0(VALU_DEP_1)
	v_bfe_u32 v128, v132, 23, 1
; %bb.3012:                             ;   in Loop: Header=BB6_2717 Depth=2
	s_or_b32 exec_lo, exec_lo, s12
	v_lshrrev_b32_e32 v132, 20, v132
	s_delay_alu instid0(VALU_DEP_2) | instskip(SKIP_2) | instid1(VALU_DEP_2)
	v_cmp_gt_i32_e32 vcc_lo, 16, v128
	v_min_i32_e32 v133, 15, v128
	v_lshrrev_b32_e32 v131, 24, v131
	v_dual_cndmask_b32 v132, 7, v132 :: v_dual_lshlrev_b32 v133, 3, v133
	s_delay_alu instid0(VALU_DEP_2) | instskip(NEXT) | instid1(VALU_DEP_2)
	v_and_b32_e32 v131, 0x80, v131
	v_or_b32_e32 v128, v128, v132
	v_and_b32_e32 v134, 7, v132
	s_delay_alu instid0(VALU_DEP_2) | instskip(SKIP_1) | instid1(VALU_DEP_1)
	v_cmp_ne_u32_e32 vcc_lo, 0, v128
	v_and_b32_e32 v133, 0xf8, v133
	v_or3_b32 v131, v131, v133, v134
	s_delay_alu instid0(VALU_DEP_1) | instskip(NEXT) | instid1(VALU_DEP_1)
	v_lshlrev_b32_e32 v131, 8, v131
	v_cndmask_b32_e32 v128, 0, v131, vcc_lo
.LBB6_3013:                             ;   in Loop: Header=BB6_2717 Depth=2
	s_or_b32 exec_lo, exec_lo, s28
.LBB6_3014:                             ;   in Loop: Header=BB6_2717 Depth=2
	s_delay_alu instid0(SALU_CYCLE_1) | instskip(SKIP_3) | instid1(VALU_DEP_1)
	s_or_b32 exec_lo, exec_lo, s27
	v_or_b32_e32 v129, v129, v118
	s_mov_b32 s12, 0
	s_mov_b32 s28, exec_lo
                                        ; implicit-def: $sgpr27
	v_and_b32_e32 v131, 0xff, v129
	s_delay_alu instid0(VALU_DEP_1)
	v_cmpx_lt_i16_e64 0x7f, v131
	s_xor_b32 s28, exec_lo, s28
	s_cbranch_execnz .LBB6_3284
; %bb.3015:                             ;   in Loop: Header=BB6_2717 Depth=2
	s_or_saveexec_b32 s28, s28
	v_mov_b32_e32 v118, s27
	s_xor_b32 exec_lo, exec_lo, s28
	s_cbranch_execnz .LBB6_3287
.LBB6_3016:                             ;   in Loop: Header=BB6_2717 Depth=2
	s_or_b32 exec_lo, exec_lo, s28
	v_lshl_or_b32 v129, v129, 16, v130
	s_and_saveexec_b32 s27, s12
	s_cbranch_execz .LBB6_3018
.LBB6_3017:                             ;   in Loop: Header=BB6_2717 Depth=2
	s_delay_alu instid0(VALU_DEP_1) | instskip(SKIP_1) | instid1(VALU_DEP_2)
	v_bfe_u32 v118, v129, 16, 3
	v_lshrrev_b32_e32 v131, 16, v129
	v_clz_i32_u32_e32 v130, v118
	s_delay_alu instid0(VALU_DEP_1) | instskip(NEXT) | instid1(VALU_DEP_1)
	v_min_u32_e32 v130, 32, v130
	v_subrev_nc_u32_e32 v132, 28, v130
	v_sub_nc_u32_e32 v130, 29, v130
	s_delay_alu instid0(VALU_DEP_2) | instskip(SKIP_1) | instid1(VALU_DEP_1)
	v_lshlrev_b32_e32 v131, v132, v131
	v_bfe_u32 v132, v129, 19, 4
	v_cmp_eq_u32_e32 vcc_lo, 0, v132
	s_delay_alu instid0(VALU_DEP_3) | instskip(NEXT) | instid1(VALU_DEP_1)
	v_dual_cndmask_b32 v130, v132, v130 :: v_dual_and_b32 v131, 7, v131
	v_dual_cndmask_b32 v118, v118, v131 :: v_dual_lshlrev_b32 v133, 8, v129
	s_delay_alu instid0(VALU_DEP_2) | instskip(NEXT) | instid1(VALU_DEP_2)
	v_lshl_add_u32 v130, v130, 23, 0x3b800000
	v_and_b32_e32 v131, 0x80000000, v133
	s_delay_alu instid0(VALU_DEP_3) | instskip(NEXT) | instid1(VALU_DEP_1)
	v_lshlrev_b32_e32 v118, 20, v118
	v_or3_b32 v118, v131, v130, v118
.LBB6_3018:                             ;   in Loop: Header=BB6_2717 Depth=2
	s_or_b32 exec_lo, exec_lo, s27
	v_lshrrev_b32_e32 v130, 16, v11
	s_mov_b32 s12, 0
	s_mov_b32 s28, exec_lo
                                        ; implicit-def: $sgpr27
	s_delay_alu instid0(VALU_DEP_1) | instskip(NEXT) | instid1(VALU_DEP_1)
	v_and_b32_e32 v132, 0xff, v130
	v_cmpx_lt_i16_e64 0x7f, v132
	s_xor_b32 s28, exec_lo, s28
	s_cbranch_execnz .LBB6_3288
; %bb.3019:                             ;   in Loop: Header=BB6_2717 Depth=2
	s_or_saveexec_b32 s28, s28
	v_mov_b32_e32 v131, s27
	s_xor_b32 exec_lo, exec_lo, s28
	s_cbranch_execnz .LBB6_3291
.LBB6_3020:                             ;   in Loop: Header=BB6_2717 Depth=2
	s_or_b32 exec_lo, exec_lo, s28
	s_and_saveexec_b32 s27, s12
	s_cbranch_execz .LBB6_3022
.LBB6_3021:                             ;   in Loop: Header=BB6_2717 Depth=2
	v_bfe_u32 v131, v11, 16, 3
	v_lshlrev_b32_e32 v134, 8, v11
	s_delay_alu instid0(VALU_DEP_2) | instskip(NEXT) | instid1(VALU_DEP_1)
	v_clz_i32_u32_e32 v132, v131
	v_min_u32_e32 v132, 32, v132
	s_delay_alu instid0(VALU_DEP_1) | instskip(SKIP_1) | instid1(VALU_DEP_2)
	v_subrev_nc_u32_e32 v133, 28, v132
	v_sub_nc_u32_e32 v132, 29, v132
	v_lshlrev_b32_e32 v130, v133, v130
	v_bfe_u32 v133, v11, 19, 4
	s_delay_alu instid0(VALU_DEP_2) | instskip(NEXT) | instid1(VALU_DEP_2)
	v_and_b32_e32 v130, 7, v130
	v_cmp_eq_u32_e32 vcc_lo, 0, v133
	v_cndmask_b32_e32 v132, v133, v132, vcc_lo
	s_delay_alu instid0(VALU_DEP_3) | instskip(SKIP_1) | instid1(VALU_DEP_3)
	v_cndmask_b32_e32 v130, v131, v130, vcc_lo
	v_and_b32_e32 v131, 0x80000000, v134
	v_lshl_add_u32 v132, v132, 23, 0x3b800000
	s_delay_alu instid0(VALU_DEP_3) | instskip(NEXT) | instid1(VALU_DEP_1)
	v_lshlrev_b32_e32 v130, 20, v130
	v_or3_b32 v131, v131, v132, v130
.LBB6_3022:                             ;   in Loop: Header=BB6_2717 Depth=2
	s_or_b32 exec_lo, exec_lo, s27
	s_delay_alu instid0(VALU_DEP_1) | instskip(NEXT) | instid1(VALU_DEP_1)
	v_add_f32_e32 v130, v118, v131
	v_and_b32_e32 v118, 0x7f800000, v130
	s_delay_alu instid0(VALU_DEP_1)
	v_cmp_ne_u32_e32 vcc_lo, 0x7f800000, v118
	v_mov_b32_e32 v118, 0x80
	s_and_saveexec_b32 s27, vcc_lo
	s_cbranch_execz .LBB6_3030
; %bb.3023:                             ;   in Loop: Header=BB6_2717 Depth=2
	v_mov_b32_e32 v118, 0
	s_mov_b32 s28, exec_lo
	v_cmpx_ne_u32_e32 0, v130
	s_cbranch_execz .LBB6_3029
; %bb.3024:                             ;   in Loop: Header=BB6_2717 Depth=2
	v_bfe_u32 v118, v130, 23, 8
	s_delay_alu instid0(VALU_DEP_1) | instskip(SKIP_1) | instid1(VALU_DEP_2)
	v_sub_nc_u32_e32 v132, 0x78, v118
	v_cmp_gt_u32_e32 vcc_lo, 0x79, v118
	v_dual_cndmask_b32 v132, 0, v132 :: v_dual_and_b32 v131, 0x7fffff, v130
	s_delay_alu instid0(VALU_DEP_1) | instskip(SKIP_2) | instid1(VALU_DEP_4)
	v_or_b32_e32 v133, 0x800000, v131
	v_cmp_eq_u32_e32 vcc_lo, 0, v118
	v_add_nc_u32_e32 v118, 0xffffff89, v118
	v_cndmask_b32_e64 v132, v132, 0x77, vcc_lo
	s_delay_alu instid0(VALU_DEP_4) | instskip(NEXT) | instid1(VALU_DEP_3)
	v_cndmask_b32_e32 v131, v133, v131, vcc_lo
	v_cndmask_b32_e64 v118, v118, 0xffffff8a, vcc_lo
	s_delay_alu instid0(VALU_DEP_3) | instskip(NEXT) | instid1(VALU_DEP_3)
	v_lshl_add_u32 v133, 0x100000, v132, -1
	v_lshrrev_b32_e32 v134, v132, v131
	v_lshlrev_b32_e64 v144, v132, 0x80000
	s_delay_alu instid0(VALU_DEP_4) | instskip(NEXT) | instid1(VALU_DEP_4)
	v_add_nc_u32_e32 v132, v132, v118
	v_and_b32_e32 v131, v133, v131
	s_delay_alu instid0(VALU_DEP_4) | instskip(NEXT) | instid1(VALU_DEP_2)
	v_bfe_u32 v135, v134, 20, 1
	v_cmp_eq_u32_e64 s12, v131, v144
	s_delay_alu instid0(VALU_DEP_2) | instskip(NEXT) | instid1(VALU_DEP_1)
	v_add_nc_u32_e32 v133, -1, v135
	v_cndmask_b32_e64 v131, 0, v133, s12
	v_lshrrev_b32_e32 v133, 23, v134
	s_mov_b32 s12, exec_lo
	s_delay_alu instid0(VALU_DEP_2) | instskip(NEXT) | instid1(VALU_DEP_2)
	v_add_nc_u32_e32 v131, v131, v134
	v_xor_b32_e32 v133, 1, v133
	s_delay_alu instid0(VALU_DEP_2) | instskip(NEXT) | instid1(VALU_DEP_1)
	v_and_b32_e32 v118, 0xfffff, v131
	v_add_nc_u32_e32 v131, v118, v134
                                        ; implicit-def: $vgpr118
	s_delay_alu instid0(VALU_DEP_3)
	v_cmpx_ne_u32_e64 v132, v133
	s_xor_b32 s12, exec_lo, s12
; %bb.3025:                             ;   in Loop: Header=BB6_2717 Depth=2
	s_delay_alu instid0(VALU_DEP_2) | instskip(SKIP_2) | instid1(VALU_DEP_2)
	v_cmp_lt_u32_e32 vcc_lo, 0xffffff, v131
	v_sub_nc_u32_e32 v118, v132, v133
	v_cndmask_b32_e64 v132, 0, 1, vcc_lo
	v_add_co_ci_u32_e32 v118, vcc_lo, 0, v118, vcc_lo
	s_delay_alu instid0(VALU_DEP_2)
	v_lshrrev_b32_e32 v131, v132, v131
; %bb.3026:                             ;   in Loop: Header=BB6_2717 Depth=2
	s_and_not1_saveexec_b32 s12, s12
; %bb.3027:                             ;   in Loop: Header=BB6_2717 Depth=2
	s_delay_alu instid0(VALU_DEP_1)
	v_bfe_u32 v118, v131, 23, 1
; %bb.3028:                             ;   in Loop: Header=BB6_2717 Depth=2
	s_or_b32 exec_lo, exec_lo, s12
	v_lshrrev_b32_e32 v131, 20, v131
	s_delay_alu instid0(VALU_DEP_2) | instskip(SKIP_2) | instid1(VALU_DEP_2)
	v_cmp_gt_i32_e32 vcc_lo, 16, v118
	v_min_i32_e32 v132, 15, v118
	v_lshrrev_b32_e32 v130, 24, v130
	v_dual_cndmask_b32 v131, 7, v131 :: v_dual_lshlrev_b32 v132, 3, v132
	s_delay_alu instid0(VALU_DEP_2) | instskip(NEXT) | instid1(VALU_DEP_2)
	v_and_b32_e32 v130, 0x80, v130
	v_or_b32_e32 v118, v118, v131
	s_delay_alu instid0(VALU_DEP_3) | instskip(NEXT) | instid1(VALU_DEP_2)
	v_and_b32_e32 v132, 0xf8, v132
	v_cmp_ne_u32_e32 vcc_lo, 0, v118
	v_and_b32_e32 v133, 7, v131
	s_delay_alu instid0(VALU_DEP_1) | instskip(NEXT) | instid1(VALU_DEP_1)
	v_or3_b32 v130, v132, v130, v133
	v_cndmask_b32_e32 v118, 0, v130, vcc_lo
.LBB6_3029:                             ;   in Loop: Header=BB6_2717 Depth=2
	s_or_b32 exec_lo, exec_lo, s28
.LBB6_3030:                             ;   in Loop: Header=BB6_2717 Depth=2
	s_delay_alu instid0(SALU_CYCLE_1) | instskip(SKIP_3) | instid1(VALU_DEP_1)
	s_or_b32 exec_lo, exec_lo, s27
	v_lshrrev_b32_e32 v131, 24, v129
	s_mov_b32 s12, 0
	s_mov_b32 s28, exec_lo
                                        ; implicit-def: $sgpr27
	v_cmpx_lt_i16_e64 0x7f, v131
	s_xor_b32 s28, exec_lo, s28
	s_cbranch_execnz .LBB6_3292
; %bb.3031:                             ;   in Loop: Header=BB6_2717 Depth=2
	s_or_saveexec_b32 s28, s28
	v_mov_b32_e32 v130, s27
	s_xor_b32 exec_lo, exec_lo, s28
	s_cbranch_execnz .LBB6_3295
.LBB6_3032:                             ;   in Loop: Header=BB6_2717 Depth=2
	s_or_b32 exec_lo, exec_lo, s28
	s_and_saveexec_b32 s27, s12
	s_cbranch_execz .LBB6_3034
.LBB6_3033:                             ;   in Loop: Header=BB6_2717 Depth=2
	v_bfe_u32 v130, v129, 24, 3
	s_delay_alu instid0(VALU_DEP_1) | instskip(NEXT) | instid1(VALU_DEP_1)
	v_clz_i32_u32_e32 v132, v130
	v_min_u32_e32 v132, 32, v132
	s_delay_alu instid0(VALU_DEP_1) | instskip(SKIP_1) | instid1(VALU_DEP_2)
	v_subrev_nc_u32_e32 v133, 28, v132
	v_sub_nc_u32_e32 v132, 29, v132
	v_lshlrev_b32_e32 v131, v133, v131
	v_bfe_u32 v133, v129, 27, 4
	v_and_b32_e32 v129, 0x80000000, v129
	s_delay_alu instid0(VALU_DEP_2) | instskip(NEXT) | instid1(VALU_DEP_4)
	v_cmp_eq_u32_e32 vcc_lo, 0, v133
	v_dual_cndmask_b32 v132, v133, v132 :: v_dual_and_b32 v131, 7, v131
	s_delay_alu instid0(VALU_DEP_1) | instskip(NEXT) | instid1(VALU_DEP_2)
	v_cndmask_b32_e32 v130, v130, v131, vcc_lo
	v_lshl_add_u32 v131, v132, 23, 0x3b800000
	s_delay_alu instid0(VALU_DEP_2) | instskip(NEXT) | instid1(VALU_DEP_1)
	v_lshlrev_b32_e32 v130, 20, v130
	v_or3_b32 v130, v129, v131, v130
.LBB6_3034:                             ;   in Loop: Header=BB6_2717 Depth=2
	s_or_b32 exec_lo, exec_lo, s27
	v_lshrrev_b32_e32 v129, 24, v11
	s_mov_b32 s12, 0
	s_mov_b32 s28, exec_lo
                                        ; implicit-def: $sgpr27
	s_delay_alu instid0(VALU_DEP_1)
	v_cmpx_lt_i16_e64 0x7f, v129
	s_xor_b32 s28, exec_lo, s28
	s_cbranch_execnz .LBB6_3296
; %bb.3035:                             ;   in Loop: Header=BB6_2717 Depth=2
	s_or_saveexec_b32 s28, s28
	v_mov_b32_e32 v131, s27
	s_xor_b32 exec_lo, exec_lo, s28
	s_cbranch_execnz .LBB6_3299
.LBB6_3036:                             ;   in Loop: Header=BB6_2717 Depth=2
	s_or_b32 exec_lo, exec_lo, s28
	s_and_saveexec_b32 s27, s12
	s_cbranch_execz .LBB6_3038
.LBB6_3037:                             ;   in Loop: Header=BB6_2717 Depth=2
	v_bfe_u32 v131, v11, 24, 3
	s_delay_alu instid0(VALU_DEP_1) | instskip(NEXT) | instid1(VALU_DEP_1)
	v_clz_i32_u32_e32 v132, v131
	v_min_u32_e32 v132, 32, v132
	s_delay_alu instid0(VALU_DEP_1) | instskip(SKIP_1) | instid1(VALU_DEP_2)
	v_subrev_nc_u32_e32 v133, 28, v132
	v_sub_nc_u32_e32 v132, 29, v132
	v_lshlrev_b32_e32 v129, v133, v129
	v_bfe_u32 v133, v11, 27, 4
	v_and_b32_e32 v11, 0x80000000, v11
	s_delay_alu instid0(VALU_DEP_2) | instskip(NEXT) | instid1(VALU_DEP_4)
	v_cmp_eq_u32_e32 vcc_lo, 0, v133
	v_dual_cndmask_b32 v132, v133, v132 :: v_dual_and_b32 v129, 7, v129
	s_delay_alu instid0(VALU_DEP_1) | instskip(NEXT) | instid1(VALU_DEP_2)
	v_cndmask_b32_e32 v129, v131, v129, vcc_lo
	v_lshl_add_u32 v131, v132, 23, 0x3b800000
	s_delay_alu instid0(VALU_DEP_2) | instskip(NEXT) | instid1(VALU_DEP_1)
	v_lshlrev_b32_e32 v129, 20, v129
	v_or3_b32 v131, v11, v131, v129
.LBB6_3038:                             ;   in Loop: Header=BB6_2717 Depth=2
	s_or_b32 exec_lo, exec_lo, s27
	s_delay_alu instid0(VALU_DEP_1) | instskip(NEXT) | instid1(VALU_DEP_1)
	v_add_f32_e32 v129, v130, v131
	v_and_b32_e32 v11, 0x7f800000, v129
	s_delay_alu instid0(VALU_DEP_1)
	v_cmp_ne_u32_e32 vcc_lo, 0x7f800000, v11
	v_mov_b32_e32 v11, 0x8000
	s_and_saveexec_b32 s27, vcc_lo
	s_cbranch_execz .LBB6_3046
; %bb.3039:                             ;   in Loop: Header=BB6_2717 Depth=2
	v_mov_b32_e32 v11, 0
	s_mov_b32 s28, exec_lo
	v_cmpx_ne_u32_e32 0, v129
	s_cbranch_execz .LBB6_3045
; %bb.3040:                             ;   in Loop: Header=BB6_2717 Depth=2
	v_bfe_u32 v11, v129, 23, 8
	s_delay_alu instid0(VALU_DEP_1) | instskip(SKIP_1) | instid1(VALU_DEP_2)
	v_sub_nc_u32_e32 v131, 0x78, v11
	v_cmp_gt_u32_e32 vcc_lo, 0x79, v11
	v_dual_cndmask_b32 v131, 0, v131 :: v_dual_and_b32 v130, 0x7fffff, v129
	s_delay_alu instid0(VALU_DEP_1) | instskip(SKIP_2) | instid1(VALU_DEP_4)
	v_or_b32_e32 v132, 0x800000, v130
	v_cmp_eq_u32_e32 vcc_lo, 0, v11
	v_add_nc_u32_e32 v11, 0xffffff89, v11
	v_cndmask_b32_e64 v131, v131, 0x77, vcc_lo
	s_delay_alu instid0(VALU_DEP_4) | instskip(NEXT) | instid1(VALU_DEP_3)
	v_cndmask_b32_e32 v130, v132, v130, vcc_lo
	v_cndmask_b32_e64 v11, v11, 0xffffff8a, vcc_lo
	s_delay_alu instid0(VALU_DEP_3) | instskip(NEXT) | instid1(VALU_DEP_3)
	v_lshl_add_u32 v132, 0x100000, v131, -1
	v_lshrrev_b32_e32 v133, v131, v130
	v_lshlrev_b32_e64 v135, v131, 0x80000
	s_delay_alu instid0(VALU_DEP_4) | instskip(NEXT) | instid1(VALU_DEP_4)
	v_add_nc_u32_e32 v131, v131, v11
	v_and_b32_e32 v130, v132, v130
	s_delay_alu instid0(VALU_DEP_4) | instskip(NEXT) | instid1(VALU_DEP_2)
	v_bfe_u32 v134, v133, 20, 1
	v_cmp_eq_u32_e64 s12, v130, v135
	s_delay_alu instid0(VALU_DEP_2) | instskip(NEXT) | instid1(VALU_DEP_1)
	v_add_nc_u32_e32 v132, -1, v134
	v_cndmask_b32_e64 v130, 0, v132, s12
	v_lshrrev_b32_e32 v132, 23, v133
	s_mov_b32 s12, exec_lo
	s_delay_alu instid0(VALU_DEP_2) | instskip(NEXT) | instid1(VALU_DEP_2)
	v_add_nc_u32_e32 v130, v130, v133
	v_xor_b32_e32 v132, 1, v132
	s_delay_alu instid0(VALU_DEP_2) | instskip(NEXT) | instid1(VALU_DEP_1)
	v_and_b32_e32 v11, 0xfffff, v130
	v_add_nc_u32_e32 v130, v11, v133
                                        ; implicit-def: $vgpr11
	s_delay_alu instid0(VALU_DEP_3)
	v_cmpx_ne_u32_e64 v131, v132
	s_xor_b32 s12, exec_lo, s12
; %bb.3041:                             ;   in Loop: Header=BB6_2717 Depth=2
	s_delay_alu instid0(VALU_DEP_2) | instskip(SKIP_2) | instid1(VALU_DEP_2)
	v_cmp_lt_u32_e32 vcc_lo, 0xffffff, v130
	v_sub_nc_u32_e32 v11, v131, v132
	v_cndmask_b32_e64 v131, 0, 1, vcc_lo
	v_add_co_ci_u32_e32 v11, vcc_lo, 0, v11, vcc_lo
	s_delay_alu instid0(VALU_DEP_2)
	v_lshrrev_b32_e32 v130, v131, v130
; %bb.3042:                             ;   in Loop: Header=BB6_2717 Depth=2
	s_and_not1_saveexec_b32 s12, s12
; %bb.3043:                             ;   in Loop: Header=BB6_2717 Depth=2
	s_delay_alu instid0(VALU_DEP_1)
	v_bfe_u32 v11, v130, 23, 1
; %bb.3044:                             ;   in Loop: Header=BB6_2717 Depth=2
	s_or_b32 exec_lo, exec_lo, s12
	v_lshrrev_b32_e32 v130, 20, v130
	s_delay_alu instid0(VALU_DEP_2) | instskip(SKIP_2) | instid1(VALU_DEP_2)
	v_cmp_gt_i32_e32 vcc_lo, 16, v11
	v_min_i32_e32 v131, 15, v11
	v_lshrrev_b32_e32 v129, 24, v129
	v_dual_cndmask_b32 v130, 7, v130 :: v_dual_lshlrev_b32 v131, 3, v131
	s_delay_alu instid0(VALU_DEP_2) | instskip(NEXT) | instid1(VALU_DEP_2)
	v_and_b32_e32 v129, 0x80, v129
	v_or_b32_e32 v11, v11, v130
	s_delay_alu instid0(VALU_DEP_3) | instskip(NEXT) | instid1(VALU_DEP_2)
	v_and_b32_e32 v131, 0xf8, v131
	v_cmp_ne_u32_e32 vcc_lo, 0, v11
	v_and_b32_e32 v132, 7, v130
	s_delay_alu instid0(VALU_DEP_1) | instskip(NEXT) | instid1(VALU_DEP_1)
	v_or3_b32 v129, v129, v131, v132
	v_lshlrev_b32_e32 v129, 8, v129
	s_delay_alu instid0(VALU_DEP_1)
	v_cndmask_b32_e32 v11, 0, v129, vcc_lo
.LBB6_3045:                             ;   in Loop: Header=BB6_2717 Depth=2
	s_or_b32 exec_lo, exec_lo, s28
.LBB6_3046:                             ;   in Loop: Header=BB6_2717 Depth=2
	s_delay_alu instid0(SALU_CYCLE_1) | instskip(SKIP_3) | instid1(VALU_DEP_1)
	s_or_b32 exec_lo, exec_lo, s27
	v_and_b32_e32 v130, 0xff, v116
	s_mov_b32 s12, 0
	s_mov_b32 s28, exec_lo
                                        ; implicit-def: $sgpr27
	v_cmpx_lt_i16_e64 0x7f, v130
	s_xor_b32 s28, exec_lo, s28
	s_cbranch_execnz .LBB6_3300
; %bb.3047:                             ;   in Loop: Header=BB6_2717 Depth=2
	s_or_saveexec_b32 s28, s28
	v_mov_b32_e32 v129, s27
	s_xor_b32 exec_lo, exec_lo, s28
	s_cbranch_execnz .LBB6_3303
.LBB6_3048:                             ;   in Loop: Header=BB6_2717 Depth=2
	s_or_b32 exec_lo, exec_lo, s28
	s_and_saveexec_b32 s27, s12
	s_cbranch_execz .LBB6_3050
.LBB6_3049:                             ;   in Loop: Header=BB6_2717 Depth=2
	v_bfe_u32 v132, v116, 3, 4
	s_delay_alu instid0(VALU_DEP_1) | instskip(SKIP_1) | instid1(VALU_DEP_1)
	v_cmp_eq_u32_e32 vcc_lo, 0, v132
	v_and_b32_e32 v129, 7, v116
	v_clz_i32_u32_e32 v130, v129
	s_delay_alu instid0(VALU_DEP_1) | instskip(NEXT) | instid1(VALU_DEP_1)
	v_min_u32_e32 v130, 32, v130
	v_subrev_nc_u32_e32 v131, 28, v130
	v_sub_nc_u32_e32 v130, 29, v130
	s_delay_alu instid0(VALU_DEP_1) | instskip(NEXT) | instid1(VALU_DEP_1)
	v_dual_cndmask_b32 v130, v132, v130 :: v_dual_lshlrev_b32 v131, v131, v116
	v_and_b32_e32 v131, 7, v131
	v_lshlrev_b32_e32 v116, 24, v116
	s_delay_alu instid0(VALU_DEP_3) | instskip(NEXT) | instid1(VALU_DEP_2)
	v_lshl_add_u32 v130, v130, 23, 0x3b800000
	v_dual_cndmask_b32 v129, v129, v131 :: v_dual_and_b32 v116, 0x80000000, v116
	s_delay_alu instid0(VALU_DEP_1) | instskip(NEXT) | instid1(VALU_DEP_1)
	v_lshlrev_b32_e32 v129, 20, v129
	v_or3_b32 v129, v116, v130, v129
.LBB6_3050:                             ;   in Loop: Header=BB6_2717 Depth=2
	s_or_b32 exec_lo, exec_lo, s27
	v_and_b32_e32 v130, 0xff, v12
	s_mov_b32 s12, 0
	s_mov_b32 s28, exec_lo
                                        ; implicit-def: $sgpr27
	s_delay_alu instid0(VALU_DEP_1)
	v_cmpx_lt_i16_e64 0x7f, v130
	s_xor_b32 s28, exec_lo, s28
	s_cbranch_execnz .LBB6_3304
; %bb.3051:                             ;   in Loop: Header=BB6_2717 Depth=2
	s_or_saveexec_b32 s28, s28
	v_mov_b32_e32 v116, s27
	s_xor_b32 exec_lo, exec_lo, s28
	s_cbranch_execnz .LBB6_3307
.LBB6_3052:                             ;   in Loop: Header=BB6_2717 Depth=2
	s_or_b32 exec_lo, exec_lo, s28
	s_and_saveexec_b32 s27, s12
	s_cbranch_execz .LBB6_3054
.LBB6_3053:                             ;   in Loop: Header=BB6_2717 Depth=2
	v_and_b32_e32 v116, 7, v12
	v_bfe_u32 v132, v12, 3, 4
	s_delay_alu instid0(VALU_DEP_2) | instskip(NEXT) | instid1(VALU_DEP_2)
	v_clz_i32_u32_e32 v130, v116
	v_cmp_eq_u32_e32 vcc_lo, 0, v132
	s_delay_alu instid0(VALU_DEP_2) | instskip(NEXT) | instid1(VALU_DEP_1)
	v_min_u32_e32 v130, 32, v130
	v_subrev_nc_u32_e32 v131, 28, v130
	v_sub_nc_u32_e32 v130, 29, v130
	s_delay_alu instid0(VALU_DEP_1) | instskip(NEXT) | instid1(VALU_DEP_1)
	v_dual_cndmask_b32 v130, v132, v130 :: v_dual_lshlrev_b32 v131, v131, v12
	v_and_b32_e32 v131, 7, v131
	v_lshlrev_b32_e32 v133, 24, v12
	s_delay_alu instid0(VALU_DEP_3) | instskip(NEXT) | instid1(VALU_DEP_2)
	v_lshl_add_u32 v130, v130, 23, 0x3b800000
	v_dual_cndmask_b32 v116, v116, v131 :: v_dual_and_b32 v131, 0x80000000, v133
	s_delay_alu instid0(VALU_DEP_1) | instskip(NEXT) | instid1(VALU_DEP_1)
	v_lshlrev_b32_e32 v116, 20, v116
	v_or3_b32 v116, v131, v130, v116
.LBB6_3054:                             ;   in Loop: Header=BB6_2717 Depth=2
	s_or_b32 exec_lo, exec_lo, s27
	s_delay_alu instid0(VALU_DEP_1) | instskip(NEXT) | instid1(VALU_DEP_1)
	v_add_f32_e32 v129, v129, v116
	v_and_b32_e32 v116, 0x7f800000, v129
	s_delay_alu instid0(VALU_DEP_1)
	v_cmp_ne_u32_e32 vcc_lo, 0x7f800000, v116
	v_mov_b32_e32 v116, 0x80
	s_and_saveexec_b32 s27, vcc_lo
	s_cbranch_execz .LBB6_3062
; %bb.3055:                             ;   in Loop: Header=BB6_2717 Depth=2
	v_mov_b32_e32 v116, 0
	s_mov_b32 s28, exec_lo
	v_cmpx_ne_u32_e32 0, v129
	s_cbranch_execz .LBB6_3061
; %bb.3056:                             ;   in Loop: Header=BB6_2717 Depth=2
	v_bfe_u32 v116, v129, 23, 8
	s_delay_alu instid0(VALU_DEP_1) | instskip(SKIP_1) | instid1(VALU_DEP_2)
	v_sub_nc_u32_e32 v131, 0x78, v116
	v_cmp_gt_u32_e32 vcc_lo, 0x79, v116
	v_dual_cndmask_b32 v131, 0, v131 :: v_dual_and_b32 v130, 0x7fffff, v129
	s_delay_alu instid0(VALU_DEP_1) | instskip(SKIP_2) | instid1(VALU_DEP_4)
	v_or_b32_e32 v132, 0x800000, v130
	v_cmp_eq_u32_e32 vcc_lo, 0, v116
	v_add_nc_u32_e32 v116, 0xffffff89, v116
	v_cndmask_b32_e64 v131, v131, 0x77, vcc_lo
	s_delay_alu instid0(VALU_DEP_2) | instskip(SKIP_1) | instid1(VALU_DEP_3)
	v_cndmask_b32_e64 v116, v116, 0xffffff8a, vcc_lo
	v_cndmask_b32_e32 v130, v132, v130, vcc_lo
	v_lshl_add_u32 v132, 0x100000, v131, -1
	v_lshlrev_b32_e64 v135, v131, 0x80000
	s_delay_alu instid0(VALU_DEP_3) | instskip(SKIP_1) | instid1(VALU_DEP_4)
	v_lshrrev_b32_e32 v133, v131, v130
	v_add_nc_u32_e32 v131, v131, v116
	v_and_b32_e32 v130, v132, v130
	s_delay_alu instid0(VALU_DEP_3) | instskip(NEXT) | instid1(VALU_DEP_2)
	v_bfe_u32 v134, v133, 20, 1
	v_cmp_eq_u32_e64 s12, v130, v135
	s_delay_alu instid0(VALU_DEP_2) | instskip(NEXT) | instid1(VALU_DEP_1)
	v_add_nc_u32_e32 v132, -1, v134
	v_cndmask_b32_e64 v130, 0, v132, s12
	v_lshrrev_b32_e32 v132, 23, v133
	s_mov_b32 s12, exec_lo
	s_delay_alu instid0(VALU_DEP_2) | instskip(NEXT) | instid1(VALU_DEP_2)
	v_add_nc_u32_e32 v130, v130, v133
	v_xor_b32_e32 v132, 1, v132
	s_delay_alu instid0(VALU_DEP_2) | instskip(NEXT) | instid1(VALU_DEP_1)
	v_and_b32_e32 v116, 0xfffff, v130
	v_add_nc_u32_e32 v130, v116, v133
                                        ; implicit-def: $vgpr116
	s_delay_alu instid0(VALU_DEP_3)
	v_cmpx_ne_u32_e64 v131, v132
	s_xor_b32 s12, exec_lo, s12
; %bb.3057:                             ;   in Loop: Header=BB6_2717 Depth=2
	s_delay_alu instid0(VALU_DEP_2) | instskip(SKIP_2) | instid1(VALU_DEP_2)
	v_cmp_lt_u32_e32 vcc_lo, 0xffffff, v130
	v_sub_nc_u32_e32 v116, v131, v132
	v_cndmask_b32_e64 v131, 0, 1, vcc_lo
	v_add_co_ci_u32_e32 v116, vcc_lo, 0, v116, vcc_lo
	s_delay_alu instid0(VALU_DEP_2)
	v_lshrrev_b32_e32 v130, v131, v130
; %bb.3058:                             ;   in Loop: Header=BB6_2717 Depth=2
	s_and_not1_saveexec_b32 s12, s12
; %bb.3059:                             ;   in Loop: Header=BB6_2717 Depth=2
	s_delay_alu instid0(VALU_DEP_1)
	v_bfe_u32 v116, v130, 23, 1
; %bb.3060:                             ;   in Loop: Header=BB6_2717 Depth=2
	s_or_b32 exec_lo, exec_lo, s12
	v_lshrrev_b32_e32 v130, 20, v130
	s_delay_alu instid0(VALU_DEP_2) | instskip(SKIP_2) | instid1(VALU_DEP_2)
	v_cmp_gt_i32_e32 vcc_lo, 16, v116
	v_lshrrev_b32_e32 v129, 24, v129
	v_min_i32_e32 v131, 15, v116
	v_dual_cndmask_b32 v130, 7, v130 :: v_dual_and_b32 v129, 0x80, v129
	s_delay_alu instid0(VALU_DEP_1) | instskip(SKIP_1) | instid1(VALU_DEP_2)
	v_or_b32_e32 v116, v116, v130
	v_and_b32_e32 v132, 7, v130
	v_cmp_ne_u32_e32 vcc_lo, 0, v116
	v_lshlrev_b32_e32 v131, 3, v131
	s_delay_alu instid0(VALU_DEP_1) | instskip(NEXT) | instid1(VALU_DEP_1)
	v_or3_b32 v129, v131, v129, v132
	v_cndmask_b32_e32 v116, 0, v129, vcc_lo
.LBB6_3061:                             ;   in Loop: Header=BB6_2717 Depth=2
	s_or_b32 exec_lo, exec_lo, s28
.LBB6_3062:                             ;   in Loop: Header=BB6_2717 Depth=2
	s_delay_alu instid0(SALU_CYCLE_1) | instskip(SKIP_3) | instid1(VALU_DEP_1)
	s_or_b32 exec_lo, exec_lo, s27
	v_and_b32_e32 v130, 0xff, v114
	s_mov_b32 s12, 0
	s_mov_b32 s28, exec_lo
                                        ; implicit-def: $sgpr27
	v_cmpx_lt_i16_e64 0x7f, v130
	s_xor_b32 s28, exec_lo, s28
	s_cbranch_execnz .LBB6_3308
; %bb.3063:                             ;   in Loop: Header=BB6_2717 Depth=2
	s_or_saveexec_b32 s28, s28
	v_mov_b32_e32 v129, s27
	s_xor_b32 exec_lo, exec_lo, s28
	s_cbranch_execnz .LBB6_3311
.LBB6_3064:                             ;   in Loop: Header=BB6_2717 Depth=2
	s_or_b32 exec_lo, exec_lo, s28
	s_and_saveexec_b32 s27, s12
	s_cbranch_execz .LBB6_3066
.LBB6_3065:                             ;   in Loop: Header=BB6_2717 Depth=2
	v_and_b32_e32 v129, 7, v114
	v_bfe_u32 v132, v114, 3, 4
	s_delay_alu instid0(VALU_DEP_2) | instskip(NEXT) | instid1(VALU_DEP_2)
	v_clz_i32_u32_e32 v130, v129
	v_cmp_eq_u32_e32 vcc_lo, 0, v132
	s_delay_alu instid0(VALU_DEP_2) | instskip(NEXT) | instid1(VALU_DEP_1)
	v_min_u32_e32 v130, 32, v130
	v_subrev_nc_u32_e32 v131, 28, v130
	v_sub_nc_u32_e32 v130, 29, v130
	s_delay_alu instid0(VALU_DEP_2) | instskip(NEXT) | instid1(VALU_DEP_1)
	v_lshlrev_b32_e32 v131, v131, v114
	v_dual_cndmask_b32 v130, v132, v130 :: v_dual_and_b32 v131, 7, v131
	v_lshlrev_b32_e32 v114, 24, v114
	s_delay_alu instid0(VALU_DEP_2) | instskip(NEXT) | instid1(VALU_DEP_2)
	v_lshl_add_u32 v130, v130, 23, 0x3b800000
	v_dual_cndmask_b32 v129, v129, v131 :: v_dual_and_b32 v114, 0x80000000, v114
	s_delay_alu instid0(VALU_DEP_1) | instskip(NEXT) | instid1(VALU_DEP_1)
	v_lshlrev_b32_e32 v129, 20, v129
	v_or3_b32 v129, v114, v130, v129
.LBB6_3066:                             ;   in Loop: Header=BB6_2717 Depth=2
	s_or_b32 exec_lo, exec_lo, s27
	v_lshrrev_b16 v114, 8, v12
	s_mov_b32 s12, 0
	s_mov_b32 s28, exec_lo
                                        ; implicit-def: $sgpr27
	s_delay_alu instid0(VALU_DEP_1)
	v_cmpx_lt_i16_e32 0x7f, v114
	s_xor_b32 s28, exec_lo, s28
	s_cbranch_execnz .LBB6_3312
; %bb.3067:                             ;   in Loop: Header=BB6_2717 Depth=2
	s_or_saveexec_b32 s28, s28
	v_mov_b32_e32 v130, s27
	s_xor_b32 exec_lo, exec_lo, s28
	s_cbranch_execnz .LBB6_3315
.LBB6_3068:                             ;   in Loop: Header=BB6_2717 Depth=2
	s_or_b32 exec_lo, exec_lo, s28
	s_and_saveexec_b32 s27, s12
	s_cbranch_execz .LBB6_3070
.LBB6_3069:                             ;   in Loop: Header=BB6_2717 Depth=2
	v_and_b32_e32 v130, 0xffff, v114
	v_lshlrev_b32_e32 v114, 24, v114
	s_delay_alu instid0(VALU_DEP_2) | instskip(NEXT) | instid1(VALU_DEP_2)
	v_and_b32_e32 v131, 7, v130
	v_and_b32_e32 v114, 0x80000000, v114
	s_delay_alu instid0(VALU_DEP_2) | instskip(NEXT) | instid1(VALU_DEP_1)
	v_clz_i32_u32_e32 v132, v131
	v_min_u32_e32 v132, 32, v132
	s_delay_alu instid0(VALU_DEP_1) | instskip(SKIP_1) | instid1(VALU_DEP_2)
	v_subrev_nc_u32_e32 v133, 28, v132
	v_sub_nc_u32_e32 v132, 29, v132
	v_lshlrev_b32_e32 v133, v133, v130
	v_bfe_u32 v130, v130, 3, 4
	s_delay_alu instid0(VALU_DEP_2) | instskip(NEXT) | instid1(VALU_DEP_2)
	v_and_b32_e32 v133, 7, v133
	v_cmp_eq_u32_e32 vcc_lo, 0, v130
	s_delay_alu instid0(VALU_DEP_2) | instskip(NEXT) | instid1(VALU_DEP_1)
	v_dual_cndmask_b32 v130, v130, v132 :: v_dual_cndmask_b32 v131, v131, v133
	v_lshl_add_u32 v130, v130, 23, 0x3b800000
	s_delay_alu instid0(VALU_DEP_2) | instskip(NEXT) | instid1(VALU_DEP_1)
	v_lshlrev_b32_e32 v131, 20, v131
	v_or3_b32 v130, v114, v130, v131
.LBB6_3070:                             ;   in Loop: Header=BB6_2717 Depth=2
	s_or_b32 exec_lo, exec_lo, s27
	s_delay_alu instid0(VALU_DEP_1) | instskip(NEXT) | instid1(VALU_DEP_1)
	v_add_f32_e32 v129, v129, v130
	v_and_b32_e32 v114, 0x7f800000, v129
	s_delay_alu instid0(VALU_DEP_1)
	v_cmp_ne_u32_e32 vcc_lo, 0x7f800000, v114
	v_mov_b32_e32 v114, 0x80
	s_and_saveexec_b32 s27, vcc_lo
	s_cbranch_execz .LBB6_3078
; %bb.3071:                             ;   in Loop: Header=BB6_2717 Depth=2
	v_mov_b32_e32 v114, 0
	s_mov_b32 s28, exec_lo
	v_cmpx_ne_u32_e32 0, v129
	s_cbranch_execz .LBB6_3077
; %bb.3072:                             ;   in Loop: Header=BB6_2717 Depth=2
	v_bfe_u32 v114, v129, 23, 8
	s_delay_alu instid0(VALU_DEP_1) | instskip(SKIP_1) | instid1(VALU_DEP_2)
	v_sub_nc_u32_e32 v131, 0x78, v114
	v_cmp_gt_u32_e32 vcc_lo, 0x79, v114
	v_dual_cndmask_b32 v131, 0, v131 :: v_dual_and_b32 v130, 0x7fffff, v129
	s_delay_alu instid0(VALU_DEP_1) | instskip(SKIP_2) | instid1(VALU_DEP_4)
	v_or_b32_e32 v132, 0x800000, v130
	v_cmp_eq_u32_e32 vcc_lo, 0, v114
	v_add_nc_u32_e32 v114, 0xffffff89, v114
	v_cndmask_b32_e64 v131, v131, 0x77, vcc_lo
	s_delay_alu instid0(VALU_DEP_4) | instskip(NEXT) | instid1(VALU_DEP_3)
	v_cndmask_b32_e32 v130, v132, v130, vcc_lo
	v_cndmask_b32_e64 v114, v114, 0xffffff8a, vcc_lo
	s_delay_alu instid0(VALU_DEP_3) | instskip(NEXT) | instid1(VALU_DEP_3)
	v_lshl_add_u32 v132, 0x100000, v131, -1
	v_lshrrev_b32_e32 v133, v131, v130
	v_lshlrev_b32_e64 v135, v131, 0x80000
	s_delay_alu instid0(VALU_DEP_4) | instskip(NEXT) | instid1(VALU_DEP_4)
	v_add_nc_u32_e32 v131, v131, v114
	v_and_b32_e32 v130, v132, v130
	s_delay_alu instid0(VALU_DEP_4) | instskip(NEXT) | instid1(VALU_DEP_2)
	v_bfe_u32 v134, v133, 20, 1
	v_cmp_eq_u32_e64 s12, v130, v135
	s_delay_alu instid0(VALU_DEP_2) | instskip(NEXT) | instid1(VALU_DEP_1)
	v_add_nc_u32_e32 v132, -1, v134
	v_cndmask_b32_e64 v130, 0, v132, s12
	v_lshrrev_b32_e32 v132, 23, v133
	s_mov_b32 s12, exec_lo
	s_delay_alu instid0(VALU_DEP_2) | instskip(NEXT) | instid1(VALU_DEP_2)
	v_add_nc_u32_e32 v130, v130, v133
	v_xor_b32_e32 v132, 1, v132
	s_delay_alu instid0(VALU_DEP_2) | instskip(NEXT) | instid1(VALU_DEP_1)
	v_and_b32_e32 v114, 0xfffff, v130
	v_add_nc_u32_e32 v130, v114, v133
                                        ; implicit-def: $vgpr114
	s_delay_alu instid0(VALU_DEP_3)
	v_cmpx_ne_u32_e64 v131, v132
	s_xor_b32 s12, exec_lo, s12
; %bb.3073:                             ;   in Loop: Header=BB6_2717 Depth=2
	s_delay_alu instid0(VALU_DEP_2) | instskip(SKIP_2) | instid1(VALU_DEP_2)
	v_cmp_lt_u32_e32 vcc_lo, 0xffffff, v130
	v_sub_nc_u32_e32 v114, v131, v132
	v_cndmask_b32_e64 v131, 0, 1, vcc_lo
	v_add_co_ci_u32_e32 v114, vcc_lo, 0, v114, vcc_lo
	s_delay_alu instid0(VALU_DEP_2)
	v_lshrrev_b32_e32 v130, v131, v130
; %bb.3074:                             ;   in Loop: Header=BB6_2717 Depth=2
	s_and_not1_saveexec_b32 s12, s12
; %bb.3075:                             ;   in Loop: Header=BB6_2717 Depth=2
	s_delay_alu instid0(VALU_DEP_1)
	v_bfe_u32 v114, v130, 23, 1
; %bb.3076:                             ;   in Loop: Header=BB6_2717 Depth=2
	s_or_b32 exec_lo, exec_lo, s12
	v_lshrrev_b32_e32 v130, 20, v130
	s_delay_alu instid0(VALU_DEP_2) | instskip(SKIP_2) | instid1(VALU_DEP_2)
	v_cmp_gt_i32_e32 vcc_lo, 16, v114
	v_lshrrev_b32_e32 v129, 24, v129
	v_min_i32_e32 v131, 15, v114
	v_dual_cndmask_b32 v130, 7, v130 :: v_dual_and_b32 v129, 0x80, v129
	s_delay_alu instid0(VALU_DEP_1) | instskip(SKIP_1) | instid1(VALU_DEP_2)
	v_or_b32_e32 v114, v114, v130
	v_and_b32_e32 v132, 7, v130
	v_cmp_ne_u32_e32 vcc_lo, 0, v114
	v_lshlrev_b32_e32 v131, 3, v131
	s_delay_alu instid0(VALU_DEP_1) | instskip(NEXT) | instid1(VALU_DEP_1)
	v_or3_b32 v129, v131, v129, v132
	v_cndmask_b32_e32 v114, 0, v129, vcc_lo
.LBB6_3077:                             ;   in Loop: Header=BB6_2717 Depth=2
	s_or_b32 exec_lo, exec_lo, s28
.LBB6_3078:                             ;   in Loop: Header=BB6_2717 Depth=2
	s_delay_alu instid0(SALU_CYCLE_1) | instskip(SKIP_3) | instid1(VALU_DEP_1)
	s_or_b32 exec_lo, exec_lo, s27
	v_and_b32_e32 v130, 0xff, v71
	s_mov_b32 s12, 0
	s_mov_b32 s28, exec_lo
                                        ; implicit-def: $sgpr27
	v_cmpx_lt_i16_e64 0x7f, v130
	s_xor_b32 s28, exec_lo, s28
	s_cbranch_execnz .LBB6_3316
; %bb.3079:                             ;   in Loop: Header=BB6_2717 Depth=2
	s_or_saveexec_b32 s28, s28
	v_mov_b32_e32 v129, s27
	s_xor_b32 exec_lo, exec_lo, s28
	s_cbranch_execnz .LBB6_3319
.LBB6_3080:                             ;   in Loop: Header=BB6_2717 Depth=2
	s_or_b32 exec_lo, exec_lo, s28
	s_and_saveexec_b32 s27, s12
	s_cbranch_execz .LBB6_3082
.LBB6_3081:                             ;   in Loop: Header=BB6_2717 Depth=2
	v_bfe_u32 v132, v71, 3, 4
	s_delay_alu instid0(VALU_DEP_1) | instskip(SKIP_1) | instid1(VALU_DEP_1)
	v_cmp_eq_u32_e32 vcc_lo, 0, v132
	v_and_b32_e32 v129, 7, v71
	v_clz_i32_u32_e32 v130, v129
	s_delay_alu instid0(VALU_DEP_1) | instskip(NEXT) | instid1(VALU_DEP_1)
	v_min_u32_e32 v130, 32, v130
	v_subrev_nc_u32_e32 v131, 28, v130
	v_sub_nc_u32_e32 v130, 29, v130
	s_delay_alu instid0(VALU_DEP_1) | instskip(SKIP_1) | instid1(VALU_DEP_2)
	v_dual_cndmask_b32 v130, v132, v130 :: v_dual_lshlrev_b32 v131, v131, v71
	v_lshlrev_b32_e32 v71, 24, v71
	v_and_b32_e32 v131, 7, v131
	s_delay_alu instid0(VALU_DEP_3) | instskip(NEXT) | instid1(VALU_DEP_3)
	v_lshl_add_u32 v130, v130, 23, 0x3b800000
	v_and_b32_e32 v71, 0x80000000, v71
	s_delay_alu instid0(VALU_DEP_3) | instskip(NEXT) | instid1(VALU_DEP_1)
	v_cndmask_b32_e32 v129, v129, v131, vcc_lo
	v_lshlrev_b32_e32 v129, 20, v129
	s_delay_alu instid0(VALU_DEP_1)
	v_or3_b32 v129, v71, v130, v129
.LBB6_3082:                             ;   in Loop: Header=BB6_2717 Depth=2
	s_or_b32 exec_lo, exec_lo, s27
	v_lshrrev_b32_e32 v71, 16, v12
	s_mov_b32 s12, 0
	s_mov_b32 s28, exec_lo
                                        ; implicit-def: $sgpr27
	s_delay_alu instid0(VALU_DEP_1) | instskip(NEXT) | instid1(VALU_DEP_1)
	v_and_b32_e32 v131, 0xff, v71
	v_cmpx_lt_i16_e64 0x7f, v131
	s_xor_b32 s28, exec_lo, s28
	s_cbranch_execnz .LBB6_3320
; %bb.3083:                             ;   in Loop: Header=BB6_2717 Depth=2
	s_or_saveexec_b32 s28, s28
	v_mov_b32_e32 v130, s27
	s_xor_b32 exec_lo, exec_lo, s28
	s_cbranch_execnz .LBB6_3323
.LBB6_3084:                             ;   in Loop: Header=BB6_2717 Depth=2
	s_or_b32 exec_lo, exec_lo, s28
	s_and_saveexec_b32 s27, s12
	s_cbranch_execz .LBB6_3086
.LBB6_3085:                             ;   in Loop: Header=BB6_2717 Depth=2
	v_bfe_u32 v130, v12, 16, 3
	v_lshlrev_b32_e32 v133, 8, v12
	s_delay_alu instid0(VALU_DEP_2) | instskip(NEXT) | instid1(VALU_DEP_1)
	v_clz_i32_u32_e32 v131, v130
	v_min_u32_e32 v131, 32, v131
	s_delay_alu instid0(VALU_DEP_1) | instskip(SKIP_1) | instid1(VALU_DEP_2)
	v_subrev_nc_u32_e32 v132, 28, v131
	v_sub_nc_u32_e32 v131, 29, v131
	v_lshlrev_b32_e32 v71, v132, v71
	v_bfe_u32 v132, v12, 19, 4
	s_delay_alu instid0(VALU_DEP_2) | instskip(NEXT) | instid1(VALU_DEP_2)
	v_and_b32_e32 v71, 7, v71
	v_cmp_eq_u32_e32 vcc_lo, 0, v132
	v_cndmask_b32_e32 v131, v132, v131, vcc_lo
	s_delay_alu instid0(VALU_DEP_3) | instskip(NEXT) | instid1(VALU_DEP_2)
	v_dual_cndmask_b32 v71, v130, v71 :: v_dual_and_b32 v130, 0x80000000, v133
	v_lshl_add_u32 v131, v131, 23, 0x3b800000
	s_delay_alu instid0(VALU_DEP_2) | instskip(NEXT) | instid1(VALU_DEP_1)
	v_lshlrev_b32_e32 v71, 20, v71
	v_or3_b32 v130, v130, v131, v71
.LBB6_3086:                             ;   in Loop: Header=BB6_2717 Depth=2
	s_or_b32 exec_lo, exec_lo, s27
	s_delay_alu instid0(VALU_DEP_1) | instskip(NEXT) | instid1(VALU_DEP_1)
	v_add_f32_e32 v129, v129, v130
	v_and_b32_e32 v71, 0x7f800000, v129
	s_delay_alu instid0(VALU_DEP_1)
	v_cmp_ne_u32_e32 vcc_lo, 0x7f800000, v71
	v_mov_b32_e32 v71, 0x80
	s_and_saveexec_b32 s27, vcc_lo
	s_cbranch_execz .LBB6_3094
; %bb.3087:                             ;   in Loop: Header=BB6_2717 Depth=2
	v_mov_b32_e32 v71, 0
	s_mov_b32 s28, exec_lo
	v_cmpx_ne_u32_e32 0, v129
	s_cbranch_execz .LBB6_3093
; %bb.3088:                             ;   in Loop: Header=BB6_2717 Depth=2
	v_bfe_u32 v71, v129, 23, 8
	s_delay_alu instid0(VALU_DEP_1) | instskip(SKIP_1) | instid1(VALU_DEP_2)
	v_sub_nc_u32_e32 v131, 0x78, v71
	v_cmp_gt_u32_e32 vcc_lo, 0x79, v71
	v_dual_cndmask_b32 v131, 0, v131 :: v_dual_and_b32 v130, 0x7fffff, v129
	s_delay_alu instid0(VALU_DEP_1) | instskip(SKIP_2) | instid1(VALU_DEP_4)
	v_or_b32_e32 v132, 0x800000, v130
	v_cmp_eq_u32_e32 vcc_lo, 0, v71
	v_add_nc_u32_e32 v71, 0xffffff89, v71
	v_cndmask_b32_e64 v131, v131, 0x77, vcc_lo
	s_delay_alu instid0(VALU_DEP_4) | instskip(NEXT) | instid1(VALU_DEP_3)
	v_cndmask_b32_e32 v130, v132, v130, vcc_lo
	v_cndmask_b32_e64 v71, v71, 0xffffff8a, vcc_lo
	s_delay_alu instid0(VALU_DEP_3) | instskip(NEXT) | instid1(VALU_DEP_3)
	v_lshl_add_u32 v132, 0x100000, v131, -1
	v_lshrrev_b32_e32 v133, v131, v130
	v_lshlrev_b32_e64 v135, v131, 0x80000
	s_delay_alu instid0(VALU_DEP_4) | instskip(NEXT) | instid1(VALU_DEP_4)
	v_add_nc_u32_e32 v131, v131, v71
	v_and_b32_e32 v130, v132, v130
	s_delay_alu instid0(VALU_DEP_4) | instskip(NEXT) | instid1(VALU_DEP_2)
	v_bfe_u32 v134, v133, 20, 1
	v_cmp_eq_u32_e64 s12, v130, v135
	s_delay_alu instid0(VALU_DEP_2) | instskip(NEXT) | instid1(VALU_DEP_1)
	v_add_nc_u32_e32 v132, -1, v134
	v_cndmask_b32_e64 v130, 0, v132, s12
	v_lshrrev_b32_e32 v132, 23, v133
	s_mov_b32 s12, exec_lo
	s_delay_alu instid0(VALU_DEP_2) | instskip(NEXT) | instid1(VALU_DEP_2)
	v_add_nc_u32_e32 v130, v130, v133
	v_xor_b32_e32 v132, 1, v132
	s_delay_alu instid0(VALU_DEP_2) | instskip(NEXT) | instid1(VALU_DEP_1)
	v_and_b32_e32 v71, 0xfffff, v130
	v_add_nc_u32_e32 v130, v71, v133
                                        ; implicit-def: $vgpr71
	s_delay_alu instid0(VALU_DEP_3)
	v_cmpx_ne_u32_e64 v131, v132
	s_xor_b32 s12, exec_lo, s12
; %bb.3089:                             ;   in Loop: Header=BB6_2717 Depth=2
	s_delay_alu instid0(VALU_DEP_2) | instskip(SKIP_2) | instid1(VALU_DEP_2)
	v_cmp_lt_u32_e32 vcc_lo, 0xffffff, v130
	v_sub_nc_u32_e32 v71, v131, v132
	v_cndmask_b32_e64 v131, 0, 1, vcc_lo
	v_add_co_ci_u32_e32 v71, vcc_lo, 0, v71, vcc_lo
	s_delay_alu instid0(VALU_DEP_2)
	v_lshrrev_b32_e32 v130, v131, v130
; %bb.3090:                             ;   in Loop: Header=BB6_2717 Depth=2
	s_and_not1_saveexec_b32 s12, s12
; %bb.3091:                             ;   in Loop: Header=BB6_2717 Depth=2
	s_delay_alu instid0(VALU_DEP_1)
	v_bfe_u32 v71, v130, 23, 1
; %bb.3092:                             ;   in Loop: Header=BB6_2717 Depth=2
	s_or_b32 exec_lo, exec_lo, s12
	v_lshrrev_b32_e32 v130, 20, v130
	s_delay_alu instid0(VALU_DEP_2) | instskip(SKIP_2) | instid1(VALU_DEP_2)
	v_cmp_gt_i32_e32 vcc_lo, 16, v71
	v_lshrrev_b32_e32 v129, 24, v129
	v_min_i32_e32 v131, 15, v71
	v_dual_cndmask_b32 v130, 7, v130 :: v_dual_and_b32 v129, 0x80, v129
	s_delay_alu instid0(VALU_DEP_2) | instskip(NEXT) | instid1(VALU_DEP_2)
	v_lshlrev_b32_e32 v131, 3, v131
	v_or_b32_e32 v71, v71, v130
	s_delay_alu instid0(VALU_DEP_1) | instskip(SKIP_1) | instid1(VALU_DEP_1)
	v_cmp_ne_u32_e32 vcc_lo, 0, v71
	v_and_b32_e32 v132, 7, v130
	v_or3_b32 v129, v131, v129, v132
	s_delay_alu instid0(VALU_DEP_1)
	v_cndmask_b32_e32 v71, 0, v129, vcc_lo
.LBB6_3093:                             ;   in Loop: Header=BB6_2717 Depth=2
	s_or_b32 exec_lo, exec_lo, s28
.LBB6_3094:                             ;   in Loop: Header=BB6_2717 Depth=2
	s_delay_alu instid0(SALU_CYCLE_1) | instskip(SKIP_3) | instid1(VALU_DEP_1)
	s_or_b32 exec_lo, exec_lo, s27
	v_and_b32_e32 v130, 0xff, v68
	s_mov_b32 s12, 0
	s_mov_b32 s28, exec_lo
                                        ; implicit-def: $sgpr27
	v_cmpx_lt_i16_e64 0x7f, v130
	s_xor_b32 s28, exec_lo, s28
	s_cbranch_execnz .LBB6_3324
; %bb.3095:                             ;   in Loop: Header=BB6_2717 Depth=2
	s_or_saveexec_b32 s28, s28
	v_mov_b32_e32 v129, s27
	s_xor_b32 exec_lo, exec_lo, s28
	s_cbranch_execnz .LBB6_3327
.LBB6_3096:                             ;   in Loop: Header=BB6_2717 Depth=2
	s_or_b32 exec_lo, exec_lo, s28
	s_and_saveexec_b32 s27, s12
	s_cbranch_execz .LBB6_3098
.LBB6_3097:                             ;   in Loop: Header=BB6_2717 Depth=2
	v_lshlrev_b32_e32 v68, 8, v68
	s_delay_alu instid0(VALU_DEP_1) | instskip(SKIP_1) | instid1(VALU_DEP_2)
	v_and_b32_e32 v129, 0xff00, v68
	v_bfe_u32 v68, v68, 11, 4
	v_bfe_u32 v131, v129, 8, 3
	s_delay_alu instid0(VALU_DEP_2) | instskip(NEXT) | instid1(VALU_DEP_2)
	v_cmp_eq_u32_e32 vcc_lo, 0, v68
	v_clz_i32_u32_e32 v132, v131
	s_delay_alu instid0(VALU_DEP_1) | instskip(NEXT) | instid1(VALU_DEP_1)
	v_min_u32_e32 v132, 32, v132
	v_subrev_nc_u32_e32 v133, 28, v132
	v_sub_nc_u32_e32 v132, 29, v132
	s_delay_alu instid0(VALU_DEP_2) | instskip(NEXT) | instid1(VALU_DEP_2)
	v_lshlrev_b32_e32 v130, v133, v130
	v_cndmask_b32_e32 v68, v68, v132, vcc_lo
	s_delay_alu instid0(VALU_DEP_2) | instskip(NEXT) | instid1(VALU_DEP_2)
	v_and_b32_e32 v130, 7, v130
	v_lshl_add_u32 v68, v68, 23, 0x3b800000
	s_delay_alu instid0(VALU_DEP_2) | instskip(NEXT) | instid1(VALU_DEP_1)
	v_dual_cndmask_b32 v130, v131, v130 :: v_dual_lshlrev_b32 v129, 16, v129
	v_lshlrev_b32_e32 v130, 20, v130
	s_delay_alu instid0(VALU_DEP_2) | instskip(NEXT) | instid1(VALU_DEP_1)
	v_and_b32_e32 v129, 0x80000000, v129
	v_or3_b32 v129, v129, v68, v130
.LBB6_3098:                             ;   in Loop: Header=BB6_2717 Depth=2
	s_or_b32 exec_lo, exec_lo, s27
	v_lshrrev_b32_e32 v68, 24, v12
	s_mov_b32 s12, 0
	s_mov_b32 s28, exec_lo
                                        ; implicit-def: $sgpr27
	s_delay_alu instid0(VALU_DEP_1)
	v_cmpx_lt_i16_e32 0x7f, v68
	s_xor_b32 s28, exec_lo, s28
	s_cbranch_execnz .LBB6_3328
; %bb.3099:                             ;   in Loop: Header=BB6_2717 Depth=2
	s_or_saveexec_b32 s28, s28
	v_mov_b32_e32 v130, s27
	s_xor_b32 exec_lo, exec_lo, s28
	s_cbranch_execnz .LBB6_3331
.LBB6_3100:                             ;   in Loop: Header=BB6_2717 Depth=2
	s_or_b32 exec_lo, exec_lo, s28
	s_and_saveexec_b32 s27, s12
	s_cbranch_execz .LBB6_3102
.LBB6_3101:                             ;   in Loop: Header=BB6_2717 Depth=2
	v_bfe_u32 v130, v12, 24, 3
	s_delay_alu instid0(VALU_DEP_1) | instskip(NEXT) | instid1(VALU_DEP_1)
	v_clz_i32_u32_e32 v131, v130
	v_min_u32_e32 v131, 32, v131
	s_delay_alu instid0(VALU_DEP_1) | instskip(SKIP_1) | instid1(VALU_DEP_2)
	v_subrev_nc_u32_e32 v132, 28, v131
	v_sub_nc_u32_e32 v131, 29, v131
	v_lshlrev_b32_e32 v68, v132, v68
	v_bfe_u32 v132, v12, 27, 4
	v_and_b32_e32 v12, 0x80000000, v12
	s_delay_alu instid0(VALU_DEP_2) | instskip(NEXT) | instid1(VALU_DEP_4)
	v_cmp_eq_u32_e32 vcc_lo, 0, v132
	v_dual_cndmask_b32 v131, v132, v131 :: v_dual_and_b32 v68, 7, v68
	s_delay_alu instid0(VALU_DEP_1) | instskip(NEXT) | instid1(VALU_DEP_2)
	v_cndmask_b32_e32 v68, v130, v68, vcc_lo
	v_lshl_add_u32 v130, v131, 23, 0x3b800000
	s_delay_alu instid0(VALU_DEP_2) | instskip(NEXT) | instid1(VALU_DEP_1)
	v_lshlrev_b32_e32 v68, 20, v68
	v_or3_b32 v130, v12, v130, v68
.LBB6_3102:                             ;   in Loop: Header=BB6_2717 Depth=2
	s_or_b32 exec_lo, exec_lo, s27
	s_delay_alu instid0(VALU_DEP_1) | instskip(NEXT) | instid1(VALU_DEP_1)
	v_add_f32_e32 v68, v129, v130
	v_and_b32_e32 v12, 0x7f800000, v68
	s_delay_alu instid0(VALU_DEP_1)
	v_cmp_ne_u32_e32 vcc_lo, 0x7f800000, v12
	v_mov_b32_e32 v12, 0x80
	s_and_saveexec_b32 s27, vcc_lo
	s_cbranch_execz .LBB6_3110
; %bb.3103:                             ;   in Loop: Header=BB6_2717 Depth=2
	v_mov_b32_e32 v12, 0
	s_mov_b32 s28, exec_lo
	v_cmpx_ne_u32_e32 0, v68
	s_cbranch_execz .LBB6_3109
; %bb.3104:                             ;   in Loop: Header=BB6_2717 Depth=2
	v_bfe_u32 v12, v68, 23, 8
	s_delay_alu instid0(VALU_DEP_1) | instskip(SKIP_1) | instid1(VALU_DEP_2)
	v_sub_nc_u32_e32 v130, 0x78, v12
	v_cmp_gt_u32_e32 vcc_lo, 0x79, v12
	v_dual_cndmask_b32 v130, 0, v130 :: v_dual_and_b32 v129, 0x7fffff, v68
	s_delay_alu instid0(VALU_DEP_1) | instskip(SKIP_2) | instid1(VALU_DEP_4)
	v_or_b32_e32 v131, 0x800000, v129
	v_cmp_eq_u32_e32 vcc_lo, 0, v12
	v_add_nc_u32_e32 v12, 0xffffff89, v12
	v_cndmask_b32_e64 v130, v130, 0x77, vcc_lo
	s_delay_alu instid0(VALU_DEP_4) | instskip(NEXT) | instid1(VALU_DEP_3)
	v_cndmask_b32_e32 v129, v131, v129, vcc_lo
	v_cndmask_b32_e64 v12, v12, 0xffffff8a, vcc_lo
	s_delay_alu instid0(VALU_DEP_3) | instskip(NEXT) | instid1(VALU_DEP_3)
	v_lshl_add_u32 v131, 0x100000, v130, -1
	v_lshrrev_b32_e32 v132, v130, v129
	v_lshlrev_b32_e64 v134, v130, 0x80000
	s_delay_alu instid0(VALU_DEP_4) | instskip(NEXT) | instid1(VALU_DEP_4)
	v_add_nc_u32_e32 v130, v130, v12
	v_and_b32_e32 v129, v131, v129
	s_delay_alu instid0(VALU_DEP_4) | instskip(NEXT) | instid1(VALU_DEP_2)
	v_bfe_u32 v133, v132, 20, 1
	v_cmp_eq_u32_e64 s12, v129, v134
	s_delay_alu instid0(VALU_DEP_2) | instskip(NEXT) | instid1(VALU_DEP_1)
	v_add_nc_u32_e32 v131, -1, v133
	v_cndmask_b32_e64 v129, 0, v131, s12
	v_lshrrev_b32_e32 v131, 23, v132
	s_mov_b32 s12, exec_lo
	s_delay_alu instid0(VALU_DEP_2) | instskip(NEXT) | instid1(VALU_DEP_2)
	v_add_nc_u32_e32 v129, v129, v132
	v_xor_b32_e32 v131, 1, v131
	s_delay_alu instid0(VALU_DEP_2) | instskip(NEXT) | instid1(VALU_DEP_1)
	v_and_b32_e32 v12, 0xfffff, v129
	v_add_nc_u32_e32 v129, v12, v132
                                        ; implicit-def: $vgpr12
	s_delay_alu instid0(VALU_DEP_3)
	v_cmpx_ne_u32_e64 v130, v131
	s_xor_b32 s12, exec_lo, s12
; %bb.3105:                             ;   in Loop: Header=BB6_2717 Depth=2
	s_delay_alu instid0(VALU_DEP_2) | instskip(SKIP_2) | instid1(VALU_DEP_2)
	v_cmp_lt_u32_e32 vcc_lo, 0xffffff, v129
	v_sub_nc_u32_e32 v12, v130, v131
	v_cndmask_b32_e64 v130, 0, 1, vcc_lo
	v_add_co_ci_u32_e32 v12, vcc_lo, 0, v12, vcc_lo
	s_delay_alu instid0(VALU_DEP_2)
	v_lshrrev_b32_e32 v129, v130, v129
; %bb.3106:                             ;   in Loop: Header=BB6_2717 Depth=2
	s_and_not1_saveexec_b32 s12, s12
; %bb.3107:                             ;   in Loop: Header=BB6_2717 Depth=2
	s_delay_alu instid0(VALU_DEP_1)
	v_bfe_u32 v12, v129, 23, 1
; %bb.3108:                             ;   in Loop: Header=BB6_2717 Depth=2
	s_or_b32 exec_lo, exec_lo, s12
	v_lshrrev_b32_e32 v129, 20, v129
	s_delay_alu instid0(VALU_DEP_2) | instskip(SKIP_2) | instid1(VALU_DEP_2)
	v_cmp_gt_i32_e32 vcc_lo, 16, v12
	v_lshrrev_b32_e32 v68, 24, v68
	v_min_i32_e32 v130, 15, v12
	v_dual_cndmask_b32 v129, 7, v129 :: v_dual_and_b32 v68, 0x80, v68
	s_delay_alu instid0(VALU_DEP_2) | instskip(NEXT) | instid1(VALU_DEP_2)
	v_lshlrev_b32_e32 v130, 3, v130
	v_or_b32_e32 v12, v12, v129
	s_delay_alu instid0(VALU_DEP_1) | instskip(SKIP_1) | instid1(VALU_DEP_1)
	v_cmp_ne_u32_e32 vcc_lo, 0, v12
	v_and_b32_e32 v131, 7, v129
	v_or3_b32 v68, v130, v68, v131
	s_delay_alu instid0(VALU_DEP_1)
	v_cndmask_b32_e32 v12, 0, v68, vcc_lo
.LBB6_3109:                             ;   in Loop: Header=BB6_2717 Depth=2
	s_or_b32 exec_lo, exec_lo, s28
.LBB6_3110:                             ;   in Loop: Header=BB6_2717 Depth=2
	s_delay_alu instid0(SALU_CYCLE_1) | instskip(SKIP_3) | instid1(VALU_DEP_1)
	s_or_b32 exec_lo, exec_lo, s27
	v_or_b32_e32 v68, v115, v67
	s_mov_b32 s12, 0
	s_mov_b32 s28, exec_lo
                                        ; implicit-def: $sgpr27
	v_and_b32_e32 v115, 0xff, v68
	s_delay_alu instid0(VALU_DEP_1)
	v_cmpx_lt_i16_e32 0x7f, v115
	s_xor_b32 s28, exec_lo, s28
	s_cbranch_execnz .LBB6_3332
; %bb.3111:                             ;   in Loop: Header=BB6_2717 Depth=2
	s_or_saveexec_b32 s28, s28
	v_mov_b32_e32 v67, s27
	s_xor_b32 exec_lo, exec_lo, s28
	s_cbranch_execnz .LBB6_3335
.LBB6_3112:                             ;   in Loop: Header=BB6_2717 Depth=2
	s_or_b32 exec_lo, exec_lo, s28
	s_and_saveexec_b32 s27, s12
	s_cbranch_execz .LBB6_3114
.LBB6_3113:                             ;   in Loop: Header=BB6_2717 Depth=2
	v_and_b32_e32 v67, 7, v68
	v_bfe_u32 v130, v68, 3, 4
	v_lshlrev_b32_e32 v131, 24, v68
	s_delay_alu instid0(VALU_DEP_3) | instskip(NEXT) | instid1(VALU_DEP_3)
	v_clz_i32_u32_e32 v115, v67
	v_cmp_eq_u32_e32 vcc_lo, 0, v130
	s_delay_alu instid0(VALU_DEP_2) | instskip(NEXT) | instid1(VALU_DEP_1)
	v_min_u32_e32 v115, 32, v115
	v_subrev_nc_u32_e32 v129, 28, v115
	v_sub_nc_u32_e32 v115, 29, v115
	s_delay_alu instid0(VALU_DEP_2) | instskip(NEXT) | instid1(VALU_DEP_2)
	v_lshlrev_b32_e32 v129, v129, v68
	v_cndmask_b32_e32 v115, v130, v115, vcc_lo
	s_delay_alu instid0(VALU_DEP_2) | instskip(NEXT) | instid1(VALU_DEP_2)
	v_and_b32_e32 v129, 7, v129
	v_lshl_add_u32 v115, v115, 23, 0x3b800000
	s_delay_alu instid0(VALU_DEP_2) | instskip(SKIP_1) | instid1(VALU_DEP_2)
	v_cndmask_b32_e32 v67, v67, v129, vcc_lo
	v_and_b32_e32 v129, 0x80000000, v131
	v_lshlrev_b32_e32 v67, 20, v67
	s_delay_alu instid0(VALU_DEP_1)
	v_or3_b32 v67, v129, v115, v67
.LBB6_3114:                             ;   in Loop: Header=BB6_2717 Depth=2
	s_or_b32 exec_lo, exec_lo, s27
	v_and_b32_e32 v129, 0xff, v13
	s_mov_b32 s12, 0
	s_mov_b32 s28, exec_lo
                                        ; implicit-def: $sgpr27
	s_delay_alu instid0(VALU_DEP_1)
	v_cmpx_lt_i16_e64 0x7f, v129
	s_xor_b32 s28, exec_lo, s28
	s_cbranch_execnz .LBB6_3336
; %bb.3115:                             ;   in Loop: Header=BB6_2717 Depth=2
	s_or_saveexec_b32 s28, s28
	v_mov_b32_e32 v115, s27
	s_xor_b32 exec_lo, exec_lo, s28
	s_cbranch_execnz .LBB6_3339
.LBB6_3116:                             ;   in Loop: Header=BB6_2717 Depth=2
	s_or_b32 exec_lo, exec_lo, s28
	s_and_saveexec_b32 s27, s12
	s_cbranch_execz .LBB6_3118
.LBB6_3117:                             ;   in Loop: Header=BB6_2717 Depth=2
	v_and_b32_e32 v115, 7, v13
	v_bfe_u32 v131, v13, 3, 4
	s_delay_alu instid0(VALU_DEP_2) | instskip(NEXT) | instid1(VALU_DEP_2)
	v_clz_i32_u32_e32 v129, v115
	v_cmp_eq_u32_e32 vcc_lo, 0, v131
	s_delay_alu instid0(VALU_DEP_2) | instskip(NEXT) | instid1(VALU_DEP_1)
	v_min_u32_e32 v129, 32, v129
	v_subrev_nc_u32_e32 v130, 28, v129
	v_sub_nc_u32_e32 v129, 29, v129
	s_delay_alu instid0(VALU_DEP_2) | instskip(NEXT) | instid1(VALU_DEP_1)
	v_lshlrev_b32_e32 v130, v130, v13
	v_dual_cndmask_b32 v129, v131, v129 :: v_dual_and_b32 v130, 7, v130
	v_lshlrev_b32_e32 v132, 24, v13
	s_delay_alu instid0(VALU_DEP_2) | instskip(NEXT) | instid1(VALU_DEP_2)
	v_lshl_add_u32 v129, v129, 23, 0x3b800000
	v_dual_cndmask_b32 v115, v115, v130 :: v_dual_and_b32 v130, 0x80000000, v132
	s_delay_alu instid0(VALU_DEP_1) | instskip(NEXT) | instid1(VALU_DEP_1)
	v_lshlrev_b32_e32 v115, 20, v115
	v_or3_b32 v115, v130, v129, v115
.LBB6_3118:                             ;   in Loop: Header=BB6_2717 Depth=2
	s_or_b32 exec_lo, exec_lo, s27
	s_delay_alu instid0(VALU_DEP_1) | instskip(NEXT) | instid1(VALU_DEP_1)
	v_add_f32_e32 v115, v67, v115
	v_and_b32_e32 v67, 0x7f800000, v115
	s_delay_alu instid0(VALU_DEP_1)
	v_cmp_ne_u32_e32 vcc_lo, 0x7f800000, v67
	v_mov_b32_e32 v67, 0x80
	s_and_saveexec_b32 s27, vcc_lo
	s_cbranch_execz .LBB6_3126
; %bb.3119:                             ;   in Loop: Header=BB6_2717 Depth=2
	v_mov_b32_e32 v67, 0
	s_mov_b32 s28, exec_lo
	v_cmpx_ne_u32_e32 0, v115
	s_cbranch_execz .LBB6_3125
; %bb.3120:                             ;   in Loop: Header=BB6_2717 Depth=2
	v_bfe_u32 v67, v115, 23, 8
	s_delay_alu instid0(VALU_DEP_1) | instskip(SKIP_1) | instid1(VALU_DEP_2)
	v_sub_nc_u32_e32 v130, 0x78, v67
	v_cmp_gt_u32_e32 vcc_lo, 0x79, v67
	v_dual_cndmask_b32 v130, 0, v130 :: v_dual_and_b32 v129, 0x7fffff, v115
	s_delay_alu instid0(VALU_DEP_1) | instskip(SKIP_2) | instid1(VALU_DEP_4)
	v_or_b32_e32 v131, 0x800000, v129
	v_cmp_eq_u32_e32 vcc_lo, 0, v67
	v_add_nc_u32_e32 v67, 0xffffff89, v67
	v_cndmask_b32_e64 v130, v130, 0x77, vcc_lo
	s_delay_alu instid0(VALU_DEP_2) | instskip(SKIP_1) | instid1(VALU_DEP_3)
	v_cndmask_b32_e64 v67, v67, 0xffffff8a, vcc_lo
	v_cndmask_b32_e32 v129, v131, v129, vcc_lo
	v_lshl_add_u32 v131, 0x100000, v130, -1
	v_lshlrev_b32_e64 v134, v130, 0x80000
	s_delay_alu instid0(VALU_DEP_3) | instskip(SKIP_1) | instid1(VALU_DEP_4)
	v_lshrrev_b32_e32 v132, v130, v129
	v_add_nc_u32_e32 v130, v130, v67
	v_and_b32_e32 v129, v131, v129
	s_delay_alu instid0(VALU_DEP_3) | instskip(NEXT) | instid1(VALU_DEP_2)
	v_bfe_u32 v133, v132, 20, 1
	v_cmp_eq_u32_e64 s12, v129, v134
	s_delay_alu instid0(VALU_DEP_2) | instskip(NEXT) | instid1(VALU_DEP_1)
	v_add_nc_u32_e32 v131, -1, v133
	v_cndmask_b32_e64 v129, 0, v131, s12
	v_lshrrev_b32_e32 v131, 23, v132
	s_mov_b32 s12, exec_lo
	s_delay_alu instid0(VALU_DEP_2) | instskip(NEXT) | instid1(VALU_DEP_2)
	v_add_nc_u32_e32 v129, v129, v132
	v_xor_b32_e32 v131, 1, v131
	s_delay_alu instid0(VALU_DEP_2) | instskip(NEXT) | instid1(VALU_DEP_1)
	v_and_b32_e32 v67, 0xfffff, v129
	v_add_nc_u32_e32 v129, v67, v132
                                        ; implicit-def: $vgpr67
	s_delay_alu instid0(VALU_DEP_3)
	v_cmpx_ne_u32_e64 v130, v131
	s_xor_b32 s12, exec_lo, s12
; %bb.3121:                             ;   in Loop: Header=BB6_2717 Depth=2
	s_delay_alu instid0(VALU_DEP_2) | instskip(SKIP_2) | instid1(VALU_DEP_2)
	v_cmp_lt_u32_e32 vcc_lo, 0xffffff, v129
	v_sub_nc_u32_e32 v67, v130, v131
	v_cndmask_b32_e64 v130, 0, 1, vcc_lo
	v_add_co_ci_u32_e32 v67, vcc_lo, 0, v67, vcc_lo
	s_delay_alu instid0(VALU_DEP_2)
	v_lshrrev_b32_e32 v129, v130, v129
; %bb.3122:                             ;   in Loop: Header=BB6_2717 Depth=2
	s_and_not1_saveexec_b32 s12, s12
; %bb.3123:                             ;   in Loop: Header=BB6_2717 Depth=2
	s_delay_alu instid0(VALU_DEP_1)
	v_bfe_u32 v67, v129, 23, 1
; %bb.3124:                             ;   in Loop: Header=BB6_2717 Depth=2
	s_or_b32 exec_lo, exec_lo, s12
	v_lshrrev_b32_e32 v129, 20, v129
	s_delay_alu instid0(VALU_DEP_2) | instskip(SKIP_2) | instid1(VALU_DEP_4)
	v_cmp_gt_i32_e32 vcc_lo, 16, v67
	v_lshrrev_b32_e32 v115, 24, v115
	v_min_i32_e32 v130, 15, v67
	v_cndmask_b32_e32 v129, 7, v129, vcc_lo
	s_delay_alu instid0(VALU_DEP_3) | instskip(NEXT) | instid1(VALU_DEP_3)
	v_and_b32_e32 v115, 0x80, v115
	v_lshlrev_b32_e32 v130, 3, v130
	s_delay_alu instid0(VALU_DEP_3) | instskip(SKIP_1) | instid1(VALU_DEP_2)
	v_and_b32_e32 v131, 7, v129
	v_or_b32_e32 v67, v67, v129
	v_or3_b32 v115, v130, v115, v131
	s_delay_alu instid0(VALU_DEP_2) | instskip(NEXT) | instid1(VALU_DEP_2)
	v_cmp_ne_u32_e32 vcc_lo, 0, v67
	v_cndmask_b32_e32 v67, 0, v115, vcc_lo
.LBB6_3125:                             ;   in Loop: Header=BB6_2717 Depth=2
	s_or_b32 exec_lo, exec_lo, s28
.LBB6_3126:                             ;   in Loop: Header=BB6_2717 Depth=2
	s_delay_alu instid0(SALU_CYCLE_1) | instskip(SKIP_3) | instid1(VALU_DEP_1)
	s_or_b32 exec_lo, exec_lo, s27
	v_lshrrev_b16 v129, 8, v68
	s_mov_b32 s12, 0
	s_mov_b32 s28, exec_lo
                                        ; implicit-def: $sgpr27
	v_cmpx_lt_i16_e64 0x7f, v129
	s_xor_b32 s28, exec_lo, s28
	s_cbranch_execnz .LBB6_3340
; %bb.3127:                             ;   in Loop: Header=BB6_2717 Depth=2
	s_or_saveexec_b32 s28, s28
	v_mov_b32_e32 v115, s27
	s_xor_b32 exec_lo, exec_lo, s28
	s_cbranch_execnz .LBB6_3343
.LBB6_3128:                             ;   in Loop: Header=BB6_2717 Depth=2
	s_or_b32 exec_lo, exec_lo, s28
	s_and_saveexec_b32 s27, s12
	s_cbranch_execz .LBB6_3130
.LBB6_3129:                             ;   in Loop: Header=BB6_2717 Depth=2
	v_and_b32_e32 v115, 0xffff, v129
	v_lshlrev_b32_e32 v129, 24, v129
	s_delay_alu instid0(VALU_DEP_2) | instskip(NEXT) | instid1(VALU_DEP_2)
	v_and_b32_e32 v130, 7, v115
	v_and_b32_e32 v129, 0x80000000, v129
	s_delay_alu instid0(VALU_DEP_2) | instskip(NEXT) | instid1(VALU_DEP_1)
	v_clz_i32_u32_e32 v131, v130
	v_min_u32_e32 v131, 32, v131
	s_delay_alu instid0(VALU_DEP_1) | instskip(SKIP_1) | instid1(VALU_DEP_2)
	v_subrev_nc_u32_e32 v132, 28, v131
	v_sub_nc_u32_e32 v131, 29, v131
	v_lshlrev_b32_e32 v132, v132, v115
	v_bfe_u32 v115, v115, 3, 4
	s_delay_alu instid0(VALU_DEP_1) | instskip(NEXT) | instid1(VALU_DEP_3)
	v_cmp_eq_u32_e32 vcc_lo, 0, v115
	v_dual_cndmask_b32 v115, v115, v131 :: v_dual_and_b32 v132, 7, v132
	s_delay_alu instid0(VALU_DEP_1) | instskip(NEXT) | instid1(VALU_DEP_2)
	v_cndmask_b32_e32 v130, v130, v132, vcc_lo
	v_lshl_add_u32 v115, v115, 23, 0x3b800000
	s_delay_alu instid0(VALU_DEP_2) | instskip(NEXT) | instid1(VALU_DEP_1)
	v_lshlrev_b32_e32 v130, 20, v130
	v_or3_b32 v115, v129, v115, v130
.LBB6_3130:                             ;   in Loop: Header=BB6_2717 Depth=2
	s_or_b32 exec_lo, exec_lo, s27
	v_lshrrev_b16 v129, 8, v13
	s_mov_b32 s12, 0
	s_mov_b32 s28, exec_lo
                                        ; implicit-def: $sgpr27
	s_delay_alu instid0(VALU_DEP_1)
	v_cmpx_lt_i16_e64 0x7f, v129
	s_xor_b32 s28, exec_lo, s28
	s_cbranch_execnz .LBB6_3344
; %bb.3131:                             ;   in Loop: Header=BB6_2717 Depth=2
	s_or_saveexec_b32 s28, s28
	v_mov_b32_e32 v130, s27
	s_xor_b32 exec_lo, exec_lo, s28
	s_cbranch_execnz .LBB6_3347
.LBB6_3132:                             ;   in Loop: Header=BB6_2717 Depth=2
	s_or_b32 exec_lo, exec_lo, s28
	s_and_saveexec_b32 s27, s12
	s_cbranch_execz .LBB6_3134
.LBB6_3133:                             ;   in Loop: Header=BB6_2717 Depth=2
	v_and_b32_e32 v130, 0xffff, v129
	v_lshlrev_b32_e32 v129, 24, v129
	s_delay_alu instid0(VALU_DEP_2) | instskip(NEXT) | instid1(VALU_DEP_2)
	v_and_b32_e32 v131, 7, v130
	v_and_b32_e32 v129, 0x80000000, v129
	s_delay_alu instid0(VALU_DEP_2) | instskip(NEXT) | instid1(VALU_DEP_1)
	v_clz_i32_u32_e32 v132, v131
	v_min_u32_e32 v132, 32, v132
	s_delay_alu instid0(VALU_DEP_1) | instskip(SKIP_1) | instid1(VALU_DEP_2)
	v_subrev_nc_u32_e32 v133, 28, v132
	v_sub_nc_u32_e32 v132, 29, v132
	v_lshlrev_b32_e32 v133, v133, v130
	v_bfe_u32 v130, v130, 3, 4
	s_delay_alu instid0(VALU_DEP_2) | instskip(NEXT) | instid1(VALU_DEP_2)
	v_and_b32_e32 v133, 7, v133
	v_cmp_eq_u32_e32 vcc_lo, 0, v130
	s_delay_alu instid0(VALU_DEP_2) | instskip(NEXT) | instid1(VALU_DEP_1)
	v_dual_cndmask_b32 v130, v130, v132 :: v_dual_cndmask_b32 v131, v131, v133
	v_lshl_add_u32 v130, v130, 23, 0x3b800000
	s_delay_alu instid0(VALU_DEP_2) | instskip(NEXT) | instid1(VALU_DEP_1)
	v_lshlrev_b32_e32 v131, 20, v131
	v_or3_b32 v130, v129, v130, v131
.LBB6_3134:                             ;   in Loop: Header=BB6_2717 Depth=2
	s_or_b32 exec_lo, exec_lo, s27
	s_delay_alu instid0(VALU_DEP_1) | instskip(NEXT) | instid1(VALU_DEP_1)
	v_add_f32_e32 v129, v115, v130
	v_and_b32_e32 v115, 0x7f800000, v129
	s_delay_alu instid0(VALU_DEP_1)
	v_cmp_ne_u32_e32 vcc_lo, 0x7f800000, v115
	v_mov_b32_e32 v115, 0x8000
	s_and_saveexec_b32 s27, vcc_lo
	s_cbranch_execz .LBB6_3142
; %bb.3135:                             ;   in Loop: Header=BB6_2717 Depth=2
	v_mov_b32_e32 v115, 0
	s_mov_b32 s28, exec_lo
	v_cmpx_ne_u32_e32 0, v129
	s_cbranch_execz .LBB6_3141
; %bb.3136:                             ;   in Loop: Header=BB6_2717 Depth=2
	v_bfe_u32 v115, v129, 23, 8
	s_delay_alu instid0(VALU_DEP_1) | instskip(SKIP_1) | instid1(VALU_DEP_2)
	v_sub_nc_u32_e32 v131, 0x78, v115
	v_cmp_gt_u32_e32 vcc_lo, 0x79, v115
	v_dual_cndmask_b32 v131, 0, v131 :: v_dual_and_b32 v130, 0x7fffff, v129
	s_delay_alu instid0(VALU_DEP_1) | instskip(SKIP_2) | instid1(VALU_DEP_4)
	v_or_b32_e32 v132, 0x800000, v130
	v_cmp_eq_u32_e32 vcc_lo, 0, v115
	v_add_nc_u32_e32 v115, 0xffffff89, v115
	v_cndmask_b32_e64 v131, v131, 0x77, vcc_lo
	s_delay_alu instid0(VALU_DEP_4) | instskip(NEXT) | instid1(VALU_DEP_3)
	v_cndmask_b32_e32 v130, v132, v130, vcc_lo
	v_cndmask_b32_e64 v115, v115, 0xffffff8a, vcc_lo
	s_delay_alu instid0(VALU_DEP_3) | instskip(NEXT) | instid1(VALU_DEP_3)
	v_lshl_add_u32 v132, 0x100000, v131, -1
	v_lshrrev_b32_e32 v133, v131, v130
	v_lshlrev_b32_e64 v135, v131, 0x80000
	s_delay_alu instid0(VALU_DEP_4) | instskip(NEXT) | instid1(VALU_DEP_4)
	v_add_nc_u32_e32 v131, v131, v115
	v_and_b32_e32 v130, v132, v130
	s_delay_alu instid0(VALU_DEP_4) | instskip(NEXT) | instid1(VALU_DEP_2)
	v_bfe_u32 v134, v133, 20, 1
	v_cmp_eq_u32_e64 s12, v130, v135
	s_delay_alu instid0(VALU_DEP_2) | instskip(NEXT) | instid1(VALU_DEP_1)
	v_add_nc_u32_e32 v132, -1, v134
	v_cndmask_b32_e64 v130, 0, v132, s12
	v_lshrrev_b32_e32 v132, 23, v133
	s_mov_b32 s12, exec_lo
	s_delay_alu instid0(VALU_DEP_2) | instskip(NEXT) | instid1(VALU_DEP_2)
	v_add_nc_u32_e32 v130, v130, v133
	v_xor_b32_e32 v132, 1, v132
	s_delay_alu instid0(VALU_DEP_2) | instskip(NEXT) | instid1(VALU_DEP_1)
	v_and_b32_e32 v115, 0xfffff, v130
	v_add_nc_u32_e32 v130, v115, v133
                                        ; implicit-def: $vgpr115
	s_delay_alu instid0(VALU_DEP_3)
	v_cmpx_ne_u32_e64 v131, v132
	s_xor_b32 s12, exec_lo, s12
; %bb.3137:                             ;   in Loop: Header=BB6_2717 Depth=2
	s_delay_alu instid0(VALU_DEP_2) | instskip(SKIP_2) | instid1(VALU_DEP_2)
	v_cmp_lt_u32_e32 vcc_lo, 0xffffff, v130
	v_sub_nc_u32_e32 v115, v131, v132
	v_cndmask_b32_e64 v131, 0, 1, vcc_lo
	v_add_co_ci_u32_e32 v115, vcc_lo, 0, v115, vcc_lo
	s_delay_alu instid0(VALU_DEP_2)
	v_lshrrev_b32_e32 v130, v131, v130
; %bb.3138:                             ;   in Loop: Header=BB6_2717 Depth=2
	s_and_not1_saveexec_b32 s12, s12
; %bb.3139:                             ;   in Loop: Header=BB6_2717 Depth=2
	s_delay_alu instid0(VALU_DEP_1)
	v_bfe_u32 v115, v130, 23, 1
; %bb.3140:                             ;   in Loop: Header=BB6_2717 Depth=2
	s_or_b32 exec_lo, exec_lo, s12
	v_lshrrev_b32_e32 v130, 20, v130
	s_delay_alu instid0(VALU_DEP_2) | instskip(SKIP_2) | instid1(VALU_DEP_2)
	v_cmp_gt_i32_e32 vcc_lo, 16, v115
	v_min_i32_e32 v131, 15, v115
	v_lshrrev_b32_e32 v129, 24, v129
	v_dual_cndmask_b32 v130, 7, v130 :: v_dual_lshlrev_b32 v131, 3, v131
	s_delay_alu instid0(VALU_DEP_2) | instskip(NEXT) | instid1(VALU_DEP_2)
	v_and_b32_e32 v129, 0x80, v129
	v_or_b32_e32 v115, v115, v130
	s_delay_alu instid0(VALU_DEP_3) | instskip(NEXT) | instid1(VALU_DEP_2)
	v_and_b32_e32 v131, 0xf8, v131
	v_cmp_ne_u32_e32 vcc_lo, 0, v115
	v_and_b32_e32 v132, 7, v130
	s_delay_alu instid0(VALU_DEP_1) | instskip(NEXT) | instid1(VALU_DEP_1)
	v_or3_b32 v129, v129, v131, v132
	v_lshlrev_b32_e32 v129, 8, v129
	s_delay_alu instid0(VALU_DEP_1)
	v_cndmask_b32_e32 v115, 0, v129, vcc_lo
.LBB6_3141:                             ;   in Loop: Header=BB6_2717 Depth=2
	s_or_b32 exec_lo, exec_lo, s28
.LBB6_3142:                             ;   in Loop: Header=BB6_2717 Depth=2
	s_delay_alu instid0(SALU_CYCLE_1) | instskip(SKIP_3) | instid1(VALU_DEP_1)
	s_or_b32 exec_lo, exec_lo, s27
	v_or_b32_e32 v70, v70, v66
	s_mov_b32 s12, 0
	s_mov_b32 s28, exec_lo
                                        ; implicit-def: $sgpr27
	v_and_b32_e32 v129, 0xff, v70
	s_delay_alu instid0(VALU_DEP_1)
	v_cmpx_lt_i16_e64 0x7f, v129
	s_xor_b32 s28, exec_lo, s28
	s_cbranch_execnz .LBB6_3348
; %bb.3143:                             ;   in Loop: Header=BB6_2717 Depth=2
	s_or_saveexec_b32 s28, s28
	v_mov_b32_e32 v66, s27
	s_xor_b32 exec_lo, exec_lo, s28
	s_cbranch_execnz .LBB6_3351
.LBB6_3144:                             ;   in Loop: Header=BB6_2717 Depth=2
	s_or_b32 exec_lo, exec_lo, s28
	v_lshl_or_b32 v68, v70, 16, v68
	s_and_saveexec_b32 s27, s12
	s_cbranch_execz .LBB6_3146
.LBB6_3145:                             ;   in Loop: Header=BB6_2717 Depth=2
	s_delay_alu instid0(VALU_DEP_1) | instskip(SKIP_1) | instid1(VALU_DEP_2)
	v_bfe_u32 v66, v68, 16, 3
	v_lshrrev_b32_e32 v129, 16, v68
	v_clz_i32_u32_e32 v70, v66
	s_delay_alu instid0(VALU_DEP_1) | instskip(NEXT) | instid1(VALU_DEP_1)
	v_min_u32_e32 v70, 32, v70
	v_subrev_nc_u32_e32 v130, 28, v70
	v_sub_nc_u32_e32 v70, 29, v70
	s_delay_alu instid0(VALU_DEP_2) | instskip(SKIP_1) | instid1(VALU_DEP_1)
	v_lshlrev_b32_e32 v129, v130, v129
	v_bfe_u32 v130, v68, 19, 4
	v_cmp_eq_u32_e32 vcc_lo, 0, v130
	s_delay_alu instid0(VALU_DEP_3) | instskip(NEXT) | instid1(VALU_DEP_1)
	v_dual_cndmask_b32 v70, v130, v70 :: v_dual_and_b32 v129, 7, v129
	v_dual_cndmask_b32 v66, v66, v129 :: v_dual_lshlrev_b32 v131, 8, v68
	s_delay_alu instid0(VALU_DEP_2) | instskip(NEXT) | instid1(VALU_DEP_2)
	v_lshl_add_u32 v70, v70, 23, 0x3b800000
	v_and_b32_e32 v129, 0x80000000, v131
	s_delay_alu instid0(VALU_DEP_3) | instskip(NEXT) | instid1(VALU_DEP_1)
	v_lshlrev_b32_e32 v66, 20, v66
	v_or3_b32 v66, v129, v70, v66
.LBB6_3146:                             ;   in Loop: Header=BB6_2717 Depth=2
	s_or_b32 exec_lo, exec_lo, s27
	v_lshrrev_b32_e32 v70, 16, v13
	s_mov_b32 s12, 0
	s_mov_b32 s28, exec_lo
                                        ; implicit-def: $sgpr27
	s_delay_alu instid0(VALU_DEP_1) | instskip(NEXT) | instid1(VALU_DEP_1)
	v_and_b32_e32 v130, 0xff, v70
	v_cmpx_lt_i16_e64 0x7f, v130
	s_xor_b32 s28, exec_lo, s28
	s_cbranch_execnz .LBB6_3352
; %bb.3147:                             ;   in Loop: Header=BB6_2717 Depth=2
	s_or_saveexec_b32 s28, s28
	v_mov_b32_e32 v129, s27
	s_xor_b32 exec_lo, exec_lo, s28
	s_cbranch_execnz .LBB6_3355
.LBB6_3148:                             ;   in Loop: Header=BB6_2717 Depth=2
	s_or_b32 exec_lo, exec_lo, s28
	s_and_saveexec_b32 s27, s12
	s_cbranch_execz .LBB6_3150
.LBB6_3149:                             ;   in Loop: Header=BB6_2717 Depth=2
	v_bfe_u32 v129, v13, 16, 3
	v_lshlrev_b32_e32 v132, 8, v13
	s_delay_alu instid0(VALU_DEP_2) | instskip(NEXT) | instid1(VALU_DEP_1)
	v_clz_i32_u32_e32 v130, v129
	v_min_u32_e32 v130, 32, v130
	s_delay_alu instid0(VALU_DEP_1) | instskip(SKIP_1) | instid1(VALU_DEP_2)
	v_subrev_nc_u32_e32 v131, 28, v130
	v_sub_nc_u32_e32 v130, 29, v130
	v_lshlrev_b32_e32 v70, v131, v70
	v_bfe_u32 v131, v13, 19, 4
	s_delay_alu instid0(VALU_DEP_2) | instskip(NEXT) | instid1(VALU_DEP_2)
	v_and_b32_e32 v70, 7, v70
	v_cmp_eq_u32_e32 vcc_lo, 0, v131
	v_cndmask_b32_e32 v130, v131, v130, vcc_lo
	s_delay_alu instid0(VALU_DEP_3) | instskip(NEXT) | instid1(VALU_DEP_2)
	v_dual_cndmask_b32 v70, v129, v70 :: v_dual_and_b32 v129, 0x80000000, v132
	v_lshl_add_u32 v130, v130, 23, 0x3b800000
	s_delay_alu instid0(VALU_DEP_2) | instskip(NEXT) | instid1(VALU_DEP_1)
	v_lshlrev_b32_e32 v70, 20, v70
	v_or3_b32 v129, v129, v130, v70
.LBB6_3150:                             ;   in Loop: Header=BB6_2717 Depth=2
	s_or_b32 exec_lo, exec_lo, s27
	s_delay_alu instid0(VALU_DEP_1) | instskip(NEXT) | instid1(VALU_DEP_1)
	v_add_f32_e32 v70, v66, v129
	v_and_b32_e32 v66, 0x7f800000, v70
	s_delay_alu instid0(VALU_DEP_1)
	v_cmp_ne_u32_e32 vcc_lo, 0x7f800000, v66
	v_mov_b32_e32 v66, 0x80
	s_and_saveexec_b32 s27, vcc_lo
	s_cbranch_execz .LBB6_3158
; %bb.3151:                             ;   in Loop: Header=BB6_2717 Depth=2
	v_mov_b32_e32 v66, 0
	s_mov_b32 s28, exec_lo
	v_cmpx_ne_u32_e32 0, v70
	s_cbranch_execz .LBB6_3157
; %bb.3152:                             ;   in Loop: Header=BB6_2717 Depth=2
	v_bfe_u32 v66, v70, 23, 8
	v_and_b32_e32 v129, 0x7fffff, v70
	s_delay_alu instid0(VALU_DEP_2) | instskip(SKIP_1) | instid1(VALU_DEP_3)
	v_sub_nc_u32_e32 v130, 0x78, v66
	v_cmp_gt_u32_e32 vcc_lo, 0x79, v66
	v_or_b32_e32 v131, 0x800000, v129
	s_delay_alu instid0(VALU_DEP_3) | instskip(SKIP_1) | instid1(VALU_DEP_3)
	v_cndmask_b32_e32 v130, 0, v130, vcc_lo
	v_cmp_eq_u32_e32 vcc_lo, 0, v66
	v_dual_cndmask_b32 v129, v131, v129 :: v_dual_add_nc_u32 v66, 0xffffff89, v66
	s_delay_alu instid0(VALU_DEP_3) | instskip(NEXT) | instid1(VALU_DEP_2)
	v_cndmask_b32_e64 v130, v130, 0x77, vcc_lo
	v_cndmask_b32_e64 v66, v66, 0xffffff8a, vcc_lo
	s_delay_alu instid0(VALU_DEP_2) | instskip(SKIP_2) | instid1(VALU_DEP_4)
	v_lshrrev_b32_e32 v132, v130, v129
	v_lshl_add_u32 v131, 0x100000, v130, -1
	v_lshlrev_b32_e64 v134, v130, 0x80000
	v_add_nc_u32_e32 v130, v130, v66
	s_delay_alu instid0(VALU_DEP_4) | instskip(NEXT) | instid1(VALU_DEP_4)
	v_bfe_u32 v133, v132, 20, 1
	v_and_b32_e32 v129, v131, v129
	s_delay_alu instid0(VALU_DEP_2) | instskip(NEXT) | instid1(VALU_DEP_2)
	v_add_nc_u32_e32 v131, -1, v133
	v_cmp_eq_u32_e64 s12, v129, v134
	s_delay_alu instid0(VALU_DEP_1) | instskip(SKIP_2) | instid1(VALU_DEP_2)
	v_cndmask_b32_e64 v129, 0, v131, s12
	v_lshrrev_b32_e32 v131, 23, v132
	s_mov_b32 s12, exec_lo
	v_add_nc_u32_e32 v129, v129, v132
	s_delay_alu instid0(VALU_DEP_2) | instskip(NEXT) | instid1(VALU_DEP_2)
	v_xor_b32_e32 v131, 1, v131
	v_and_b32_e32 v66, 0xfffff, v129
	s_delay_alu instid0(VALU_DEP_1) | instskip(NEXT) | instid1(VALU_DEP_3)
	v_add_nc_u32_e32 v129, v66, v132
                                        ; implicit-def: $vgpr66
	v_cmpx_ne_u32_e64 v130, v131
	s_xor_b32 s12, exec_lo, s12
; %bb.3153:                             ;   in Loop: Header=BB6_2717 Depth=2
	s_delay_alu instid0(VALU_DEP_2) | instskip(SKIP_2) | instid1(VALU_DEP_2)
	v_cmp_lt_u32_e32 vcc_lo, 0xffffff, v129
	v_sub_nc_u32_e32 v66, v130, v131
	v_cndmask_b32_e64 v130, 0, 1, vcc_lo
	v_add_co_ci_u32_e32 v66, vcc_lo, 0, v66, vcc_lo
	s_delay_alu instid0(VALU_DEP_2)
	v_lshrrev_b32_e32 v129, v130, v129
; %bb.3154:                             ;   in Loop: Header=BB6_2717 Depth=2
	s_and_not1_saveexec_b32 s12, s12
; %bb.3155:                             ;   in Loop: Header=BB6_2717 Depth=2
	s_delay_alu instid0(VALU_DEP_1)
	v_bfe_u32 v66, v129, 23, 1
; %bb.3156:                             ;   in Loop: Header=BB6_2717 Depth=2
	s_or_b32 exec_lo, exec_lo, s12
	v_lshrrev_b32_e32 v129, 20, v129
	s_delay_alu instid0(VALU_DEP_2) | instskip(SKIP_2) | instid1(VALU_DEP_2)
	v_cmp_gt_i32_e32 vcc_lo, 16, v66
	v_min_i32_e32 v130, 15, v66
	v_lshrrev_b32_e32 v70, 24, v70
	v_dual_cndmask_b32 v129, 7, v129 :: v_dual_lshlrev_b32 v130, 3, v130
	s_delay_alu instid0(VALU_DEP_2) | instskip(NEXT) | instid1(VALU_DEP_2)
	v_and_b32_e32 v70, 0x80, v70
	v_or_b32_e32 v66, v66, v129
	s_delay_alu instid0(VALU_DEP_3) | instskip(NEXT) | instid1(VALU_DEP_2)
	v_and_b32_e32 v130, 0xf8, v130
	v_cmp_ne_u32_e32 vcc_lo, 0, v66
	v_and_b32_e32 v131, 7, v129
	s_delay_alu instid0(VALU_DEP_1) | instskip(NEXT) | instid1(VALU_DEP_1)
	v_or3_b32 v70, v130, v70, v131
	v_cndmask_b32_e32 v66, 0, v70, vcc_lo
.LBB6_3157:                             ;   in Loop: Header=BB6_2717 Depth=2
	s_or_b32 exec_lo, exec_lo, s28
.LBB6_3158:                             ;   in Loop: Header=BB6_2717 Depth=2
	s_delay_alu instid0(SALU_CYCLE_1) | instskip(SKIP_3) | instid1(VALU_DEP_1)
	s_or_b32 exec_lo, exec_lo, s27
	v_lshrrev_b32_e32 v129, 24, v68
	s_mov_b32 s12, 0
	s_mov_b32 s28, exec_lo
                                        ; implicit-def: $sgpr27
	v_cmpx_lt_i16_e64 0x7f, v129
	s_xor_b32 s28, exec_lo, s28
	s_cbranch_execnz .LBB6_3356
; %bb.3159:                             ;   in Loop: Header=BB6_2717 Depth=2
	s_or_saveexec_b32 s28, s28
	v_mov_b32_e32 v70, s27
	s_xor_b32 exec_lo, exec_lo, s28
	s_cbranch_execnz .LBB6_3359
.LBB6_3160:                             ;   in Loop: Header=BB6_2717 Depth=2
	s_or_b32 exec_lo, exec_lo, s28
	s_and_saveexec_b32 s27, s12
	s_cbranch_execz .LBB6_3162
.LBB6_3161:                             ;   in Loop: Header=BB6_2717 Depth=2
	v_bfe_u32 v70, v68, 24, 3
	s_delay_alu instid0(VALU_DEP_1) | instskip(NEXT) | instid1(VALU_DEP_1)
	v_clz_i32_u32_e32 v130, v70
	v_min_u32_e32 v130, 32, v130
	s_delay_alu instid0(VALU_DEP_1) | instskip(SKIP_1) | instid1(VALU_DEP_2)
	v_subrev_nc_u32_e32 v131, 28, v130
	v_sub_nc_u32_e32 v130, 29, v130
	v_lshlrev_b32_e32 v129, v131, v129
	v_bfe_u32 v131, v68, 27, 4
	v_and_b32_e32 v68, 0x80000000, v68
	s_delay_alu instid0(VALU_DEP_2) | instskip(NEXT) | instid1(VALU_DEP_4)
	v_cmp_eq_u32_e32 vcc_lo, 0, v131
	v_dual_cndmask_b32 v130, v131, v130 :: v_dual_and_b32 v129, 7, v129
	s_delay_alu instid0(VALU_DEP_1) | instskip(NEXT) | instid1(VALU_DEP_2)
	v_cndmask_b32_e32 v70, v70, v129, vcc_lo
	v_lshl_add_u32 v129, v130, 23, 0x3b800000
	s_delay_alu instid0(VALU_DEP_2) | instskip(NEXT) | instid1(VALU_DEP_1)
	v_lshlrev_b32_e32 v70, 20, v70
	v_or3_b32 v70, v68, v129, v70
.LBB6_3162:                             ;   in Loop: Header=BB6_2717 Depth=2
	s_or_b32 exec_lo, exec_lo, s27
	v_lshrrev_b32_e32 v68, 24, v13
	s_mov_b32 s12, 0
	s_mov_b32 s28, exec_lo
                                        ; implicit-def: $sgpr27
	s_delay_alu instid0(VALU_DEP_1)
	v_cmpx_lt_i16_e32 0x7f, v68
	s_xor_b32 s28, exec_lo, s28
	s_cbranch_execnz .LBB6_3360
; %bb.3163:                             ;   in Loop: Header=BB6_2717 Depth=2
	s_or_saveexec_b32 s28, s28
	v_mov_b32_e32 v129, s27
	s_xor_b32 exec_lo, exec_lo, s28
	s_cbranch_execnz .LBB6_3363
.LBB6_3164:                             ;   in Loop: Header=BB6_2717 Depth=2
	s_or_b32 exec_lo, exec_lo, s28
	s_and_saveexec_b32 s27, s12
	s_cbranch_execz .LBB6_3166
.LBB6_3165:                             ;   in Loop: Header=BB6_2717 Depth=2
	v_bfe_u32 v129, v13, 24, 3
	s_delay_alu instid0(VALU_DEP_1) | instskip(NEXT) | instid1(VALU_DEP_1)
	v_clz_i32_u32_e32 v130, v129
	v_min_u32_e32 v130, 32, v130
	s_delay_alu instid0(VALU_DEP_1) | instskip(SKIP_1) | instid1(VALU_DEP_2)
	v_subrev_nc_u32_e32 v131, 28, v130
	v_sub_nc_u32_e32 v130, 29, v130
	v_lshlrev_b32_e32 v68, v131, v68
	v_bfe_u32 v131, v13, 27, 4
	v_and_b32_e32 v13, 0x80000000, v13
	s_delay_alu instid0(VALU_DEP_3) | instskip(NEXT) | instid1(VALU_DEP_3)
	v_and_b32_e32 v68, 7, v68
	v_cmp_eq_u32_e32 vcc_lo, 0, v131
	v_cndmask_b32_e32 v130, v131, v130, vcc_lo
	s_delay_alu instid0(VALU_DEP_3) | instskip(NEXT) | instid1(VALU_DEP_2)
	v_cndmask_b32_e32 v68, v129, v68, vcc_lo
	v_lshl_add_u32 v129, v130, 23, 0x3b800000
	s_delay_alu instid0(VALU_DEP_2) | instskip(NEXT) | instid1(VALU_DEP_1)
	v_lshlrev_b32_e32 v68, 20, v68
	v_or3_b32 v129, v13, v129, v68
.LBB6_3166:                             ;   in Loop: Header=BB6_2717 Depth=2
	s_or_b32 exec_lo, exec_lo, s27
	s_delay_alu instid0(VALU_DEP_1) | instskip(NEXT) | instid1(VALU_DEP_1)
	v_add_f32_e32 v13, v70, v129
	v_and_b32_e32 v68, 0x7f800000, v13
	s_delay_alu instid0(VALU_DEP_1)
	v_cmp_ne_u32_e32 vcc_lo, 0x7f800000, v68
	v_mov_b32_e32 v68, 0x8000
	s_and_saveexec_b32 s27, vcc_lo
	s_cbranch_execz .LBB6_2716
; %bb.3167:                             ;   in Loop: Header=BB6_2717 Depth=2
	v_mov_b32_e32 v68, 0
	s_mov_b32 s28, exec_lo
	v_cmpx_ne_u32_e32 0, v13
	s_cbranch_execz .LBB6_2715
; %bb.3168:                             ;   in Loop: Header=BB6_2717 Depth=2
	v_bfe_u32 v68, v13, 23, 8
	v_and_b32_e32 v70, 0x7fffff, v13
	s_delay_alu instid0(VALU_DEP_2) | instskip(SKIP_1) | instid1(VALU_DEP_3)
	v_sub_nc_u32_e32 v129, 0x78, v68
	v_cmp_gt_u32_e32 vcc_lo, 0x79, v68
	v_or_b32_e32 v130, 0x800000, v70
	s_delay_alu instid0(VALU_DEP_3) | instskip(SKIP_2) | instid1(VALU_DEP_4)
	v_cndmask_b32_e32 v129, 0, v129, vcc_lo
	v_cmp_eq_u32_e32 vcc_lo, 0, v68
	v_add_nc_u32_e32 v68, 0xffffff89, v68
	v_cndmask_b32_e32 v70, v130, v70, vcc_lo
	s_delay_alu instid0(VALU_DEP_4) | instskip(NEXT) | instid1(VALU_DEP_3)
	v_cndmask_b32_e64 v129, v129, 0x77, vcc_lo
	v_cndmask_b32_e64 v68, v68, 0xffffff8a, vcc_lo
	s_delay_alu instid0(VALU_DEP_2) | instskip(SKIP_2) | instid1(VALU_DEP_4)
	v_lshrrev_b32_e32 v131, v129, v70
	v_lshl_add_u32 v130, 0x100000, v129, -1
	v_lshlrev_b32_e64 v133, v129, 0x80000
	v_add_nc_u32_e32 v129, v129, v68
	s_delay_alu instid0(VALU_DEP_4) | instskip(NEXT) | instid1(VALU_DEP_4)
	v_bfe_u32 v132, v131, 20, 1
	v_and_b32_e32 v70, v130, v70
	s_delay_alu instid0(VALU_DEP_2) | instskip(NEXT) | instid1(VALU_DEP_2)
	v_add_nc_u32_e32 v130, -1, v132
	v_cmp_eq_u32_e64 s12, v70, v133
	s_delay_alu instid0(VALU_DEP_1) | instskip(SKIP_2) | instid1(VALU_DEP_2)
	v_cndmask_b32_e64 v70, 0, v130, s12
	v_lshrrev_b32_e32 v130, 23, v131
	s_mov_b32 s12, exec_lo
	v_add_nc_u32_e32 v70, v70, v131
	s_delay_alu instid0(VALU_DEP_2) | instskip(NEXT) | instid1(VALU_DEP_2)
	v_xor_b32_e32 v130, 1, v130
	v_and_b32_e32 v68, 0xfffff, v70
	s_delay_alu instid0(VALU_DEP_1) | instskip(NEXT) | instid1(VALU_DEP_3)
	v_add_nc_u32_e32 v70, v68, v131
                                        ; implicit-def: $vgpr68
	v_cmpx_ne_u32_e64 v129, v130
	s_xor_b32 s12, exec_lo, s12
; %bb.3169:                             ;   in Loop: Header=BB6_2717 Depth=2
	s_delay_alu instid0(VALU_DEP_2) | instskip(SKIP_2) | instid1(VALU_DEP_2)
	v_cmp_lt_u32_e32 vcc_lo, 0xffffff, v70
	v_sub_nc_u32_e32 v68, v129, v130
	v_cndmask_b32_e64 v129, 0, 1, vcc_lo
	v_add_co_ci_u32_e32 v68, vcc_lo, 0, v68, vcc_lo
	s_delay_alu instid0(VALU_DEP_2)
	v_lshrrev_b32_e32 v70, v129, v70
; %bb.3170:                             ;   in Loop: Header=BB6_2717 Depth=2
	s_and_not1_saveexec_b32 s12, s12
	s_cbranch_execz .LBB6_2714
; %bb.3171:                             ;   in Loop: Header=BB6_2717 Depth=2
	s_delay_alu instid0(VALU_DEP_1)
	v_bfe_u32 v68, v70, 23, 1
	s_branch .LBB6_2714
.LBB6_3172:                             ;   in Loop: Header=BB6_2717 Depth=2
	s_mov_b32 s12, -1
	s_mov_b32 vcc_hi, exec_lo
                                        ; implicit-def: $sgpr28
	v_cmpx_eq_u16_e32 0x80, v66
; %bb.3173:                             ;   in Loop: Header=BB6_2717 Depth=2
	s_mov_b32 s28, 0x7f800001
	s_xor_b32 s12, exec_lo, -1
; %bb.3174:                             ;   in Loop: Header=BB6_2717 Depth=2
	s_or_b32 exec_lo, exec_lo, vcc_hi
	s_delay_alu instid0(SALU_CYCLE_1)
	s_and_b32 s12, s12, exec_lo
                                        ; implicit-def: $vgpr66
	s_or_saveexec_b32 s29, s29
	v_mov_b32_e32 v25, s28
	s_xor_b32 exec_lo, exec_lo, s29
	s_cbranch_execz .LBB6_2728
.LBB6_3175:                             ;   in Loop: Header=BB6_2717 Depth=2
	v_cmp_ne_u16_e32 vcc_lo, 0, v66
	v_mov_b32_e32 v25, 0
	s_and_not1_b32 s12, s12, exec_lo
	s_and_b32 s28, vcc_lo, exec_lo
	s_delay_alu instid0(SALU_CYCLE_1)
	s_or_b32 s12, s12, s28
	s_or_b32 exec_lo, exec_lo, s29
	s_and_saveexec_b32 s28, s12
	s_cbranch_execnz .LBB6_2729
	s_branch .LBB6_2730
.LBB6_3176:                             ;   in Loop: Header=BB6_2717 Depth=2
	s_mov_b32 s12, -1
	s_mov_b32 vcc_hi, exec_lo
                                        ; implicit-def: $sgpr28
	v_cmpx_eq_u16_e32 0x80, v66
; %bb.3177:                             ;   in Loop: Header=BB6_2717 Depth=2
	s_mov_b32 s28, 0x7f800001
	s_xor_b32 s12, exec_lo, -1
; %bb.3178:                             ;   in Loop: Header=BB6_2717 Depth=2
	s_or_b32 exec_lo, exec_lo, vcc_hi
	s_delay_alu instid0(SALU_CYCLE_1)
	s_and_b32 s12, s12, exec_lo
	s_or_saveexec_b32 s29, s29
	v_mov_b32_e32 v67, s28
	s_xor_b32 exec_lo, exec_lo, s29
	s_cbranch_execz .LBB6_2740
.LBB6_3179:                             ;   in Loop: Header=BB6_2717 Depth=2
	v_cmp_ne_u16_e32 vcc_lo, 0, v66
	v_mov_b32_e32 v67, 0
	s_and_not1_b32 s12, s12, exec_lo
	s_and_b32 s28, vcc_lo, exec_lo
	s_delay_alu instid0(SALU_CYCLE_1)
	s_or_b32 s12, s12, s28
	s_or_b32 exec_lo, exec_lo, s29
	s_and_saveexec_b32 s28, s12
	s_cbranch_execnz .LBB6_2741
	s_branch .LBB6_2742
.LBB6_3180:                             ;   in Loop: Header=BB6_2717 Depth=2
	s_mov_b32 s12, -1
	s_mov_b32 vcc_hi, exec_lo
                                        ; implicit-def: $sgpr28
	v_cmpx_eq_u16_e32 0x80, v68
; %bb.3181:                             ;   in Loop: Header=BB6_2717 Depth=2
	s_mov_b32 s28, 0x7f800001
	s_xor_b32 s12, exec_lo, -1
; %bb.3182:                             ;   in Loop: Header=BB6_2717 Depth=2
	s_or_b32 exec_lo, exec_lo, vcc_hi
	s_delay_alu instid0(SALU_CYCLE_1)
	s_and_b32 s12, s12, exec_lo
                                        ; implicit-def: $vgpr68
	s_or_saveexec_b32 s29, s29
	v_mov_b32_e32 v67, s28
	s_xor_b32 exec_lo, exec_lo, s29
	s_cbranch_execz .LBB6_2752
.LBB6_3183:                             ;   in Loop: Header=BB6_2717 Depth=2
	v_cmp_ne_u16_e32 vcc_lo, 0, v68
	v_mov_b32_e32 v67, 0
	s_and_not1_b32 s12, s12, exec_lo
	s_and_b32 s28, vcc_lo, exec_lo
	s_delay_alu instid0(SALU_CYCLE_1)
	s_or_b32 s12, s12, s28
	s_or_b32 exec_lo, exec_lo, s29
	s_and_saveexec_b32 s28, s12
	s_cbranch_execnz .LBB6_2753
	s_branch .LBB6_2754
.LBB6_3184:                             ;   in Loop: Header=BB6_2717 Depth=2
	s_mov_b32 s12, -1
	s_mov_b32 vcc_hi, exec_lo
                                        ; implicit-def: $sgpr28
	v_cmpx_eq_u16_e32 0x80, v66
; %bb.3185:                             ;   in Loop: Header=BB6_2717 Depth=2
	s_mov_b32 s28, 0x7f800001
	s_xor_b32 s12, exec_lo, -1
; %bb.3186:                             ;   in Loop: Header=BB6_2717 Depth=2
	s_or_b32 exec_lo, exec_lo, vcc_hi
	s_delay_alu instid0(SALU_CYCLE_1)
	s_and_b32 s12, s12, exec_lo
	s_or_saveexec_b32 s29, s29
	v_mov_b32_e32 v67, s28
	s_xor_b32 exec_lo, exec_lo, s29
	s_cbranch_execz .LBB6_2764
.LBB6_3187:                             ;   in Loop: Header=BB6_2717 Depth=2
	v_cmp_ne_u16_e32 vcc_lo, 0, v66
	v_mov_b32_e32 v67, 0
	s_and_not1_b32 s12, s12, exec_lo
	s_and_b32 s28, vcc_lo, exec_lo
	s_delay_alu instid0(SALU_CYCLE_1)
	s_or_b32 s12, s12, s28
	s_or_b32 exec_lo, exec_lo, s29
	s_and_saveexec_b32 s28, s12
	s_cbranch_execnz .LBB6_2765
	s_branch .LBB6_2766
.LBB6_3188:                             ;   in Loop: Header=BB6_2717 Depth=2
	s_mov_b32 s12, -1
	s_mov_b32 vcc_hi, exec_lo
                                        ; implicit-def: $sgpr28
	v_cmpx_eq_u16_e32 0x80, v66
; %bb.3189:                             ;   in Loop: Header=BB6_2717 Depth=2
	s_mov_b32 s28, 0x7f800001
	s_xor_b32 s12, exec_lo, -1
; %bb.3190:                             ;   in Loop: Header=BB6_2717 Depth=2
	s_or_b32 exec_lo, exec_lo, vcc_hi
	s_delay_alu instid0(SALU_CYCLE_1)
	s_and_b32 s12, s12, exec_lo
                                        ; implicit-def: $vgpr66
	s_or_saveexec_b32 s29, s29
	v_mov_b32_e32 v10, s28
	s_xor_b32 exec_lo, exec_lo, s29
	s_cbranch_execz .LBB6_2776
.LBB6_3191:                             ;   in Loop: Header=BB6_2717 Depth=2
	v_cmp_ne_u16_e32 vcc_lo, 0, v66
	v_mov_b32_e32 v10, 0
	s_and_not1_b32 s12, s12, exec_lo
	s_and_b32 s28, vcc_lo, exec_lo
	s_delay_alu instid0(SALU_CYCLE_1)
	s_or_b32 s12, s12, s28
	s_or_b32 exec_lo, exec_lo, s29
	s_and_saveexec_b32 s28, s12
	s_cbranch_execnz .LBB6_2777
	s_branch .LBB6_2778
.LBB6_3192:                             ;   in Loop: Header=BB6_2717 Depth=2
	s_mov_b32 s12, -1
	s_mov_b32 vcc_hi, exec_lo
                                        ; implicit-def: $sgpr28
	v_cmpx_eq_u16_e32 0x80, v10
; %bb.3193:                             ;   in Loop: Header=BB6_2717 Depth=2
	s_mov_b32 s28, 0x7f800001
	s_xor_b32 s12, exec_lo, -1
; %bb.3194:                             ;   in Loop: Header=BB6_2717 Depth=2
	s_or_b32 exec_lo, exec_lo, vcc_hi
	s_delay_alu instid0(SALU_CYCLE_1)
	s_and_b32 s12, s12, exec_lo
	s_or_saveexec_b32 s29, s29
	v_mov_b32_e32 v66, s28
	s_xor_b32 exec_lo, exec_lo, s29
	s_cbranch_execz .LBB6_2788
.LBB6_3195:                             ;   in Loop: Header=BB6_2717 Depth=2
	v_cmp_ne_u16_e32 vcc_lo, 0, v10
	v_mov_b32_e32 v66, 0
	s_and_not1_b32 s12, s12, exec_lo
	s_and_b32 s28, vcc_lo, exec_lo
	s_delay_alu instid0(SALU_CYCLE_1)
	s_or_b32 s12, s12, s28
	s_or_b32 exec_lo, exec_lo, s29
	s_and_saveexec_b32 s28, s12
	s_cbranch_execnz .LBB6_2789
	s_branch .LBB6_2790
.LBB6_3196:                             ;   in Loop: Header=BB6_2717 Depth=2
	s_mov_b32 s12, -1
	s_mov_b32 vcc_hi, exec_lo
                                        ; implicit-def: $sgpr28
	v_cmpx_eq_u16_e32 0x80, v67
; %bb.3197:                             ;   in Loop: Header=BB6_2717 Depth=2
	s_mov_b32 s28, 0x7f800001
	s_xor_b32 s12, exec_lo, -1
; %bb.3198:                             ;   in Loop: Header=BB6_2717 Depth=2
	s_or_b32 exec_lo, exec_lo, vcc_hi
	s_delay_alu instid0(SALU_CYCLE_1)
	s_and_b32 s12, s12, exec_lo
                                        ; implicit-def: $vgpr67
	s_or_saveexec_b32 s29, s29
	v_mov_b32_e32 v66, s28
	s_xor_b32 exec_lo, exec_lo, s29
	s_cbranch_execz .LBB6_2800
.LBB6_3199:                             ;   in Loop: Header=BB6_2717 Depth=2
	v_cmp_ne_u16_e32 vcc_lo, 0, v67
	v_mov_b32_e32 v66, 0
	s_and_not1_b32 s12, s12, exec_lo
	s_and_b32 s28, vcc_lo, exec_lo
	s_delay_alu instid0(SALU_CYCLE_1)
	s_or_b32 s12, s12, s28
	s_or_b32 exec_lo, exec_lo, s29
	s_and_saveexec_b32 s28, s12
	s_cbranch_execnz .LBB6_2801
	s_branch .LBB6_2802
.LBB6_3200:                             ;   in Loop: Header=BB6_2717 Depth=2
	s_mov_b32 s12, -1
	s_mov_b32 vcc_hi, exec_lo
                                        ; implicit-def: $sgpr28
	v_cmpx_eq_u16_e32 0x80, v10
; %bb.3201:                             ;   in Loop: Header=BB6_2717 Depth=2
	s_mov_b32 s28, 0x7f800001
	s_xor_b32 s12, exec_lo, -1
; %bb.3202:                             ;   in Loop: Header=BB6_2717 Depth=2
	s_or_b32 exec_lo, exec_lo, vcc_hi
	s_delay_alu instid0(SALU_CYCLE_1)
	s_and_b32 s12, s12, exec_lo
	s_or_saveexec_b32 s29, s29
	v_mov_b32_e32 v66, s28
	s_xor_b32 exec_lo, exec_lo, s29
	s_cbranch_execz .LBB6_2812
.LBB6_3203:                             ;   in Loop: Header=BB6_2717 Depth=2
	v_cmp_ne_u16_e32 vcc_lo, 0, v10
	v_mov_b32_e32 v66, 0
	s_and_not1_b32 s12, s12, exec_lo
	s_and_b32 s28, vcc_lo, exec_lo
	s_delay_alu instid0(SALU_CYCLE_1)
	s_or_b32 s12, s12, s28
	s_or_b32 exec_lo, exec_lo, s29
	s_and_saveexec_b32 s28, s12
	s_cbranch_execnz .LBB6_2813
	s_branch .LBB6_2814
.LBB6_3204:                             ;   in Loop: Header=BB6_2717 Depth=2
	s_mov_b32 s12, -1
	s_mov_b32 vcc_hi, exec_lo
                                        ; implicit-def: $sgpr28
	v_cmpx_eq_u16_e32 0x80, v11
; %bb.3205:                             ;   in Loop: Header=BB6_2717 Depth=2
	s_mov_b32 s28, 0x7f800001
	s_xor_b32 s12, exec_lo, -1
; %bb.3206:                             ;   in Loop: Header=BB6_2717 Depth=2
	s_or_b32 exec_lo, exec_lo, vcc_hi
	s_delay_alu instid0(SALU_CYCLE_1)
	s_and_b32 s12, s12, exec_lo
                                        ; implicit-def: $vgpr11
	s_or_saveexec_b32 s29, s29
	v_mov_b32_e32 v10, s28
	s_xor_b32 exec_lo, exec_lo, s29
	s_cbranch_execz .LBB6_2824
.LBB6_3207:                             ;   in Loop: Header=BB6_2717 Depth=2
	v_cmp_ne_u16_e32 vcc_lo, 0, v11
	v_mov_b32_e32 v10, 0
	s_and_not1_b32 s12, s12, exec_lo
	s_and_b32 s28, vcc_lo, exec_lo
	s_delay_alu instid0(SALU_CYCLE_1)
	s_or_b32 s12, s12, s28
	s_or_b32 exec_lo, exec_lo, s29
	s_and_saveexec_b32 s28, s12
	s_cbranch_execnz .LBB6_2825
	s_branch .LBB6_2826
.LBB6_3208:                             ;   in Loop: Header=BB6_2717 Depth=2
	s_mov_b32 s12, -1
	s_mov_b32 vcc_hi, exec_lo
                                        ; implicit-def: $sgpr28
	v_cmpx_eq_u16_e32 0x80, v10
; %bb.3209:                             ;   in Loop: Header=BB6_2717 Depth=2
	s_mov_b32 s28, 0x7f800001
	s_xor_b32 s12, exec_lo, -1
; %bb.3210:                             ;   in Loop: Header=BB6_2717 Depth=2
	s_or_b32 exec_lo, exec_lo, vcc_hi
	s_delay_alu instid0(SALU_CYCLE_1)
	s_and_b32 s12, s12, exec_lo
	s_or_saveexec_b32 s29, s29
	v_mov_b32_e32 v11, s28
	s_xor_b32 exec_lo, exec_lo, s29
	s_cbranch_execz .LBB6_2836
.LBB6_3211:                             ;   in Loop: Header=BB6_2717 Depth=2
	v_cmp_ne_u16_e32 vcc_lo, 0, v10
	v_mov_b32_e32 v11, 0
	s_and_not1_b32 s12, s12, exec_lo
	s_and_b32 s28, vcc_lo, exec_lo
	s_delay_alu instid0(SALU_CYCLE_1)
	s_or_b32 s12, s12, s28
	s_or_b32 exec_lo, exec_lo, s29
	s_and_saveexec_b32 s28, s12
	s_cbranch_execnz .LBB6_2837
	s_branch .LBB6_2838
.LBB6_3212:                             ;   in Loop: Header=BB6_2717 Depth=2
	s_mov_b32 s12, -1
	s_mov_b32 vcc_hi, exec_lo
                                        ; implicit-def: $sgpr28
	v_cmpx_eq_u16_e32 0x80, v66
; %bb.3213:                             ;   in Loop: Header=BB6_2717 Depth=2
	s_mov_b32 s28, 0x7f800001
	s_xor_b32 s12, exec_lo, -1
; %bb.3214:                             ;   in Loop: Header=BB6_2717 Depth=2
	s_or_b32 exec_lo, exec_lo, vcc_hi
	s_delay_alu instid0(SALU_CYCLE_1)
	s_and_b32 s12, s12, exec_lo
                                        ; implicit-def: $vgpr66
	s_or_saveexec_b32 s29, s29
	v_mov_b32_e32 v11, s28
	s_xor_b32 exec_lo, exec_lo, s29
	s_cbranch_execz .LBB6_2848
.LBB6_3215:                             ;   in Loop: Header=BB6_2717 Depth=2
	v_cmp_ne_u16_e32 vcc_lo, 0, v66
	v_mov_b32_e32 v11, 0
	s_and_not1_b32 s12, s12, exec_lo
	s_and_b32 s28, vcc_lo, exec_lo
	s_delay_alu instid0(SALU_CYCLE_1)
	s_or_b32 s12, s12, s28
	s_or_b32 exec_lo, exec_lo, s29
	s_and_saveexec_b32 s28, s12
	s_cbranch_execnz .LBB6_2849
	s_branch .LBB6_2850
.LBB6_3216:                             ;   in Loop: Header=BB6_2717 Depth=2
	s_mov_b32 s12, -1
	s_mov_b32 vcc_hi, exec_lo
                                        ; implicit-def: $sgpr28
	v_cmpx_eq_u16_e32 0x80, v10
; %bb.3217:                             ;   in Loop: Header=BB6_2717 Depth=2
	s_mov_b32 s28, 0x7f800001
	s_xor_b32 s12, exec_lo, -1
; %bb.3218:                             ;   in Loop: Header=BB6_2717 Depth=2
	s_or_b32 exec_lo, exec_lo, vcc_hi
	s_delay_alu instid0(SALU_CYCLE_1)
	s_and_b32 s12, s12, exec_lo
	s_or_saveexec_b32 s29, s29
	v_mov_b32_e32 v11, s28
	s_xor_b32 exec_lo, exec_lo, s29
	s_cbranch_execz .LBB6_2860
.LBB6_3219:                             ;   in Loop: Header=BB6_2717 Depth=2
	v_cmp_ne_u16_e32 vcc_lo, 0, v10
	v_mov_b32_e32 v11, 0
	s_and_not1_b32 s12, s12, exec_lo
	s_and_b32 s28, vcc_lo, exec_lo
	s_delay_alu instid0(SALU_CYCLE_1)
	s_or_b32 s12, s12, s28
	s_or_b32 exec_lo, exec_lo, s29
	s_and_saveexec_b32 s28, s12
	s_cbranch_execnz .LBB6_2861
	s_branch .LBB6_2862
.LBB6_3220:                             ;   in Loop: Header=BB6_2717 Depth=2
	s_mov_b32 s12, -1
	s_mov_b32 vcc_hi, exec_lo
                                        ; implicit-def: $sgpr28
	v_cmpx_eq_u16_e32 0x80, v11
; %bb.3221:                             ;   in Loop: Header=BB6_2717 Depth=2
	s_mov_b32 s28, 0x7f800001
	s_xor_b32 s12, exec_lo, -1
; %bb.3222:                             ;   in Loop: Header=BB6_2717 Depth=2
	s_or_b32 exec_lo, exec_lo, vcc_hi
	s_delay_alu instid0(SALU_CYCLE_1)
	s_and_b32 s12, s12, exec_lo
                                        ; implicit-def: $vgpr11
	s_or_saveexec_b32 s29, s29
	v_mov_b32_e32 v10, s28
	s_xor_b32 exec_lo, exec_lo, s29
	s_cbranch_execz .LBB6_2872
.LBB6_3223:                             ;   in Loop: Header=BB6_2717 Depth=2
	v_cmp_ne_u16_e32 vcc_lo, 0, v11
	v_mov_b32_e32 v10, 0
	s_and_not1_b32 s12, s12, exec_lo
	s_and_b32 s28, vcc_lo, exec_lo
	s_delay_alu instid0(SALU_CYCLE_1)
	s_or_b32 s12, s12, s28
	s_or_b32 exec_lo, exec_lo, s29
	s_and_saveexec_b32 s28, s12
	s_cbranch_execnz .LBB6_2873
	s_branch .LBB6_2874
.LBB6_3224:                             ;   in Loop: Header=BB6_2717 Depth=2
	s_mov_b32 s12, -1
	s_mov_b32 vcc_hi, exec_lo
                                        ; implicit-def: $sgpr28
	v_cmpx_eq_u16_e32 0x80, v10
; %bb.3225:                             ;   in Loop: Header=BB6_2717 Depth=2
	s_mov_b32 s28, 0x7f800001
	s_xor_b32 s12, exec_lo, -1
; %bb.3226:                             ;   in Loop: Header=BB6_2717 Depth=2
	s_or_b32 exec_lo, exec_lo, vcc_hi
	s_delay_alu instid0(SALU_CYCLE_1)
	s_and_b32 s12, s12, exec_lo
	s_or_saveexec_b32 s29, s29
	v_mov_b32_e32 v11, s28
	s_xor_b32 exec_lo, exec_lo, s29
	s_cbranch_execz .LBB6_2884
.LBB6_3227:                             ;   in Loop: Header=BB6_2717 Depth=2
	v_cmp_ne_u16_e32 vcc_lo, 0, v10
	v_mov_b32_e32 v11, 0
	s_and_not1_b32 s12, s12, exec_lo
	s_and_b32 s28, vcc_lo, exec_lo
	s_delay_alu instid0(SALU_CYCLE_1)
	s_or_b32 s12, s12, s28
	s_or_b32 exec_lo, exec_lo, s29
	s_and_saveexec_b32 s28, s12
	s_cbranch_execnz .LBB6_2885
	s_branch .LBB6_2886
.LBB6_3228:                             ;   in Loop: Header=BB6_2717 Depth=2
	s_mov_b32 s12, -1
	s_mov_b32 vcc_hi, exec_lo
                                        ; implicit-def: $sgpr28
	v_cmpx_eq_u16_e32 0x80, v12
; %bb.3229:                             ;   in Loop: Header=BB6_2717 Depth=2
	s_mov_b32 s28, 0x7f800001
	s_xor_b32 s12, exec_lo, -1
; %bb.3230:                             ;   in Loop: Header=BB6_2717 Depth=2
	s_or_b32 exec_lo, exec_lo, vcc_hi
	s_delay_alu instid0(SALU_CYCLE_1)
	s_and_b32 s12, s12, exec_lo
                                        ; implicit-def: $vgpr12
	s_or_saveexec_b32 s29, s29
	v_mov_b32_e32 v11, s28
	s_xor_b32 exec_lo, exec_lo, s29
	s_cbranch_execz .LBB6_2896
.LBB6_3231:                             ;   in Loop: Header=BB6_2717 Depth=2
	v_cmp_ne_u16_e32 vcc_lo, 0, v12
	v_mov_b32_e32 v11, 0
	s_and_not1_b32 s12, s12, exec_lo
	s_and_b32 s28, vcc_lo, exec_lo
	s_delay_alu instid0(SALU_CYCLE_1)
	s_or_b32 s12, s12, s28
	s_or_b32 exec_lo, exec_lo, s29
	s_and_saveexec_b32 s28, s12
	s_cbranch_execnz .LBB6_2897
	s_branch .LBB6_2898
.LBB6_3232:                             ;   in Loop: Header=BB6_2717 Depth=2
	s_mov_b32 s12, -1
	s_mov_b32 vcc_hi, exec_lo
                                        ; implicit-def: $sgpr28
	v_cmpx_eq_u16_e32 0x80, v10
; %bb.3233:                             ;   in Loop: Header=BB6_2717 Depth=2
	s_mov_b32 s28, 0x7f800001
	s_xor_b32 s12, exec_lo, -1
; %bb.3234:                             ;   in Loop: Header=BB6_2717 Depth=2
	s_or_b32 exec_lo, exec_lo, vcc_hi
	s_delay_alu instid0(SALU_CYCLE_1)
	s_and_b32 s12, s12, exec_lo
	s_or_saveexec_b32 s29, s29
	v_mov_b32_e32 v11, s28
	s_xor_b32 exec_lo, exec_lo, s29
	s_cbranch_execz .LBB6_2908
.LBB6_3235:                             ;   in Loop: Header=BB6_2717 Depth=2
	v_cmp_ne_u16_e32 vcc_lo, 0, v10
	v_mov_b32_e32 v11, 0
	s_and_not1_b32 s12, s12, exec_lo
	s_and_b32 s28, vcc_lo, exec_lo
	s_delay_alu instid0(SALU_CYCLE_1)
	s_or_b32 s12, s12, s28
	s_or_b32 exec_lo, exec_lo, s29
	s_and_saveexec_b32 s28, s12
	s_cbranch_execnz .LBB6_2909
	s_branch .LBB6_2910
.LBB6_3236:                             ;   in Loop: Header=BB6_2717 Depth=2
	s_mov_b32 s12, -1
	s_mov_b32 s29, exec_lo
                                        ; implicit-def: $sgpr27
	v_cmpx_eq_u16_e64 0x80, v132
; %bb.3237:                             ;   in Loop: Header=BB6_2717 Depth=2
	s_mov_b32 s27, 0x7f800001
	s_xor_b32 s12, exec_lo, -1
; %bb.3238:                             ;   in Loop: Header=BB6_2717 Depth=2
	s_or_b32 exec_lo, exec_lo, s29
	s_delay_alu instid0(SALU_CYCLE_1)
	s_and_b32 s12, s12, exec_lo
                                        ; implicit-def: $vgpr132
	s_or_saveexec_b32 s28, s28
	v_mov_b32_e32 v131, s27
	s_xor_b32 exec_lo, exec_lo, s28
	s_cbranch_execz .LBB6_2920
.LBB6_3239:                             ;   in Loop: Header=BB6_2717 Depth=2
	v_cmp_ne_u16_e64 vcc_lo, 0, v132
	v_mov_b32_e32 v131, 0
	s_and_not1_b32 s12, s12, exec_lo
	s_delay_alu instid0(VALU_DEP_2) | instskip(NEXT) | instid1(SALU_CYCLE_1)
	s_and_b32 s27, vcc_lo, exec_lo
	s_or_b32 s12, s12, s27
	s_or_b32 exec_lo, exec_lo, s28
	s_and_saveexec_b32 s27, s12
	s_cbranch_execnz .LBB6_2921
	s_branch .LBB6_2922
.LBB6_3240:                             ;   in Loop: Header=BB6_2717 Depth=2
	s_mov_b32 s12, -1
	s_mov_b32 s29, exec_lo
                                        ; implicit-def: $sgpr27
	v_cmpx_eq_u16_e64 0x80, v132
; %bb.3241:                             ;   in Loop: Header=BB6_2717 Depth=2
	s_mov_b32 s27, 0x7f800001
	s_xor_b32 s12, exec_lo, -1
; %bb.3242:                             ;   in Loop: Header=BB6_2717 Depth=2
	s_or_b32 exec_lo, exec_lo, s29
	s_delay_alu instid0(SALU_CYCLE_1)
	s_and_b32 s12, s12, exec_lo
                                        ; implicit-def: $vgpr132
	s_or_saveexec_b32 s28, s28
	v_mov_b32_e32 v25, s27
	s_xor_b32 exec_lo, exec_lo, s28
	s_cbranch_execz .LBB6_2924
.LBB6_3243:                             ;   in Loop: Header=BB6_2717 Depth=2
	v_cmp_ne_u16_e64 vcc_lo, 0, v132
	v_mov_b32_e32 v25, 0
	s_and_not1_b32 s12, s12, exec_lo
	s_delay_alu instid0(VALU_DEP_2) | instskip(NEXT) | instid1(SALU_CYCLE_1)
	s_and_b32 s27, vcc_lo, exec_lo
	s_or_b32 s12, s12, s27
	s_or_b32 exec_lo, exec_lo, s28
	s_and_saveexec_b32 s27, s12
	s_cbranch_execnz .LBB6_2925
	s_branch .LBB6_2926
.LBB6_3244:                             ;   in Loop: Header=BB6_2717 Depth=2
	s_mov_b32 s12, -1
	s_mov_b32 s29, exec_lo
                                        ; implicit-def: $sgpr27
	v_cmpx_eq_u16_e64 0x80, v132
; %bb.3245:                             ;   in Loop: Header=BB6_2717 Depth=2
	s_mov_b32 s27, 0x7f800001
	s_xor_b32 s12, exec_lo, -1
; %bb.3246:                             ;   in Loop: Header=BB6_2717 Depth=2
	s_or_b32 exec_lo, exec_lo, s29
	s_delay_alu instid0(SALU_CYCLE_1)
	s_and_b32 s12, s12, exec_lo
                                        ; implicit-def: $vgpr132
	s_or_saveexec_b32 s28, s28
	v_mov_b32_e32 v131, s27
	s_xor_b32 exec_lo, exec_lo, s28
	s_cbranch_execz .LBB6_2936
.LBB6_3247:                             ;   in Loop: Header=BB6_2717 Depth=2
	v_cmp_ne_u16_e64 vcc_lo, 0, v132
	v_mov_b32_e32 v131, 0
	s_and_not1_b32 s12, s12, exec_lo
	s_delay_alu instid0(VALU_DEP_2) | instskip(NEXT) | instid1(SALU_CYCLE_1)
	s_and_b32 s27, vcc_lo, exec_lo
	s_or_b32 s12, s12, s27
	s_or_b32 exec_lo, exec_lo, s28
	s_and_saveexec_b32 s27, s12
	s_cbranch_execnz .LBB6_2937
	s_branch .LBB6_2938
.LBB6_3248:                             ;   in Loop: Header=BB6_2717 Depth=2
	s_mov_b32 s12, -1
	s_mov_b32 s29, exec_lo
                                        ; implicit-def: $sgpr27
	v_cmpx_eq_u16_e32 0x80, v69
; %bb.3249:                             ;   in Loop: Header=BB6_2717 Depth=2
	s_mov_b32 s27, 0x7f800001
	s_xor_b32 s12, exec_lo, -1
; %bb.3250:                             ;   in Loop: Header=BB6_2717 Depth=2
	s_or_b32 exec_lo, exec_lo, s29
	s_delay_alu instid0(SALU_CYCLE_1)
	s_and_b32 s12, s12, exec_lo
	s_or_saveexec_b32 s28, s28
	v_mov_b32_e32 v132, s27
	s_xor_b32 exec_lo, exec_lo, s28
	s_cbranch_execz .LBB6_2940
.LBB6_3251:                             ;   in Loop: Header=BB6_2717 Depth=2
	v_cmp_ne_u16_e32 vcc_lo, 0, v69
	v_mov_b32_e32 v132, 0
	s_and_not1_b32 s12, s12, exec_lo
	s_and_b32 s27, vcc_lo, exec_lo
	s_delay_alu instid0(SALU_CYCLE_1)
	s_or_b32 s12, s12, s27
	s_or_b32 exec_lo, exec_lo, s28
	s_and_saveexec_b32 s27, s12
	s_cbranch_execnz .LBB6_2941
	s_branch .LBB6_2942
.LBB6_3252:                             ;   in Loop: Header=BB6_2717 Depth=2
	s_mov_b32 s12, -1
	s_mov_b32 s29, exec_lo
                                        ; implicit-def: $sgpr27
	v_cmpx_eq_u16_e64 0x80, v132
; %bb.3253:                             ;   in Loop: Header=BB6_2717 Depth=2
	s_mov_b32 s27, 0x7f800001
	s_xor_b32 s12, exec_lo, -1
; %bb.3254:                             ;   in Loop: Header=BB6_2717 Depth=2
	s_or_b32 exec_lo, exec_lo, s29
	s_delay_alu instid0(SALU_CYCLE_1)
	s_and_b32 s12, s12, exec_lo
                                        ; implicit-def: $vgpr132
	s_or_saveexec_b32 s28, s28
	v_mov_b32_e32 v131, s27
	s_xor_b32 exec_lo, exec_lo, s28
	s_cbranch_execz .LBB6_2952
.LBB6_3255:                             ;   in Loop: Header=BB6_2717 Depth=2
	v_cmp_ne_u16_e64 vcc_lo, 0, v132
	v_mov_b32_e32 v131, 0
	s_and_not1_b32 s12, s12, exec_lo
	s_delay_alu instid0(VALU_DEP_2) | instskip(NEXT) | instid1(SALU_CYCLE_1)
	s_and_b32 s27, vcc_lo, exec_lo
	s_or_b32 s12, s12, s27
	s_or_b32 exec_lo, exec_lo, s28
	s_and_saveexec_b32 s27, s12
	s_cbranch_execnz .LBB6_2953
	s_branch .LBB6_2954
.LBB6_3256:                             ;   in Loop: Header=BB6_2717 Depth=2
	s_mov_b32 s12, -1
	s_mov_b32 s29, exec_lo
                                        ; implicit-def: $sgpr27
	v_cmpx_eq_u16_e64 0x80, v133
; %bb.3257:                             ;   in Loop: Header=BB6_2717 Depth=2
	s_mov_b32 s27, 0x7f800001
	s_xor_b32 s12, exec_lo, -1
; %bb.3258:                             ;   in Loop: Header=BB6_2717 Depth=2
	s_or_b32 exec_lo, exec_lo, s29
	s_delay_alu instid0(SALU_CYCLE_1)
	s_and_b32 s12, s12, exec_lo
                                        ; implicit-def: $vgpr133
	s_or_saveexec_b32 s28, s28
	v_mov_b32_e32 v132, s27
	s_xor_b32 exec_lo, exec_lo, s28
	s_cbranch_execz .LBB6_2956
.LBB6_3259:                             ;   in Loop: Header=BB6_2717 Depth=2
	v_cmp_ne_u16_e64 vcc_lo, 0, v133
	v_mov_b32_e32 v132, 0
	s_and_not1_b32 s12, s12, exec_lo
	s_delay_alu instid0(VALU_DEP_2) | instskip(NEXT) | instid1(SALU_CYCLE_1)
	s_and_b32 s27, vcc_lo, exec_lo
	s_or_b32 s12, s12, s27
	s_or_b32 exec_lo, exec_lo, s28
	s_and_saveexec_b32 s27, s12
	s_cbranch_execnz .LBB6_2957
	s_branch .LBB6_2958
.LBB6_3260:                             ;   in Loop: Header=BB6_2717 Depth=2
	s_mov_b32 s12, -1
	s_mov_b32 s29, exec_lo
                                        ; implicit-def: $sgpr27
	v_cmpx_eq_u16_e64 0x80, v132
; %bb.3261:                             ;   in Loop: Header=BB6_2717 Depth=2
	s_mov_b32 s27, 0x7f800001
	s_xor_b32 s12, exec_lo, -1
; %bb.3262:                             ;   in Loop: Header=BB6_2717 Depth=2
	s_or_b32 exec_lo, exec_lo, s29
	s_delay_alu instid0(SALU_CYCLE_1)
	s_and_b32 s12, s12, exec_lo
	s_or_saveexec_b32 s28, s28
	v_mov_b32_e32 v131, s27
	s_xor_b32 exec_lo, exec_lo, s28
	s_cbranch_execz .LBB6_2968
.LBB6_3263:                             ;   in Loop: Header=BB6_2717 Depth=2
	v_cmp_ne_u16_e64 vcc_lo, 0, v132
	v_mov_b32_e32 v131, 0
	s_and_not1_b32 s12, s12, exec_lo
	s_delay_alu instid0(VALU_DEP_2) | instskip(NEXT) | instid1(SALU_CYCLE_1)
	s_and_b32 s27, vcc_lo, exec_lo
	s_or_b32 s12, s12, s27
	s_or_b32 exec_lo, exec_lo, s28
	s_and_saveexec_b32 s27, s12
	s_cbranch_execnz .LBB6_2969
	s_branch .LBB6_2970
.LBB6_3264:                             ;   in Loop: Header=BB6_2717 Depth=2
	s_mov_b32 s12, -1
	s_mov_b32 s29, exec_lo
                                        ; implicit-def: $sgpr27
	v_cmpx_eq_u16_e64 0x80, v128
; %bb.3265:                             ;   in Loop: Header=BB6_2717 Depth=2
	s_mov_b32 s27, 0x7f800001
	s_xor_b32 s12, exec_lo, -1
; %bb.3266:                             ;   in Loop: Header=BB6_2717 Depth=2
	s_or_b32 exec_lo, exec_lo, s29
	s_delay_alu instid0(SALU_CYCLE_1)
	s_and_b32 s12, s12, exec_lo
	s_or_saveexec_b32 s28, s28
	v_mov_b32_e32 v132, s27
	s_xor_b32 exec_lo, exec_lo, s28
	s_cbranch_execz .LBB6_2972
.LBB6_3267:                             ;   in Loop: Header=BB6_2717 Depth=2
	v_cmp_ne_u16_e64 vcc_lo, 0, v128
	v_mov_b32_e32 v132, 0
	s_and_not1_b32 s12, s12, exec_lo
	s_delay_alu instid0(VALU_DEP_2) | instskip(NEXT) | instid1(SALU_CYCLE_1)
	s_and_b32 s27, vcc_lo, exec_lo
	s_or_b32 s12, s12, s27
	s_or_b32 exec_lo, exec_lo, s28
	s_and_saveexec_b32 s27, s12
	s_cbranch_execnz .LBB6_2973
	s_branch .LBB6_2974
.LBB6_3268:                             ;   in Loop: Header=BB6_2717 Depth=2
	s_mov_b32 s12, -1
	s_mov_b32 s29, exec_lo
                                        ; implicit-def: $sgpr27
	v_cmpx_eq_u16_e64 0x80, v128
; %bb.3269:                             ;   in Loop: Header=BB6_2717 Depth=2
	s_mov_b32 s27, 0x7f800001
	s_xor_b32 s12, exec_lo, -1
; %bb.3270:                             ;   in Loop: Header=BB6_2717 Depth=2
	s_or_b32 exec_lo, exec_lo, s29
	s_delay_alu instid0(SALU_CYCLE_1)
	s_and_b32 s12, s12, exec_lo
                                        ; implicit-def: $vgpr128
	s_or_saveexec_b32 s28, s28
	v_mov_b32_e32 v119, s27
	s_xor_b32 exec_lo, exec_lo, s28
	s_cbranch_execz .LBB6_2984
.LBB6_3271:                             ;   in Loop: Header=BB6_2717 Depth=2
	v_cmp_ne_u16_e64 vcc_lo, 0, v128
	v_mov_b32_e32 v119, 0
	s_and_not1_b32 s12, s12, exec_lo
	s_delay_alu instid0(VALU_DEP_2) | instskip(NEXT) | instid1(SALU_CYCLE_1)
	s_and_b32 s27, vcc_lo, exec_lo
	s_or_b32 s12, s12, s27
	s_or_b32 exec_lo, exec_lo, s28
	s_and_saveexec_b32 s27, s12
	s_cbranch_execnz .LBB6_2985
	s_branch .LBB6_2986
.LBB6_3272:                             ;   in Loop: Header=BB6_2717 Depth=2
	s_mov_b32 s12, -1
	s_mov_b32 s29, exec_lo
                                        ; implicit-def: $sgpr27
	v_cmpx_eq_u16_e64 0x80, v131
; %bb.3273:                             ;   in Loop: Header=BB6_2717 Depth=2
	s_mov_b32 s27, 0x7f800001
	s_xor_b32 s12, exec_lo, -1
; %bb.3274:                             ;   in Loop: Header=BB6_2717 Depth=2
	s_or_b32 exec_lo, exec_lo, s29
	s_delay_alu instid0(SALU_CYCLE_1)
	s_and_b32 s12, s12, exec_lo
                                        ; implicit-def: $vgpr131
	s_or_saveexec_b32 s28, s28
	v_mov_b32_e32 v128, s27
	s_xor_b32 exec_lo, exec_lo, s28
	s_cbranch_execz .LBB6_2988
.LBB6_3275:                             ;   in Loop: Header=BB6_2717 Depth=2
	v_cmp_ne_u16_e64 vcc_lo, 0, v131
	v_mov_b32_e32 v128, 0
	s_and_not1_b32 s12, s12, exec_lo
	s_delay_alu instid0(VALU_DEP_2) | instskip(NEXT) | instid1(SALU_CYCLE_1)
	s_and_b32 s27, vcc_lo, exec_lo
	s_or_b32 s12, s12, s27
	s_or_b32 exec_lo, exec_lo, s28
	s_and_saveexec_b32 s27, s12
	s_cbranch_execnz .LBB6_2989
	s_branch .LBB6_2990
.LBB6_3276:                             ;   in Loop: Header=BB6_2717 Depth=2
	s_mov_b32 s12, -1
	s_mov_b32 s29, exec_lo
                                        ; implicit-def: $sgpr27
	v_cmpx_eq_u16_e64 0x80, v131
; %bb.3277:                             ;   in Loop: Header=BB6_2717 Depth=2
	s_mov_b32 s27, 0x7f800001
	s_xor_b32 s12, exec_lo, -1
; %bb.3278:                             ;   in Loop: Header=BB6_2717 Depth=2
	s_or_b32 exec_lo, exec_lo, s29
	s_delay_alu instid0(SALU_CYCLE_1)
	s_and_b32 s12, s12, exec_lo
	s_or_saveexec_b32 s28, s28
	v_mov_b32_e32 v128, s27
	s_xor_b32 exec_lo, exec_lo, s28
	s_cbranch_execz .LBB6_3000
.LBB6_3279:                             ;   in Loop: Header=BB6_2717 Depth=2
	v_cmp_ne_u16_e64 vcc_lo, 0, v131
	v_mov_b32_e32 v128, 0
	s_and_not1_b32 s12, s12, exec_lo
	s_delay_alu instid0(VALU_DEP_2) | instskip(NEXT) | instid1(SALU_CYCLE_1)
	s_and_b32 s27, vcc_lo, exec_lo
	s_or_b32 s12, s12, s27
	s_or_b32 exec_lo, exec_lo, s28
	s_and_saveexec_b32 s27, s12
	s_cbranch_execnz .LBB6_3001
	s_branch .LBB6_3002
.LBB6_3280:                             ;   in Loop: Header=BB6_2717 Depth=2
	s_mov_b32 s12, -1
	s_mov_b32 s29, exec_lo
                                        ; implicit-def: $sgpr27
	v_cmpx_eq_u16_e64 0x80, v131
; %bb.3281:                             ;   in Loop: Header=BB6_2717 Depth=2
	s_mov_b32 s27, 0x7f800001
	s_xor_b32 s12, exec_lo, -1
; %bb.3282:                             ;   in Loop: Header=BB6_2717 Depth=2
	s_or_b32 exec_lo, exec_lo, s29
	s_delay_alu instid0(SALU_CYCLE_1)
	s_and_b32 s12, s12, exec_lo
	s_or_saveexec_b32 s28, s28
	v_mov_b32_e32 v132, s27
	s_xor_b32 exec_lo, exec_lo, s28
	s_cbranch_execz .LBB6_3004
.LBB6_3283:                             ;   in Loop: Header=BB6_2717 Depth=2
	v_cmp_ne_u16_e64 vcc_lo, 0, v131
	v_mov_b32_e32 v132, 0
	s_and_not1_b32 s12, s12, exec_lo
	s_delay_alu instid0(VALU_DEP_2) | instskip(NEXT) | instid1(SALU_CYCLE_1)
	s_and_b32 s27, vcc_lo, exec_lo
	s_or_b32 s12, s12, s27
	s_or_b32 exec_lo, exec_lo, s28
	s_and_saveexec_b32 s27, s12
	s_cbranch_execnz .LBB6_3005
	s_branch .LBB6_3006
.LBB6_3284:                             ;   in Loop: Header=BB6_2717 Depth=2
	s_mov_b32 s12, -1
	s_mov_b32 s29, exec_lo
                                        ; implicit-def: $sgpr27
	v_cmpx_eq_u16_e64 0x80, v131
; %bb.3285:                             ;   in Loop: Header=BB6_2717 Depth=2
	s_mov_b32 s27, 0x7f800001
	s_xor_b32 s12, exec_lo, -1
; %bb.3286:                             ;   in Loop: Header=BB6_2717 Depth=2
	s_or_b32 exec_lo, exec_lo, s29
	s_delay_alu instid0(SALU_CYCLE_1)
	s_and_b32 s12, s12, exec_lo
                                        ; implicit-def: $vgpr131
	s_or_saveexec_b32 s28, s28
	v_mov_b32_e32 v118, s27
	s_xor_b32 exec_lo, exec_lo, s28
	s_cbranch_execz .LBB6_3016
.LBB6_3287:                             ;   in Loop: Header=BB6_2717 Depth=2
	v_cmp_ne_u16_e64 vcc_lo, 0, v131
	v_mov_b32_e32 v118, 0
	s_and_not1_b32 s12, s12, exec_lo
	s_delay_alu instid0(VALU_DEP_2) | instskip(NEXT) | instid1(SALU_CYCLE_1)
	s_and_b32 s27, vcc_lo, exec_lo
	s_or_b32 s12, s12, s27
	s_or_b32 exec_lo, exec_lo, s28
	v_lshl_or_b32 v129, v129, 16, v130
	s_and_saveexec_b32 s27, s12
	s_cbranch_execnz .LBB6_3017
	s_branch .LBB6_3018
.LBB6_3288:                             ;   in Loop: Header=BB6_2717 Depth=2
	s_mov_b32 s12, -1
	s_mov_b32 s29, exec_lo
                                        ; implicit-def: $sgpr27
	v_cmpx_eq_u16_e64 0x80, v132
; %bb.3289:                             ;   in Loop: Header=BB6_2717 Depth=2
	s_mov_b32 s27, 0x7f800001
	s_xor_b32 s12, exec_lo, -1
; %bb.3290:                             ;   in Loop: Header=BB6_2717 Depth=2
	s_or_b32 exec_lo, exec_lo, s29
	s_delay_alu instid0(SALU_CYCLE_1)
	s_and_b32 s12, s12, exec_lo
                                        ; implicit-def: $vgpr132
	s_or_saveexec_b32 s28, s28
	v_mov_b32_e32 v131, s27
	s_xor_b32 exec_lo, exec_lo, s28
	s_cbranch_execz .LBB6_3020
.LBB6_3291:                             ;   in Loop: Header=BB6_2717 Depth=2
	v_cmp_ne_u16_e64 vcc_lo, 0, v132
	v_mov_b32_e32 v131, 0
	s_and_not1_b32 s12, s12, exec_lo
	s_delay_alu instid0(VALU_DEP_2) | instskip(NEXT) | instid1(SALU_CYCLE_1)
	s_and_b32 s27, vcc_lo, exec_lo
	s_or_b32 s12, s12, s27
	s_or_b32 exec_lo, exec_lo, s28
	s_and_saveexec_b32 s27, s12
	s_cbranch_execnz .LBB6_3021
	s_branch .LBB6_3022
.LBB6_3292:                             ;   in Loop: Header=BB6_2717 Depth=2
	s_mov_b32 s12, -1
	s_mov_b32 s29, exec_lo
                                        ; implicit-def: $sgpr27
	v_cmpx_eq_u16_e64 0x80, v131
; %bb.3293:                             ;   in Loop: Header=BB6_2717 Depth=2
	s_mov_b32 s27, 0x7f800001
	s_xor_b32 s12, exec_lo, -1
; %bb.3294:                             ;   in Loop: Header=BB6_2717 Depth=2
	s_or_b32 exec_lo, exec_lo, s29
	s_delay_alu instid0(SALU_CYCLE_1)
	s_and_b32 s12, s12, exec_lo
	s_or_saveexec_b32 s28, s28
	v_mov_b32_e32 v130, s27
	s_xor_b32 exec_lo, exec_lo, s28
	s_cbranch_execz .LBB6_3032
.LBB6_3295:                             ;   in Loop: Header=BB6_2717 Depth=2
	v_cmp_ne_u16_e64 vcc_lo, 0, v131
	v_mov_b32_e32 v130, 0
	s_and_not1_b32 s12, s12, exec_lo
	s_delay_alu instid0(VALU_DEP_2) | instskip(NEXT) | instid1(SALU_CYCLE_1)
	s_and_b32 s27, vcc_lo, exec_lo
	s_or_b32 s12, s12, s27
	s_or_b32 exec_lo, exec_lo, s28
	s_and_saveexec_b32 s27, s12
	s_cbranch_execnz .LBB6_3033
	s_branch .LBB6_3034
.LBB6_3296:                             ;   in Loop: Header=BB6_2717 Depth=2
	s_mov_b32 s12, -1
	s_mov_b32 s29, exec_lo
                                        ; implicit-def: $sgpr27
	v_cmpx_eq_u16_e64 0x80, v129
; %bb.3297:                             ;   in Loop: Header=BB6_2717 Depth=2
	s_mov_b32 s27, 0x7f800001
	s_xor_b32 s12, exec_lo, -1
; %bb.3298:                             ;   in Loop: Header=BB6_2717 Depth=2
	s_or_b32 exec_lo, exec_lo, s29
	s_delay_alu instid0(SALU_CYCLE_1)
	s_and_b32 s12, s12, exec_lo
	s_or_saveexec_b32 s28, s28
	v_mov_b32_e32 v131, s27
	s_xor_b32 exec_lo, exec_lo, s28
	s_cbranch_execz .LBB6_3036
.LBB6_3299:                             ;   in Loop: Header=BB6_2717 Depth=2
	v_cmp_ne_u16_e64 vcc_lo, 0, v129
	v_mov_b32_e32 v131, 0
	s_and_not1_b32 s12, s12, exec_lo
	s_delay_alu instid0(VALU_DEP_2) | instskip(NEXT) | instid1(SALU_CYCLE_1)
	s_and_b32 s27, vcc_lo, exec_lo
	s_or_b32 s12, s12, s27
	s_or_b32 exec_lo, exec_lo, s28
	s_and_saveexec_b32 s27, s12
	s_cbranch_execnz .LBB6_3037
	s_branch .LBB6_3038
.LBB6_3300:                             ;   in Loop: Header=BB6_2717 Depth=2
	s_mov_b32 s12, -1
	s_mov_b32 s29, exec_lo
                                        ; implicit-def: $sgpr27
	v_cmpx_eq_u16_e64 0x80, v130
; %bb.3301:                             ;   in Loop: Header=BB6_2717 Depth=2
	s_mov_b32 s27, 0x7f800001
	s_xor_b32 s12, exec_lo, -1
; %bb.3302:                             ;   in Loop: Header=BB6_2717 Depth=2
	s_or_b32 exec_lo, exec_lo, s29
	s_delay_alu instid0(SALU_CYCLE_1)
	s_and_b32 s12, s12, exec_lo
                                        ; implicit-def: $vgpr130
	s_or_saveexec_b32 s28, s28
	v_mov_b32_e32 v129, s27
	s_xor_b32 exec_lo, exec_lo, s28
	s_cbranch_execz .LBB6_3048
.LBB6_3303:                             ;   in Loop: Header=BB6_2717 Depth=2
	v_cmp_ne_u16_e64 vcc_lo, 0, v130
	v_mov_b32_e32 v129, 0
	s_and_not1_b32 s12, s12, exec_lo
	s_delay_alu instid0(VALU_DEP_2) | instskip(NEXT) | instid1(SALU_CYCLE_1)
	s_and_b32 s27, vcc_lo, exec_lo
	s_or_b32 s12, s12, s27
	s_or_b32 exec_lo, exec_lo, s28
	s_and_saveexec_b32 s27, s12
	s_cbranch_execnz .LBB6_3049
	s_branch .LBB6_3050
.LBB6_3304:                             ;   in Loop: Header=BB6_2717 Depth=2
	s_mov_b32 s12, -1
	s_mov_b32 s29, exec_lo
                                        ; implicit-def: $sgpr27
	v_cmpx_eq_u16_e64 0x80, v130
; %bb.3305:                             ;   in Loop: Header=BB6_2717 Depth=2
	s_mov_b32 s27, 0x7f800001
	s_xor_b32 s12, exec_lo, -1
; %bb.3306:                             ;   in Loop: Header=BB6_2717 Depth=2
	s_or_b32 exec_lo, exec_lo, s29
	s_delay_alu instid0(SALU_CYCLE_1)
	s_and_b32 s12, s12, exec_lo
                                        ; implicit-def: $vgpr130
	s_or_saveexec_b32 s28, s28
	v_mov_b32_e32 v116, s27
	s_xor_b32 exec_lo, exec_lo, s28
	s_cbranch_execz .LBB6_3052
.LBB6_3307:                             ;   in Loop: Header=BB6_2717 Depth=2
	v_cmp_ne_u16_e64 vcc_lo, 0, v130
	v_mov_b32_e32 v116, 0
	s_and_not1_b32 s12, s12, exec_lo
	s_delay_alu instid0(VALU_DEP_2) | instskip(NEXT) | instid1(SALU_CYCLE_1)
	s_and_b32 s27, vcc_lo, exec_lo
	s_or_b32 s12, s12, s27
	s_or_b32 exec_lo, exec_lo, s28
	s_and_saveexec_b32 s27, s12
	s_cbranch_execnz .LBB6_3053
	s_branch .LBB6_3054
.LBB6_3308:                             ;   in Loop: Header=BB6_2717 Depth=2
	s_mov_b32 s12, -1
	s_mov_b32 s29, exec_lo
                                        ; implicit-def: $sgpr27
	v_cmpx_eq_u16_e64 0x80, v130
; %bb.3309:                             ;   in Loop: Header=BB6_2717 Depth=2
	s_mov_b32 s27, 0x7f800001
	s_xor_b32 s12, exec_lo, -1
; %bb.3310:                             ;   in Loop: Header=BB6_2717 Depth=2
	s_or_b32 exec_lo, exec_lo, s29
	s_delay_alu instid0(SALU_CYCLE_1)
	s_and_b32 s12, s12, exec_lo
                                        ; implicit-def: $vgpr130
	s_or_saveexec_b32 s28, s28
	v_mov_b32_e32 v129, s27
	s_xor_b32 exec_lo, exec_lo, s28
	s_cbranch_execz .LBB6_3064
.LBB6_3311:                             ;   in Loop: Header=BB6_2717 Depth=2
	v_cmp_ne_u16_e64 vcc_lo, 0, v130
	v_mov_b32_e32 v129, 0
	s_and_not1_b32 s12, s12, exec_lo
	s_delay_alu instid0(VALU_DEP_2) | instskip(NEXT) | instid1(SALU_CYCLE_1)
	s_and_b32 s27, vcc_lo, exec_lo
	s_or_b32 s12, s12, s27
	s_or_b32 exec_lo, exec_lo, s28
	s_and_saveexec_b32 s27, s12
	s_cbranch_execnz .LBB6_3065
	s_branch .LBB6_3066
.LBB6_3312:                             ;   in Loop: Header=BB6_2717 Depth=2
	s_mov_b32 s12, -1
	s_mov_b32 s29, exec_lo
                                        ; implicit-def: $sgpr27
	v_cmpx_eq_u16_e32 0x80, v114
; %bb.3313:                             ;   in Loop: Header=BB6_2717 Depth=2
	s_mov_b32 s27, 0x7f800001
	s_xor_b32 s12, exec_lo, -1
; %bb.3314:                             ;   in Loop: Header=BB6_2717 Depth=2
	s_or_b32 exec_lo, exec_lo, s29
	s_delay_alu instid0(SALU_CYCLE_1)
	s_and_b32 s12, s12, exec_lo
	s_or_saveexec_b32 s28, s28
	v_mov_b32_e32 v130, s27
	s_xor_b32 exec_lo, exec_lo, s28
	s_cbranch_execz .LBB6_3068
.LBB6_3315:                             ;   in Loop: Header=BB6_2717 Depth=2
	v_cmp_ne_u16_e32 vcc_lo, 0, v114
	v_mov_b32_e32 v130, 0
	s_and_not1_b32 s12, s12, exec_lo
	s_and_b32 s27, vcc_lo, exec_lo
	s_delay_alu instid0(SALU_CYCLE_1)
	s_or_b32 s12, s12, s27
	s_or_b32 exec_lo, exec_lo, s28
	s_and_saveexec_b32 s27, s12
	s_cbranch_execnz .LBB6_3069
	s_branch .LBB6_3070
.LBB6_3316:                             ;   in Loop: Header=BB6_2717 Depth=2
	s_mov_b32 s12, -1
	s_mov_b32 s29, exec_lo
                                        ; implicit-def: $sgpr27
	v_cmpx_eq_u16_e64 0x80, v130
; %bb.3317:                             ;   in Loop: Header=BB6_2717 Depth=2
	s_mov_b32 s27, 0x7f800001
	s_xor_b32 s12, exec_lo, -1
; %bb.3318:                             ;   in Loop: Header=BB6_2717 Depth=2
	s_or_b32 exec_lo, exec_lo, s29
	s_delay_alu instid0(SALU_CYCLE_1)
	s_and_b32 s12, s12, exec_lo
                                        ; implicit-def: $vgpr130
	s_or_saveexec_b32 s28, s28
	v_mov_b32_e32 v129, s27
	s_xor_b32 exec_lo, exec_lo, s28
	s_cbranch_execz .LBB6_3080
.LBB6_3319:                             ;   in Loop: Header=BB6_2717 Depth=2
	v_cmp_ne_u16_e64 vcc_lo, 0, v130
	v_mov_b32_e32 v129, 0
	s_and_not1_b32 s12, s12, exec_lo
	s_delay_alu instid0(VALU_DEP_2) | instskip(NEXT) | instid1(SALU_CYCLE_1)
	s_and_b32 s27, vcc_lo, exec_lo
	s_or_b32 s12, s12, s27
	s_or_b32 exec_lo, exec_lo, s28
	s_and_saveexec_b32 s27, s12
	s_cbranch_execnz .LBB6_3081
	s_branch .LBB6_3082
.LBB6_3320:                             ;   in Loop: Header=BB6_2717 Depth=2
	s_mov_b32 s12, -1
	s_mov_b32 s29, exec_lo
                                        ; implicit-def: $sgpr27
	v_cmpx_eq_u16_e64 0x80, v131
; %bb.3321:                             ;   in Loop: Header=BB6_2717 Depth=2
	s_mov_b32 s27, 0x7f800001
	s_xor_b32 s12, exec_lo, -1
; %bb.3322:                             ;   in Loop: Header=BB6_2717 Depth=2
	s_or_b32 exec_lo, exec_lo, s29
	s_delay_alu instid0(SALU_CYCLE_1)
	s_and_b32 s12, s12, exec_lo
                                        ; implicit-def: $vgpr131
	s_or_saveexec_b32 s28, s28
	v_mov_b32_e32 v130, s27
	s_xor_b32 exec_lo, exec_lo, s28
	s_cbranch_execz .LBB6_3084
.LBB6_3323:                             ;   in Loop: Header=BB6_2717 Depth=2
	v_cmp_ne_u16_e64 vcc_lo, 0, v131
	v_mov_b32_e32 v130, 0
	s_and_not1_b32 s12, s12, exec_lo
	s_delay_alu instid0(VALU_DEP_2) | instskip(NEXT) | instid1(SALU_CYCLE_1)
	s_and_b32 s27, vcc_lo, exec_lo
	s_or_b32 s12, s12, s27
	s_or_b32 exec_lo, exec_lo, s28
	s_and_saveexec_b32 s27, s12
	s_cbranch_execnz .LBB6_3085
	s_branch .LBB6_3086
.LBB6_3324:                             ;   in Loop: Header=BB6_2717 Depth=2
	s_mov_b32 s12, -1
	s_mov_b32 s29, exec_lo
                                        ; implicit-def: $sgpr27
	v_cmpx_eq_u16_e64 0x80, v130
; %bb.3325:                             ;   in Loop: Header=BB6_2717 Depth=2
	s_mov_b32 s27, 0x7f800001
	s_xor_b32 s12, exec_lo, -1
; %bb.3326:                             ;   in Loop: Header=BB6_2717 Depth=2
	s_or_b32 exec_lo, exec_lo, s29
	s_delay_alu instid0(SALU_CYCLE_1)
	s_and_b32 s12, s12, exec_lo
	s_or_saveexec_b32 s28, s28
	v_mov_b32_e32 v129, s27
	s_xor_b32 exec_lo, exec_lo, s28
	s_cbranch_execz .LBB6_3096
.LBB6_3327:                             ;   in Loop: Header=BB6_2717 Depth=2
	v_cmp_ne_u16_e64 vcc_lo, 0, v130
	v_mov_b32_e32 v129, 0
	s_and_not1_b32 s12, s12, exec_lo
	s_delay_alu instid0(VALU_DEP_2) | instskip(NEXT) | instid1(SALU_CYCLE_1)
	s_and_b32 s27, vcc_lo, exec_lo
	s_or_b32 s12, s12, s27
	s_or_b32 exec_lo, exec_lo, s28
	s_and_saveexec_b32 s27, s12
	s_cbranch_execnz .LBB6_3097
	s_branch .LBB6_3098
.LBB6_3328:                             ;   in Loop: Header=BB6_2717 Depth=2
	s_mov_b32 s12, -1
	s_mov_b32 s29, exec_lo
                                        ; implicit-def: $sgpr27
	v_cmpx_eq_u16_e32 0x80, v68
; %bb.3329:                             ;   in Loop: Header=BB6_2717 Depth=2
	s_mov_b32 s27, 0x7f800001
	s_xor_b32 s12, exec_lo, -1
; %bb.3330:                             ;   in Loop: Header=BB6_2717 Depth=2
	s_or_b32 exec_lo, exec_lo, s29
	s_delay_alu instid0(SALU_CYCLE_1)
	s_and_b32 s12, s12, exec_lo
	s_or_saveexec_b32 s28, s28
	v_mov_b32_e32 v130, s27
	s_xor_b32 exec_lo, exec_lo, s28
	s_cbranch_execz .LBB6_3100
.LBB6_3331:                             ;   in Loop: Header=BB6_2717 Depth=2
	v_cmp_ne_u16_e32 vcc_lo, 0, v68
	v_mov_b32_e32 v130, 0
	s_and_not1_b32 s12, s12, exec_lo
	s_and_b32 s27, vcc_lo, exec_lo
	s_delay_alu instid0(SALU_CYCLE_1)
	s_or_b32 s12, s12, s27
	s_or_b32 exec_lo, exec_lo, s28
	s_and_saveexec_b32 s27, s12
	s_cbranch_execnz .LBB6_3101
	s_branch .LBB6_3102
.LBB6_3332:                             ;   in Loop: Header=BB6_2717 Depth=2
	s_mov_b32 s12, -1
	s_mov_b32 s29, exec_lo
                                        ; implicit-def: $sgpr27
	v_cmpx_eq_u16_e32 0x80, v115
; %bb.3333:                             ;   in Loop: Header=BB6_2717 Depth=2
	s_mov_b32 s27, 0x7f800001
	s_xor_b32 s12, exec_lo, -1
; %bb.3334:                             ;   in Loop: Header=BB6_2717 Depth=2
	s_or_b32 exec_lo, exec_lo, s29
	s_delay_alu instid0(SALU_CYCLE_1)
	s_and_b32 s12, s12, exec_lo
                                        ; implicit-def: $vgpr115
	s_or_saveexec_b32 s28, s28
	v_mov_b32_e32 v67, s27
	s_xor_b32 exec_lo, exec_lo, s28
	s_cbranch_execz .LBB6_3112
.LBB6_3335:                             ;   in Loop: Header=BB6_2717 Depth=2
	v_cmp_ne_u16_e32 vcc_lo, 0, v115
	v_mov_b32_e32 v67, 0
	s_and_not1_b32 s12, s12, exec_lo
	s_and_b32 s27, vcc_lo, exec_lo
	s_delay_alu instid0(SALU_CYCLE_1)
	s_or_b32 s12, s12, s27
	s_or_b32 exec_lo, exec_lo, s28
	s_and_saveexec_b32 s27, s12
	s_cbranch_execnz .LBB6_3113
	s_branch .LBB6_3114
.LBB6_3336:                             ;   in Loop: Header=BB6_2717 Depth=2
	s_mov_b32 s12, -1
	s_mov_b32 s29, exec_lo
                                        ; implicit-def: $sgpr27
	v_cmpx_eq_u16_e64 0x80, v129
; %bb.3337:                             ;   in Loop: Header=BB6_2717 Depth=2
	s_mov_b32 s27, 0x7f800001
	s_xor_b32 s12, exec_lo, -1
; %bb.3338:                             ;   in Loop: Header=BB6_2717 Depth=2
	s_or_b32 exec_lo, exec_lo, s29
	s_delay_alu instid0(SALU_CYCLE_1)
	s_and_b32 s12, s12, exec_lo
                                        ; implicit-def: $vgpr129
	s_or_saveexec_b32 s28, s28
	v_mov_b32_e32 v115, s27
	s_xor_b32 exec_lo, exec_lo, s28
	s_cbranch_execz .LBB6_3116
.LBB6_3339:                             ;   in Loop: Header=BB6_2717 Depth=2
	v_cmp_ne_u16_e64 vcc_lo, 0, v129
	v_mov_b32_e32 v115, 0
	s_and_not1_b32 s12, s12, exec_lo
	s_delay_alu instid0(VALU_DEP_2) | instskip(NEXT) | instid1(SALU_CYCLE_1)
	s_and_b32 s27, vcc_lo, exec_lo
	s_or_b32 s12, s12, s27
	s_or_b32 exec_lo, exec_lo, s28
	s_and_saveexec_b32 s27, s12
	s_cbranch_execnz .LBB6_3117
	s_branch .LBB6_3118
.LBB6_3340:                             ;   in Loop: Header=BB6_2717 Depth=2
	s_mov_b32 s12, -1
	s_mov_b32 s29, exec_lo
                                        ; implicit-def: $sgpr27
	v_cmpx_eq_u16_e64 0x80, v129
; %bb.3341:                             ;   in Loop: Header=BB6_2717 Depth=2
	s_mov_b32 s27, 0x7f800001
	s_xor_b32 s12, exec_lo, -1
; %bb.3342:                             ;   in Loop: Header=BB6_2717 Depth=2
	s_or_b32 exec_lo, exec_lo, s29
	s_delay_alu instid0(SALU_CYCLE_1)
	s_and_b32 s12, s12, exec_lo
	s_or_saveexec_b32 s28, s28
	v_mov_b32_e32 v115, s27
	s_xor_b32 exec_lo, exec_lo, s28
	s_cbranch_execz .LBB6_3128
.LBB6_3343:                             ;   in Loop: Header=BB6_2717 Depth=2
	v_cmp_ne_u16_e64 vcc_lo, 0, v129
	v_mov_b32_e32 v115, 0
	s_and_not1_b32 s12, s12, exec_lo
	s_delay_alu instid0(VALU_DEP_2) | instskip(NEXT) | instid1(SALU_CYCLE_1)
	s_and_b32 s27, vcc_lo, exec_lo
	s_or_b32 s12, s12, s27
	s_or_b32 exec_lo, exec_lo, s28
	s_and_saveexec_b32 s27, s12
	s_cbranch_execnz .LBB6_3129
	s_branch .LBB6_3130
.LBB6_3344:                             ;   in Loop: Header=BB6_2717 Depth=2
	s_mov_b32 s12, -1
	s_mov_b32 s29, exec_lo
                                        ; implicit-def: $sgpr27
	v_cmpx_eq_u16_e64 0x80, v129
; %bb.3345:                             ;   in Loop: Header=BB6_2717 Depth=2
	s_mov_b32 s27, 0x7f800001
	s_xor_b32 s12, exec_lo, -1
; %bb.3346:                             ;   in Loop: Header=BB6_2717 Depth=2
	s_or_b32 exec_lo, exec_lo, s29
	s_delay_alu instid0(SALU_CYCLE_1)
	s_and_b32 s12, s12, exec_lo
	s_or_saveexec_b32 s28, s28
	v_mov_b32_e32 v130, s27
	s_xor_b32 exec_lo, exec_lo, s28
	s_cbranch_execz .LBB6_3132
.LBB6_3347:                             ;   in Loop: Header=BB6_2717 Depth=2
	v_cmp_ne_u16_e64 vcc_lo, 0, v129
	v_mov_b32_e32 v130, 0
	s_and_not1_b32 s12, s12, exec_lo
	s_delay_alu instid0(VALU_DEP_2) | instskip(NEXT) | instid1(SALU_CYCLE_1)
	s_and_b32 s27, vcc_lo, exec_lo
	s_or_b32 s12, s12, s27
	s_or_b32 exec_lo, exec_lo, s28
	s_and_saveexec_b32 s27, s12
	s_cbranch_execnz .LBB6_3133
	s_branch .LBB6_3134
.LBB6_3348:                             ;   in Loop: Header=BB6_2717 Depth=2
	s_mov_b32 s12, -1
	s_mov_b32 s29, exec_lo
                                        ; implicit-def: $sgpr27
	v_cmpx_eq_u16_e64 0x80, v129
; %bb.3349:                             ;   in Loop: Header=BB6_2717 Depth=2
	s_mov_b32 s27, 0x7f800001
	s_xor_b32 s12, exec_lo, -1
; %bb.3350:                             ;   in Loop: Header=BB6_2717 Depth=2
	s_or_b32 exec_lo, exec_lo, s29
	s_delay_alu instid0(SALU_CYCLE_1)
	s_and_b32 s12, s12, exec_lo
                                        ; implicit-def: $vgpr129
	s_or_saveexec_b32 s28, s28
	v_mov_b32_e32 v66, s27
	s_xor_b32 exec_lo, exec_lo, s28
	s_cbranch_execz .LBB6_3144
.LBB6_3351:                             ;   in Loop: Header=BB6_2717 Depth=2
	v_cmp_ne_u16_e64 vcc_lo, 0, v129
	v_mov_b32_e32 v66, 0
	s_and_not1_b32 s12, s12, exec_lo
	s_delay_alu instid0(VALU_DEP_2) | instskip(NEXT) | instid1(SALU_CYCLE_1)
	s_and_b32 s27, vcc_lo, exec_lo
	s_or_b32 s12, s12, s27
	s_or_b32 exec_lo, exec_lo, s28
	v_lshl_or_b32 v68, v70, 16, v68
	s_and_saveexec_b32 s27, s12
	s_cbranch_execnz .LBB6_3145
	s_branch .LBB6_3146
.LBB6_3352:                             ;   in Loop: Header=BB6_2717 Depth=2
	s_mov_b32 s12, -1
	s_mov_b32 s29, exec_lo
                                        ; implicit-def: $sgpr27
	v_cmpx_eq_u16_e64 0x80, v130
; %bb.3353:                             ;   in Loop: Header=BB6_2717 Depth=2
	s_mov_b32 s27, 0x7f800001
	s_xor_b32 s12, exec_lo, -1
; %bb.3354:                             ;   in Loop: Header=BB6_2717 Depth=2
	s_or_b32 exec_lo, exec_lo, s29
	s_delay_alu instid0(SALU_CYCLE_1)
	s_and_b32 s12, s12, exec_lo
                                        ; implicit-def: $vgpr130
	s_or_saveexec_b32 s28, s28
	v_mov_b32_e32 v129, s27
	s_xor_b32 exec_lo, exec_lo, s28
	s_cbranch_execz .LBB6_3148
.LBB6_3355:                             ;   in Loop: Header=BB6_2717 Depth=2
	v_cmp_ne_u16_e64 vcc_lo, 0, v130
	v_mov_b32_e32 v129, 0
	s_and_not1_b32 s12, s12, exec_lo
	s_delay_alu instid0(VALU_DEP_2) | instskip(NEXT) | instid1(SALU_CYCLE_1)
	s_and_b32 s27, vcc_lo, exec_lo
	s_or_b32 s12, s12, s27
	s_or_b32 exec_lo, exec_lo, s28
	s_and_saveexec_b32 s27, s12
	s_cbranch_execnz .LBB6_3149
	s_branch .LBB6_3150
.LBB6_3356:                             ;   in Loop: Header=BB6_2717 Depth=2
	s_mov_b32 s12, -1
	s_mov_b32 s29, exec_lo
                                        ; implicit-def: $sgpr27
	v_cmpx_eq_u16_e64 0x80, v129
; %bb.3357:                             ;   in Loop: Header=BB6_2717 Depth=2
	s_mov_b32 s27, 0x7f800001
	s_xor_b32 s12, exec_lo, -1
; %bb.3358:                             ;   in Loop: Header=BB6_2717 Depth=2
	s_or_b32 exec_lo, exec_lo, s29
	s_delay_alu instid0(SALU_CYCLE_1)
	s_and_b32 s12, s12, exec_lo
	s_or_saveexec_b32 s28, s28
	v_mov_b32_e32 v70, s27
	s_xor_b32 exec_lo, exec_lo, s28
	s_cbranch_execz .LBB6_3160
.LBB6_3359:                             ;   in Loop: Header=BB6_2717 Depth=2
	v_cmp_ne_u16_e64 vcc_lo, 0, v129
	v_mov_b32_e32 v70, 0
	s_and_not1_b32 s12, s12, exec_lo
	s_delay_alu instid0(VALU_DEP_2) | instskip(NEXT) | instid1(SALU_CYCLE_1)
	s_and_b32 s27, vcc_lo, exec_lo
	s_or_b32 s12, s12, s27
	s_or_b32 exec_lo, exec_lo, s28
	s_and_saveexec_b32 s27, s12
	s_cbranch_execnz .LBB6_3161
	s_branch .LBB6_3162
.LBB6_3360:                             ;   in Loop: Header=BB6_2717 Depth=2
	s_mov_b32 s12, -1
	s_mov_b32 s29, exec_lo
                                        ; implicit-def: $sgpr27
	v_cmpx_eq_u16_e32 0x80, v68
; %bb.3361:                             ;   in Loop: Header=BB6_2717 Depth=2
	s_mov_b32 s27, 0x7f800001
	s_xor_b32 s12, exec_lo, -1
; %bb.3362:                             ;   in Loop: Header=BB6_2717 Depth=2
	s_or_b32 exec_lo, exec_lo, s29
	s_delay_alu instid0(SALU_CYCLE_1)
	s_and_b32 s12, s12, exec_lo
	s_or_saveexec_b32 s28, s28
	v_mov_b32_e32 v129, s27
	s_xor_b32 exec_lo, exec_lo, s28
	s_cbranch_execz .LBB6_3164
.LBB6_3363:                             ;   in Loop: Header=BB6_2717 Depth=2
	v_cmp_ne_u16_e32 vcc_lo, 0, v68
	v_mov_b32_e32 v129, 0
	s_and_not1_b32 s12, s12, exec_lo
	s_and_b32 s27, vcc_lo, exec_lo
	s_delay_alu instid0(SALU_CYCLE_1)
	s_or_b32 s12, s12, s27
	s_or_b32 exec_lo, exec_lo, s28
	s_and_saveexec_b32 s27, s12
	s_cbranch_execnz .LBB6_3165
	s_branch .LBB6_3166
.LBB6_3364:                             ;   in Loop: Header=BB6_53 Depth=1
	s_or_b32 exec_lo, exec_lo, s25
.LBB6_3365:                             ;   in Loop: Header=BB6_53 Depth=1
	s_delay_alu instid0(SALU_CYCLE_1) | instskip(SKIP_3) | instid1(VALU_DEP_1)
	s_or_b32 exec_lo, exec_lo, s24
	v_dual_mov_b32 v18, 0 :: v_dual_and_b32 v11, 15, v52
	s_mov_b32 s12, 0
	s_mov_b32 s24, exec_lo
                                        ; implicit-def: $vgpr20
                                        ; implicit-def: $vgpr10
	v_cndmask_b32_e64 v19, v22, v11, s11
	s_delay_alu instid0(VALU_DEP_1)
	v_cmpx_ne_u32_e32 0, v19
	s_cbranch_execz .LBB6_3367
; %bb.3366:                             ;   in Loop: Header=BB6_53 Depth=1
	v_cmp_lt_i32_e32 vcc_lo, 0, v23
	v_sub_nc_u32_e32 v11, v22, v11
	v_and_b32_e32 v12, 0x3ffffe00, v52
	s_mov_b32 s12, exec_lo
	v_cndmask_b32_e32 v10, 0, v83, vcc_lo
	s_delay_alu instid0(VALU_DEP_3) | instskip(NEXT) | instid1(VALU_DEP_2)
	v_cndmask_b32_e64 v11, 0, v11, s11
	v_sub_nc_u32_e32 v10, v10, v23
	s_delay_alu instid0(VALU_DEP_2) | instskip(NEXT) | instid1(VALU_DEP_2)
	v_add_nc_u32_e32 v18, v11, v12
	v_lshl_add_u32 v20, v10, 5, v21
	s_delay_alu instid0(VALU_DEP_1) | instskip(NEXT) | instid1(VALU_DEP_1)
	v_ashrrev_i32_e32 v10, 31, v20
	v_lshrrev_b32_e32 v10, 27, v10
	s_delay_alu instid0(VALU_DEP_1) | instskip(NEXT) | instid1(VALU_DEP_1)
	v_add_nc_u32_e32 v10, v20, v10
	v_ashrrev_i32_e32 v10, 5, v10
.LBB6_3367:                             ;   in Loop: Header=BB6_53 Depth=1
	s_or_b32 exec_lo, exec_lo, s24
	s_delay_alu instid0(SALU_CYCLE_1)
	s_and_b32 s11, s12, exec_lo
.LBB6_3368:                             ;   in Loop: Header=BB6_53 Depth=1
	s_or_b32 exec_lo, exec_lo, s23
.LBB6_3369:                             ;   in Loop: Header=BB6_53 Depth=1
	s_and_saveexec_b32 s12, s11
	s_cbranch_execz .LBB6_4720
; %bb.3370:                             ;   in Loop: Header=BB6_53 Depth=1
	s_delay_alu instid0(VALU_DEP_1) | instskip(SKIP_1) | instid1(VALU_DEP_1)
	v_ashrrev_i32_e32 v11, 31, v19
	s_mov_b32 s23, exec_lo
	v_lshrrev_b32_e32 v11, 22, v11
	s_delay_alu instid0(VALU_DEP_1) | instskip(NEXT) | instid1(VALU_DEP_1)
	v_add_nc_u32_e32 v11, v19, v11
	v_ashrrev_i32_e32 v22, 10, v11
	s_delay_alu instid0(VALU_DEP_1) | instskip(NEXT) | instid1(VALU_DEP_1)
	v_sub_nc_u32_e32 v21, v22, v10
	v_cmpx_lt_i32_e32 0, v21
	s_cbranch_execz .LBB6_4665
; %bb.3371:                             ;   in Loop: Header=BB6_53 Depth=1
	s_cbranch_execz .LBB6_3372
; %bb.13017:
	s_getpc_b64 s[34:35]
.Lpost_getpc158:
	s_add_u32 s34, s34, (.LBB6_12833-.Lpost_getpc158)&4294967295
	s_addc_u32 s35, s35, (.LBB6_12833-.Lpost_getpc158)>>32
	s_setpc_b64 s[34:35]
.LBB6_3372:                             ;   in Loop: Header=BB6_53 Depth=1
	v_ashrrev_i32_e32 v11, 31, v20
	ds_load_b64 v[15:16], v0
	v_lshlrev_b32_e32 v10, 10, v10
	s_mov_b32 s24, 0
	v_lshrrev_b32_e32 v11, 27, v11
	s_delay_alu instid0(VALU_DEP_1) | instskip(NEXT) | instid1(VALU_DEP_1)
	v_add_nc_u32_e32 v11, v20, v11
	v_and_b32_e32 v17, 0xffffffe0, v11
	ds_load_b128 v[11:14], v0
	v_sub_nc_u32_e32 v17, v20, v17
	s_waitcnt lgkmcnt(1)
	v_add_co_u32 v15, vcc_lo, 0x3e0, v15
	v_add_co_ci_u32_e32 v16, vcc_lo, 0, v16, vcc_lo
	s_delay_alu instid0(VALU_DEP_3) | instskip(NEXT) | instid1(VALU_DEP_1)
	v_add3_u32 v17, v18, v17, v10
	v_ashrrev_i32_e32 v23, 31, v17
	s_waitcnt lgkmcnt(0)
	v_add_co_u32 v10, vcc_lo, v11, v17
	s_delay_alu instid0(VALU_DEP_2)
	v_add_co_ci_u32_e32 v11, vcc_lo, v12, v23, vcc_lo
	v_add_co_u32 v12, vcc_lo, v13, v17
	v_add_co_ci_u32_e32 v13, vcc_lo, v14, v23, vcc_lo
	v_add_co_u32 v14, vcc_lo, v15, v17
	v_add_co_ci_u32_e32 v15, vcc_lo, v16, v23, vcc_lo
.LBB6_3373:                             ;   Parent Loop BB6_53 Depth=1
                                        ; =>  This Inner Loop Header: Depth=2
	s_cbranch_execz .LBB6_3374
; %bb.13019:
	s_getpc_b64 s[34:35]
.Lpost_getpc159:
	s_add_u32 s34, s34, (.LBB6_12835-.Lpost_getpc159)&4294967295
	s_addc_u32 s35, s35, (.LBB6_12835-.Lpost_getpc159)>>32
	s_setpc_b64 s[34:35]
.LBB6_3374:                             ;   in Loop: Header=BB6_3373 Depth=2
	ds_load_b64 v[16:17], v0
	s_waitcnt lgkmcnt(0)
	v_and_b32_e32 v17, 0xff, v16
	v_readfirstlane_b32 s11, v16
	s_delay_alu instid0(VALU_DEP_2)
	v_cmp_gt_i16_e32 vcc_lo, 0x80, v17
	s_cbranch_vccnz .LBB6_3378
; %bb.3375:                             ;   in Loop: Header=BB6_3373 Depth=2
	v_cmp_eq_u16_e32 vcc_lo, 0x80, v17
	s_mov_b32 s25, -1
                                        ; implicit-def: $sgpr26
	s_cbranch_vccz .LBB6_3377
; %bb.3376:                             ;   in Loop: Header=BB6_3373 Depth=2
	s_mov_b32 s25, 0
	s_mov_b32 s26, 0x7f800001
.LBB6_3377:                             ;   in Loop: Header=BB6_3373 Depth=2
	s_mov_b32 s27, 0
	s_branch .LBB6_3379
.LBB6_3378:                             ;   in Loop: Header=BB6_3373 Depth=2
	s_mov_b32 s27, -1
	s_mov_b32 s25, 0
                                        ; implicit-def: $sgpr26
.LBB6_3379:                             ;   in Loop: Header=BB6_3373 Depth=2
	s_and_b32 vcc_lo, exec_lo, s27
	s_cbranch_vccz .LBB6_3381
; %bb.3380:                             ;   in Loop: Header=BB6_3373 Depth=2
	v_cmp_ne_u16_e64 s25, 0, v17
	s_mov_b32 s26, 0
.LBB6_3381:                             ;   in Loop: Header=BB6_3373 Depth=2
	s_delay_alu instid0(SALU_CYCLE_1) | instskip(NEXT) | instid1(VALU_DEP_2)
	v_mov_b32_e32 v17, s26
	s_and_not1_b32 vcc_lo, exec_lo, s25
	s_cbranch_vccnz .LBB6_3383
; %bb.3382:                             ;   in Loop: Header=BB6_3373 Depth=2
	s_and_b32 s25, s11, 7
	s_bfe_u32 s27, s11, 0x40003
	s_clz_i32_u32 s26, s25
	v_lshlrev_b32_e32 v16, 24, v16
	s_min_u32 s26, s26, 32
	s_delay_alu instid0(SALU_CYCLE_1)
	s_sub_i32 s28, s26, 28
	s_sub_i32 s26, 29, s26
	s_lshl_b32 s11, s11, s28
	v_and_b32_e32 v16, 0x80000000, v16
	s_and_b32 s11, s11, 7
	s_cmp_eq_u32 s27, 0
	s_cselect_b32 s26, s26, s27
	s_cselect_b32 s11, s11, s25
	s_lshl_b32 s25, s26, 23
	s_lshl_b32 s11, s11, 20
	s_add_i32 s25, s25, 0x3b800000
	s_delay_alu instid0(SALU_CYCLE_1) | instskip(NEXT) | instid1(VALU_DEP_1)
	v_or_b32_e32 v16, s25, v16
	v_or_b32_e32 v17, s11, v16
.LBB6_3383:                             ;   in Loop: Header=BB6_3373 Depth=2
	flat_load_u8 v16, v[10:11] slc dlc
	s_mov_b32 s11, 0
	s_mov_b32 s26, exec_lo
                                        ; implicit-def: $sgpr25
	s_waitcnt vmcnt(0) lgkmcnt(0)
	v_cmpx_lt_i16_e32 0x7f, v16
	s_xor_b32 s26, exec_lo, s26
	s_cbranch_execnz .LBB6_4280
; %bb.3384:                             ;   in Loop: Header=BB6_3373 Depth=2
	s_or_saveexec_b32 s26, s26
	v_mov_b32_e32 v23, s25
	s_xor_b32 exec_lo, exec_lo, s26
	s_cbranch_execnz .LBB6_4283
.LBB6_3385:                             ;   in Loop: Header=BB6_3373 Depth=2
	s_or_b32 exec_lo, exec_lo, s26
	s_and_saveexec_b32 s25, s11
	s_cbranch_execz .LBB6_3387
.LBB6_3386:                             ;   in Loop: Header=BB6_3373 Depth=2
	v_and_b32_e32 v23, 0xffff, v16
	v_lshlrev_b32_e32 v16, 24, v16
	s_delay_alu instid0(VALU_DEP_2) | instskip(NEXT) | instid1(VALU_DEP_2)
	v_and_b32_e32 v24, 7, v23
	v_and_b32_e32 v16, 0x80000000, v16
	s_delay_alu instid0(VALU_DEP_2) | instskip(NEXT) | instid1(VALU_DEP_1)
	v_clz_i32_u32_e32 v25, v24
	v_min_u32_e32 v25, 32, v25
	s_delay_alu instid0(VALU_DEP_1) | instskip(SKIP_1) | instid1(VALU_DEP_2)
	v_subrev_nc_u32_e32 v66, 28, v25
	v_sub_nc_u32_e32 v25, 29, v25
	v_lshlrev_b32_e32 v66, v66, v23
	v_bfe_u32 v23, v23, 3, 4
	s_delay_alu instid0(VALU_DEP_2) | instskip(NEXT) | instid1(VALU_DEP_2)
	v_and_b32_e32 v66, 7, v66
	v_cmp_eq_u32_e32 vcc_lo, 0, v23
	s_delay_alu instid0(VALU_DEP_2) | instskip(NEXT) | instid1(VALU_DEP_1)
	v_dual_cndmask_b32 v23, v23, v25 :: v_dual_cndmask_b32 v24, v24, v66
	v_lshl_add_u32 v23, v23, 23, 0x3b800000
	s_delay_alu instid0(VALU_DEP_2) | instskip(NEXT) | instid1(VALU_DEP_1)
	v_lshlrev_b32_e32 v24, 20, v24
	v_or3_b32 v23, v16, v23, v24
.LBB6_3387:                             ;   in Loop: Header=BB6_3373 Depth=2
	s_or_b32 exec_lo, exec_lo, s25
	s_delay_alu instid0(VALU_DEP_1) | instskip(SKIP_2) | instid1(VALU_DEP_2)
	v_mul_f32_e32 v16, v17, v23
	v_mov_b32_e32 v24, 0x80
	s_mov_b32 s25, exec_lo
	v_and_b32_e32 v23, 0x7f800000, v16
	s_delay_alu instid0(VALU_DEP_1)
	v_cmpx_ne_u32_e32 0x7f800000, v23
	s_cbranch_execz .LBB6_3395
; %bb.3388:                             ;   in Loop: Header=BB6_3373 Depth=2
	v_mov_b32_e32 v24, 0
	s_mov_b32 s26, exec_lo
	v_cmpx_ne_u32_e32 0, v16
	s_cbranch_execz .LBB6_3394
; %bb.3389:                             ;   in Loop: Header=BB6_3373 Depth=2
	v_bfe_u32 v23, v16, 23, 8
	s_delay_alu instid0(VALU_DEP_1) | instskip(SKIP_1) | instid1(VALU_DEP_2)
	v_sub_nc_u32_e32 v25, 0x78, v23
	v_cmp_gt_u32_e32 vcc_lo, 0x79, v23
	v_dual_cndmask_b32 v25, 0, v25 :: v_dual_and_b32 v24, 0x7fffff, v16
	s_delay_alu instid0(VALU_DEP_1) | instskip(SKIP_2) | instid1(VALU_DEP_4)
	v_or_b32_e32 v66, 0x800000, v24
	v_cmp_eq_u32_e32 vcc_lo, 0, v23
	v_add_nc_u32_e32 v23, 0xffffff89, v23
	v_cndmask_b32_e64 v25, v25, 0x77, vcc_lo
	s_delay_alu instid0(VALU_DEP_4) | instskip(NEXT) | instid1(VALU_DEP_3)
	v_cndmask_b32_e32 v24, v66, v24, vcc_lo
	v_cndmask_b32_e64 v23, v23, 0xffffff8a, vcc_lo
	s_delay_alu instid0(VALU_DEP_3) | instskip(NEXT) | instid1(VALU_DEP_3)
	v_lshl_add_u32 v66, 0x100000, v25, -1
	v_lshrrev_b32_e32 v67, v25, v24
	v_lshlrev_b32_e64 v69, v25, 0x80000
	s_delay_alu instid0(VALU_DEP_4) | instskip(NEXT) | instid1(VALU_DEP_4)
	v_add_nc_u32_e32 v25, v25, v23
	v_and_b32_e32 v24, v66, v24
	s_delay_alu instid0(VALU_DEP_4) | instskip(NEXT) | instid1(VALU_DEP_2)
	v_bfe_u32 v68, v67, 20, 1
	v_cmp_eq_u32_e64 s11, v24, v69
	s_delay_alu instid0(VALU_DEP_2) | instskip(NEXT) | instid1(VALU_DEP_1)
	v_add_nc_u32_e32 v66, -1, v68
	v_cndmask_b32_e64 v24, 0, v66, s11
	v_lshrrev_b32_e32 v66, 23, v67
	s_mov_b32 s11, exec_lo
	s_delay_alu instid0(VALU_DEP_2) | instskip(NEXT) | instid1(VALU_DEP_2)
	v_add_nc_u32_e32 v24, v24, v67
	v_xor_b32_e32 v66, 1, v66
	s_delay_alu instid0(VALU_DEP_2) | instskip(NEXT) | instid1(VALU_DEP_1)
	v_and_b32_e32 v23, 0xfffff, v24
	v_add_nc_u32_e32 v24, v23, v67
                                        ; implicit-def: $vgpr23
	s_delay_alu instid0(VALU_DEP_3)
	v_cmpx_ne_u32_e64 v25, v66
	s_xor_b32 s11, exec_lo, s11
; %bb.3390:                             ;   in Loop: Header=BB6_3373 Depth=2
	s_delay_alu instid0(VALU_DEP_2) | instskip(SKIP_2) | instid1(VALU_DEP_2)
	v_cmp_lt_u32_e32 vcc_lo, 0xffffff, v24
	v_sub_nc_u32_e32 v23, v25, v66
	v_cndmask_b32_e64 v25, 0, 1, vcc_lo
	v_add_co_ci_u32_e32 v23, vcc_lo, 0, v23, vcc_lo
	s_delay_alu instid0(VALU_DEP_2)
	v_lshrrev_b32_e32 v24, v25, v24
; %bb.3391:                             ;   in Loop: Header=BB6_3373 Depth=2
	s_and_not1_saveexec_b32 s11, s11
; %bb.3392:                             ;   in Loop: Header=BB6_3373 Depth=2
	s_delay_alu instid0(VALU_DEP_1)
	v_bfe_u32 v23, v24, 23, 1
; %bb.3393:                             ;   in Loop: Header=BB6_3373 Depth=2
	s_or_b32 exec_lo, exec_lo, s11
	v_lshrrev_b32_e32 v24, 20, v24
	s_delay_alu instid0(VALU_DEP_2) | instskip(SKIP_2) | instid1(VALU_DEP_4)
	v_cmp_gt_i32_e32 vcc_lo, 16, v23
	v_lshrrev_b32_e32 v16, 24, v16
	v_min_i32_e32 v25, 15, v23
	v_cndmask_b32_e32 v24, 7, v24, vcc_lo
	s_delay_alu instid0(VALU_DEP_3) | instskip(NEXT) | instid1(VALU_DEP_3)
	v_and_b32_e32 v16, 0x80, v16
	v_lshlrev_b32_e32 v25, 3, v25
	s_delay_alu instid0(VALU_DEP_3) | instskip(SKIP_1) | instid1(VALU_DEP_2)
	v_and_b32_e32 v66, 7, v24
	v_or_b32_e32 v23, v23, v24
	v_or3_b32 v16, v25, v16, v66
	s_delay_alu instid0(VALU_DEP_2) | instskip(NEXT) | instid1(VALU_DEP_2)
	v_cmp_ne_u32_e32 vcc_lo, 0, v23
	v_cndmask_b32_e32 v24, 0, v16, vcc_lo
.LBB6_3394:                             ;   in Loop: Header=BB6_3373 Depth=2
	s_or_b32 exec_lo, exec_lo, s26
.LBB6_3395:                             ;   in Loop: Header=BB6_3373 Depth=2
	s_delay_alu instid0(SALU_CYCLE_1)
	s_or_b32 exec_lo, exec_lo, s25
	flat_load_u8 v16, v[10:11] offset:32 slc dlc
	s_mov_b32 s11, 0
	s_mov_b32 s26, exec_lo
                                        ; implicit-def: $sgpr25
	s_waitcnt vmcnt(0) lgkmcnt(0)
	v_cmpx_lt_i16_e32 0x7f, v16
	s_xor_b32 s26, exec_lo, s26
	s_cbranch_execnz .LBB6_4284
; %bb.3396:                             ;   in Loop: Header=BB6_3373 Depth=2
	s_or_saveexec_b32 s26, s26
	v_mov_b32_e32 v23, s25
	s_xor_b32 exec_lo, exec_lo, s26
	s_cbranch_execnz .LBB6_4287
.LBB6_3397:                             ;   in Loop: Header=BB6_3373 Depth=2
	s_or_b32 exec_lo, exec_lo, s26
	s_and_saveexec_b32 s25, s11
	s_cbranch_execz .LBB6_3399
.LBB6_3398:                             ;   in Loop: Header=BB6_3373 Depth=2
	v_and_b32_e32 v23, 0xffff, v16
	s_delay_alu instid0(VALU_DEP_1) | instskip(NEXT) | instid1(VALU_DEP_1)
	v_and_b32_e32 v25, 7, v23
	v_clz_i32_u32_e32 v66, v25
	s_delay_alu instid0(VALU_DEP_1) | instskip(NEXT) | instid1(VALU_DEP_1)
	v_min_u32_e32 v66, 32, v66
	v_subrev_nc_u32_e32 v67, 28, v66
	v_sub_nc_u32_e32 v66, 29, v66
	s_delay_alu instid0(VALU_DEP_2) | instskip(SKIP_1) | instid1(VALU_DEP_2)
	v_lshlrev_b32_e32 v67, v67, v23
	v_bfe_u32 v23, v23, 3, 4
	v_and_b32_e32 v67, 7, v67
	s_delay_alu instid0(VALU_DEP_2) | instskip(SKIP_1) | instid1(VALU_DEP_1)
	v_cmp_eq_u32_e32 vcc_lo, 0, v23
	v_dual_cndmask_b32 v23, v23, v66 :: v_dual_lshlrev_b32 v16, 24, v16
	v_dual_cndmask_b32 v25, v25, v67 :: v_dual_and_b32 v16, 0x80000000, v16
	s_delay_alu instid0(VALU_DEP_2) | instskip(NEXT) | instid1(VALU_DEP_2)
	v_lshl_add_u32 v23, v23, 23, 0x3b800000
	v_lshlrev_b32_e32 v25, 20, v25
	s_delay_alu instid0(VALU_DEP_1)
	v_or3_b32 v23, v16, v23, v25
.LBB6_3399:                             ;   in Loop: Header=BB6_3373 Depth=2
	s_or_b32 exec_lo, exec_lo, s25
	s_delay_alu instid0(VALU_DEP_1) | instskip(SKIP_1) | instid1(VALU_DEP_1)
	v_dual_mul_f32 v16, v17, v23 :: v_dual_mov_b32 v69, 0x80
	s_mov_b32 s25, exec_lo
	v_and_b32_e32 v23, 0x7f800000, v16
	s_delay_alu instid0(VALU_DEP_1)
	v_cmpx_ne_u32_e32 0x7f800000, v23
	s_cbranch_execz .LBB6_3407
; %bb.3400:                             ;   in Loop: Header=BB6_3373 Depth=2
	v_mov_b32_e32 v69, 0
	s_mov_b32 s26, exec_lo
	v_cmpx_ne_u32_e32 0, v16
	s_cbranch_execz .LBB6_3406
; %bb.3401:                             ;   in Loop: Header=BB6_3373 Depth=2
	v_bfe_u32 v23, v16, 23, 8
	s_delay_alu instid0(VALU_DEP_1) | instskip(SKIP_1) | instid1(VALU_DEP_2)
	v_sub_nc_u32_e32 v66, 0x78, v23
	v_cmp_gt_u32_e32 vcc_lo, 0x79, v23
	v_dual_cndmask_b32 v66, 0, v66 :: v_dual_and_b32 v25, 0x7fffff, v16
	s_delay_alu instid0(VALU_DEP_1) | instskip(SKIP_2) | instid1(VALU_DEP_4)
	v_or_b32_e32 v67, 0x800000, v25
	v_cmp_eq_u32_e32 vcc_lo, 0, v23
	v_add_nc_u32_e32 v23, 0xffffff89, v23
	v_cndmask_b32_e64 v66, v66, 0x77, vcc_lo
	s_delay_alu instid0(VALU_DEP_2) | instskip(SKIP_1) | instid1(VALU_DEP_3)
	v_cndmask_b32_e64 v23, v23, 0xffffff8a, vcc_lo
	v_cndmask_b32_e32 v25, v67, v25, vcc_lo
	v_lshl_add_u32 v67, 0x100000, v66, -1
	v_lshlrev_b32_e64 v70, v66, 0x80000
	s_delay_alu instid0(VALU_DEP_3) | instskip(SKIP_1) | instid1(VALU_DEP_4)
	v_lshrrev_b32_e32 v68, v66, v25
	v_add_nc_u32_e32 v66, v66, v23
	v_and_b32_e32 v25, v67, v25
	s_delay_alu instid0(VALU_DEP_3) | instskip(NEXT) | instid1(VALU_DEP_2)
	v_bfe_u32 v69, v68, 20, 1
	v_cmp_eq_u32_e64 s11, v25, v70
	s_delay_alu instid0(VALU_DEP_2) | instskip(NEXT) | instid1(VALU_DEP_1)
	v_add_nc_u32_e32 v67, -1, v69
	v_cndmask_b32_e64 v25, 0, v67, s11
	v_lshrrev_b32_e32 v67, 23, v68
	s_mov_b32 s11, exec_lo
	s_delay_alu instid0(VALU_DEP_2) | instskip(NEXT) | instid1(VALU_DEP_2)
	v_add_nc_u32_e32 v25, v25, v68
	v_xor_b32_e32 v67, 1, v67
	s_delay_alu instid0(VALU_DEP_2) | instskip(NEXT) | instid1(VALU_DEP_1)
	v_and_b32_e32 v23, 0xfffff, v25
	v_add_nc_u32_e32 v25, v23, v68
                                        ; implicit-def: $vgpr23
	s_delay_alu instid0(VALU_DEP_3)
	v_cmpx_ne_u32_e64 v66, v67
	s_xor_b32 s11, exec_lo, s11
; %bb.3402:                             ;   in Loop: Header=BB6_3373 Depth=2
	s_delay_alu instid0(VALU_DEP_2) | instskip(SKIP_2) | instid1(VALU_DEP_2)
	v_cmp_lt_u32_e32 vcc_lo, 0xffffff, v25
	v_sub_nc_u32_e32 v23, v66, v67
	v_cndmask_b32_e64 v66, 0, 1, vcc_lo
	v_add_co_ci_u32_e32 v23, vcc_lo, 0, v23, vcc_lo
	s_delay_alu instid0(VALU_DEP_2)
	v_lshrrev_b32_e32 v25, v66, v25
; %bb.3403:                             ;   in Loop: Header=BB6_3373 Depth=2
	s_and_not1_saveexec_b32 s11, s11
; %bb.3404:                             ;   in Loop: Header=BB6_3373 Depth=2
	s_delay_alu instid0(VALU_DEP_1)
	v_bfe_u32 v23, v25, 23, 1
; %bb.3405:                             ;   in Loop: Header=BB6_3373 Depth=2
	s_or_b32 exec_lo, exec_lo, s11
	v_lshrrev_b32_e32 v25, 20, v25
	s_delay_alu instid0(VALU_DEP_2) | instskip(SKIP_2) | instid1(VALU_DEP_2)
	v_cmp_gt_i32_e32 vcc_lo, 16, v23
	v_lshrrev_b32_e32 v16, 24, v16
	v_min_i32_e32 v66, 15, v23
	v_dual_cndmask_b32 v25, 7, v25 :: v_dual_and_b32 v16, 0x80, v16
	s_delay_alu instid0(VALU_DEP_1) | instskip(SKIP_1) | instid1(VALU_DEP_2)
	v_or_b32_e32 v23, v23, v25
	v_and_b32_e32 v67, 7, v25
	v_cmp_ne_u32_e32 vcc_lo, 0, v23
	v_lshlrev_b32_e32 v66, 3, v66
	s_delay_alu instid0(VALU_DEP_1) | instskip(NEXT) | instid1(VALU_DEP_1)
	v_or3_b32 v16, v66, v16, v67
	v_cndmask_b32_e32 v69, 0, v16, vcc_lo
.LBB6_3406:                             ;   in Loop: Header=BB6_3373 Depth=2
	s_or_b32 exec_lo, exec_lo, s26
.LBB6_3407:                             ;   in Loop: Header=BB6_3373 Depth=2
	s_delay_alu instid0(SALU_CYCLE_1)
	s_or_b32 exec_lo, exec_lo, s25
	flat_load_u8 v16, v[10:11] offset:64 slc dlc
	s_mov_b32 s11, 0
	s_mov_b32 s26, exec_lo
                                        ; implicit-def: $sgpr25
	s_waitcnt vmcnt(0) lgkmcnt(0)
	v_cmpx_lt_i16_e32 0x7f, v16
	s_xor_b32 s26, exec_lo, s26
	s_cbranch_execnz .LBB6_4288
; %bb.3408:                             ;   in Loop: Header=BB6_3373 Depth=2
	s_or_saveexec_b32 s26, s26
	v_mov_b32_e32 v23, s25
	s_xor_b32 exec_lo, exec_lo, s26
	s_cbranch_execnz .LBB6_4291
.LBB6_3409:                             ;   in Loop: Header=BB6_3373 Depth=2
	s_or_b32 exec_lo, exec_lo, s26
	s_and_saveexec_b32 s25, s11
	s_cbranch_execz .LBB6_3411
.LBB6_3410:                             ;   in Loop: Header=BB6_3373 Depth=2
	v_and_b32_e32 v23, 0xffff, v16
	s_delay_alu instid0(VALU_DEP_1) | instskip(NEXT) | instid1(VALU_DEP_1)
	v_and_b32_e32 v25, 7, v23
	v_clz_i32_u32_e32 v66, v25
	s_delay_alu instid0(VALU_DEP_1) | instskip(NEXT) | instid1(VALU_DEP_1)
	v_min_u32_e32 v66, 32, v66
	v_subrev_nc_u32_e32 v67, 28, v66
	v_sub_nc_u32_e32 v66, 29, v66
	s_delay_alu instid0(VALU_DEP_2) | instskip(SKIP_1) | instid1(VALU_DEP_2)
	v_lshlrev_b32_e32 v67, v67, v23
	v_bfe_u32 v23, v23, 3, 4
	v_and_b32_e32 v67, 7, v67
	s_delay_alu instid0(VALU_DEP_2) | instskip(SKIP_1) | instid1(VALU_DEP_1)
	v_cmp_eq_u32_e32 vcc_lo, 0, v23
	v_dual_cndmask_b32 v23, v23, v66 :: v_dual_lshlrev_b32 v16, 24, v16
	v_dual_cndmask_b32 v25, v25, v67 :: v_dual_and_b32 v16, 0x80000000, v16
	s_delay_alu instid0(VALU_DEP_2) | instskip(NEXT) | instid1(VALU_DEP_2)
	v_lshl_add_u32 v23, v23, 23, 0x3b800000
	v_lshlrev_b32_e32 v25, 20, v25
	s_delay_alu instid0(VALU_DEP_1)
	v_or3_b32 v23, v16, v23, v25
.LBB6_3411:                             ;   in Loop: Header=BB6_3373 Depth=2
	s_or_b32 exec_lo, exec_lo, s25
	s_delay_alu instid0(VALU_DEP_1) | instskip(SKIP_2) | instid1(VALU_DEP_2)
	v_mul_f32_e32 v16, v17, v23
	v_mov_b32_e32 v116, 0x80
	s_mov_b32 s25, exec_lo
	v_and_b32_e32 v23, 0x7f800000, v16
	s_delay_alu instid0(VALU_DEP_1)
	v_cmpx_ne_u32_e32 0x7f800000, v23
	s_cbranch_execz .LBB6_3419
; %bb.3412:                             ;   in Loop: Header=BB6_3373 Depth=2
	v_mov_b32_e32 v116, 0
	s_mov_b32 s26, exec_lo
	v_cmpx_ne_u32_e32 0, v16
	s_cbranch_execz .LBB6_3418
; %bb.3413:                             ;   in Loop: Header=BB6_3373 Depth=2
	v_bfe_u32 v23, v16, 23, 8
	s_delay_alu instid0(VALU_DEP_1) | instskip(SKIP_1) | instid1(VALU_DEP_2)
	v_sub_nc_u32_e32 v66, 0x78, v23
	v_cmp_gt_u32_e32 vcc_lo, 0x79, v23
	v_dual_cndmask_b32 v66, 0, v66 :: v_dual_and_b32 v25, 0x7fffff, v16
	s_delay_alu instid0(VALU_DEP_1) | instskip(SKIP_2) | instid1(VALU_DEP_4)
	v_or_b32_e32 v67, 0x800000, v25
	v_cmp_eq_u32_e32 vcc_lo, 0, v23
	v_add_nc_u32_e32 v23, 0xffffff89, v23
	v_cndmask_b32_e64 v66, v66, 0x77, vcc_lo
	s_delay_alu instid0(VALU_DEP_2) | instskip(SKIP_1) | instid1(VALU_DEP_3)
	v_cndmask_b32_e64 v23, v23, 0xffffff8a, vcc_lo
	v_cndmask_b32_e32 v25, v67, v25, vcc_lo
	v_lshl_add_u32 v67, 0x100000, v66, -1
	v_lshlrev_b32_e64 v71, v66, 0x80000
	s_delay_alu instid0(VALU_DEP_3) | instskip(SKIP_1) | instid1(VALU_DEP_4)
	v_lshrrev_b32_e32 v68, v66, v25
	v_add_nc_u32_e32 v66, v66, v23
	v_and_b32_e32 v25, v67, v25
	s_delay_alu instid0(VALU_DEP_3) | instskip(NEXT) | instid1(VALU_DEP_2)
	v_bfe_u32 v70, v68, 20, 1
	v_cmp_eq_u32_e64 s11, v25, v71
	s_delay_alu instid0(VALU_DEP_2) | instskip(NEXT) | instid1(VALU_DEP_1)
	v_add_nc_u32_e32 v67, -1, v70
	v_cndmask_b32_e64 v25, 0, v67, s11
	v_lshrrev_b32_e32 v67, 23, v68
	s_mov_b32 s11, exec_lo
	s_delay_alu instid0(VALU_DEP_2) | instskip(NEXT) | instid1(VALU_DEP_2)
	v_add_nc_u32_e32 v25, v25, v68
	v_xor_b32_e32 v67, 1, v67
	s_delay_alu instid0(VALU_DEP_2) | instskip(NEXT) | instid1(VALU_DEP_1)
	v_and_b32_e32 v23, 0xfffff, v25
	v_add_nc_u32_e32 v25, v23, v68
                                        ; implicit-def: $vgpr23
	s_delay_alu instid0(VALU_DEP_3)
	v_cmpx_ne_u32_e64 v66, v67
	s_xor_b32 s11, exec_lo, s11
; %bb.3414:                             ;   in Loop: Header=BB6_3373 Depth=2
	s_delay_alu instid0(VALU_DEP_2) | instskip(SKIP_2) | instid1(VALU_DEP_2)
	v_cmp_lt_u32_e32 vcc_lo, 0xffffff, v25
	v_sub_nc_u32_e32 v23, v66, v67
	v_cndmask_b32_e64 v66, 0, 1, vcc_lo
	v_add_co_ci_u32_e32 v23, vcc_lo, 0, v23, vcc_lo
	s_delay_alu instid0(VALU_DEP_2)
	v_lshrrev_b32_e32 v25, v66, v25
; %bb.3415:                             ;   in Loop: Header=BB6_3373 Depth=2
	s_and_not1_saveexec_b32 s11, s11
; %bb.3416:                             ;   in Loop: Header=BB6_3373 Depth=2
	s_delay_alu instid0(VALU_DEP_1)
	v_bfe_u32 v23, v25, 23, 1
; %bb.3417:                             ;   in Loop: Header=BB6_3373 Depth=2
	s_or_b32 exec_lo, exec_lo, s11
	v_lshrrev_b32_e32 v25, 20, v25
	s_delay_alu instid0(VALU_DEP_2) | instskip(SKIP_2) | instid1(VALU_DEP_2)
	v_cmp_gt_i32_e32 vcc_lo, 16, v23
	v_lshrrev_b32_e32 v16, 24, v16
	v_min_i32_e32 v66, 15, v23
	v_dual_cndmask_b32 v25, 7, v25 :: v_dual_and_b32 v16, 0x80, v16
	s_delay_alu instid0(VALU_DEP_2) | instskip(NEXT) | instid1(VALU_DEP_2)
	v_lshlrev_b32_e32 v66, 3, v66
	v_or_b32_e32 v23, v23, v25
	s_delay_alu instid0(VALU_DEP_1) | instskip(SKIP_1) | instid1(VALU_DEP_1)
	v_cmp_ne_u32_e32 vcc_lo, 0, v23
	v_and_b32_e32 v67, 7, v25
	v_or3_b32 v16, v66, v16, v67
	s_delay_alu instid0(VALU_DEP_1)
	v_cndmask_b32_e32 v116, 0, v16, vcc_lo
.LBB6_3418:                             ;   in Loop: Header=BB6_3373 Depth=2
	s_or_b32 exec_lo, exec_lo, s26
.LBB6_3419:                             ;   in Loop: Header=BB6_3373 Depth=2
	s_delay_alu instid0(SALU_CYCLE_1)
	s_or_b32 exec_lo, exec_lo, s25
	flat_load_u8 v16, v[10:11] offset:96 slc dlc
	s_mov_b32 s11, 0
	s_mov_b32 s26, exec_lo
                                        ; implicit-def: $sgpr25
	s_waitcnt vmcnt(0) lgkmcnt(0)
	v_cmpx_lt_i16_e32 0x7f, v16
	s_xor_b32 s26, exec_lo, s26
	s_cbranch_execnz .LBB6_4292
; %bb.3420:                             ;   in Loop: Header=BB6_3373 Depth=2
	s_or_saveexec_b32 s26, s26
	v_mov_b32_e32 v23, s25
	s_xor_b32 exec_lo, exec_lo, s26
	s_cbranch_execnz .LBB6_4295
.LBB6_3421:                             ;   in Loop: Header=BB6_3373 Depth=2
	s_or_b32 exec_lo, exec_lo, s26
	s_and_saveexec_b32 s25, s11
	s_cbranch_execz .LBB6_3423
.LBB6_3422:                             ;   in Loop: Header=BB6_3373 Depth=2
	v_and_b32_e32 v23, 0xffff, v16
	s_delay_alu instid0(VALU_DEP_1) | instskip(NEXT) | instid1(VALU_DEP_1)
	v_and_b32_e32 v25, 7, v23
	v_clz_i32_u32_e32 v66, v25
	s_delay_alu instid0(VALU_DEP_1) | instskip(NEXT) | instid1(VALU_DEP_1)
	v_min_u32_e32 v66, 32, v66
	v_subrev_nc_u32_e32 v67, 28, v66
	v_sub_nc_u32_e32 v66, 29, v66
	s_delay_alu instid0(VALU_DEP_2) | instskip(SKIP_1) | instid1(VALU_DEP_2)
	v_lshlrev_b32_e32 v67, v67, v23
	v_bfe_u32 v23, v23, 3, 4
	v_and_b32_e32 v67, 7, v67
	s_delay_alu instid0(VALU_DEP_2) | instskip(SKIP_1) | instid1(VALU_DEP_1)
	v_cmp_eq_u32_e32 vcc_lo, 0, v23
	v_dual_cndmask_b32 v23, v23, v66 :: v_dual_lshlrev_b32 v16, 24, v16
	v_dual_cndmask_b32 v25, v25, v67 :: v_dual_and_b32 v16, 0x80000000, v16
	s_delay_alu instid0(VALU_DEP_2) | instskip(NEXT) | instid1(VALU_DEP_2)
	v_lshl_add_u32 v23, v23, 23, 0x3b800000
	v_lshlrev_b32_e32 v25, 20, v25
	s_delay_alu instid0(VALU_DEP_1)
	v_or3_b32 v23, v16, v23, v25
.LBB6_3423:                             ;   in Loop: Header=BB6_3373 Depth=2
	s_or_b32 exec_lo, exec_lo, s25
	s_delay_alu instid0(VALU_DEP_1) | instskip(SKIP_1) | instid1(VALU_DEP_1)
	v_dual_mul_f32 v16, v17, v23 :: v_dual_mov_b32 v129, 0x80
	s_mov_b32 s25, exec_lo
	v_and_b32_e32 v23, 0x7f800000, v16
	s_delay_alu instid0(VALU_DEP_1)
	v_cmpx_ne_u32_e32 0x7f800000, v23
	s_cbranch_execz .LBB6_3431
; %bb.3424:                             ;   in Loop: Header=BB6_3373 Depth=2
	v_mov_b32_e32 v129, 0
	s_mov_b32 s26, exec_lo
	v_cmpx_ne_u32_e32 0, v16
	s_cbranch_execz .LBB6_3430
; %bb.3425:                             ;   in Loop: Header=BB6_3373 Depth=2
	v_bfe_u32 v23, v16, 23, 8
	s_delay_alu instid0(VALU_DEP_1) | instskip(SKIP_1) | instid1(VALU_DEP_2)
	v_sub_nc_u32_e32 v66, 0x78, v23
	v_cmp_gt_u32_e32 vcc_lo, 0x79, v23
	v_dual_cndmask_b32 v66, 0, v66 :: v_dual_and_b32 v25, 0x7fffff, v16
	s_delay_alu instid0(VALU_DEP_1) | instskip(SKIP_2) | instid1(VALU_DEP_4)
	v_or_b32_e32 v67, 0x800000, v25
	v_cmp_eq_u32_e32 vcc_lo, 0, v23
	v_add_nc_u32_e32 v23, 0xffffff89, v23
	v_cndmask_b32_e64 v66, v66, 0x77, vcc_lo
	s_delay_alu instid0(VALU_DEP_2) | instskip(SKIP_1) | instid1(VALU_DEP_3)
	v_cndmask_b32_e64 v23, v23, 0xffffff8a, vcc_lo
	v_cndmask_b32_e32 v25, v67, v25, vcc_lo
	v_lshl_add_u32 v67, 0x100000, v66, -1
	v_lshlrev_b32_e64 v71, v66, 0x80000
	s_delay_alu instid0(VALU_DEP_3) | instskip(SKIP_1) | instid1(VALU_DEP_4)
	v_lshrrev_b32_e32 v68, v66, v25
	v_add_nc_u32_e32 v66, v66, v23
	v_and_b32_e32 v25, v67, v25
	s_delay_alu instid0(VALU_DEP_3) | instskip(NEXT) | instid1(VALU_DEP_2)
	v_bfe_u32 v70, v68, 20, 1
	v_cmp_eq_u32_e64 s11, v25, v71
	s_delay_alu instid0(VALU_DEP_2) | instskip(NEXT) | instid1(VALU_DEP_1)
	v_add_nc_u32_e32 v67, -1, v70
	v_cndmask_b32_e64 v25, 0, v67, s11
	v_lshrrev_b32_e32 v67, 23, v68
	s_mov_b32 s11, exec_lo
	s_delay_alu instid0(VALU_DEP_2) | instskip(NEXT) | instid1(VALU_DEP_2)
	v_add_nc_u32_e32 v25, v25, v68
	v_xor_b32_e32 v67, 1, v67
	s_delay_alu instid0(VALU_DEP_2) | instskip(NEXT) | instid1(VALU_DEP_1)
	v_and_b32_e32 v23, 0xfffff, v25
	v_add_nc_u32_e32 v25, v23, v68
                                        ; implicit-def: $vgpr23
	s_delay_alu instid0(VALU_DEP_3)
	v_cmpx_ne_u32_e64 v66, v67
	s_xor_b32 s11, exec_lo, s11
; %bb.3426:                             ;   in Loop: Header=BB6_3373 Depth=2
	s_delay_alu instid0(VALU_DEP_2) | instskip(SKIP_2) | instid1(VALU_DEP_2)
	v_cmp_lt_u32_e32 vcc_lo, 0xffffff, v25
	v_sub_nc_u32_e32 v23, v66, v67
	v_cndmask_b32_e64 v66, 0, 1, vcc_lo
	v_add_co_ci_u32_e32 v23, vcc_lo, 0, v23, vcc_lo
	s_delay_alu instid0(VALU_DEP_2)
	v_lshrrev_b32_e32 v25, v66, v25
; %bb.3427:                             ;   in Loop: Header=BB6_3373 Depth=2
	s_and_not1_saveexec_b32 s11, s11
; %bb.3428:                             ;   in Loop: Header=BB6_3373 Depth=2
	s_delay_alu instid0(VALU_DEP_1)
	v_bfe_u32 v23, v25, 23, 1
; %bb.3429:                             ;   in Loop: Header=BB6_3373 Depth=2
	s_or_b32 exec_lo, exec_lo, s11
	v_lshrrev_b32_e32 v25, 20, v25
	s_delay_alu instid0(VALU_DEP_2) | instskip(SKIP_2) | instid1(VALU_DEP_2)
	v_cmp_gt_i32_e32 vcc_lo, 16, v23
	v_lshrrev_b32_e32 v16, 24, v16
	v_min_i32_e32 v66, 15, v23
	v_dual_cndmask_b32 v25, 7, v25 :: v_dual_and_b32 v16, 0x80, v16
	s_delay_alu instid0(VALU_DEP_1) | instskip(SKIP_1) | instid1(VALU_DEP_2)
	v_or_b32_e32 v23, v23, v25
	v_and_b32_e32 v67, 7, v25
	v_cmp_ne_u32_e32 vcc_lo, 0, v23
	v_lshlrev_b32_e32 v66, 3, v66
	s_delay_alu instid0(VALU_DEP_1) | instskip(NEXT) | instid1(VALU_DEP_1)
	v_or3_b32 v16, v66, v16, v67
	v_cndmask_b32_e32 v129, 0, v16, vcc_lo
.LBB6_3430:                             ;   in Loop: Header=BB6_3373 Depth=2
	s_or_b32 exec_lo, exec_lo, s26
.LBB6_3431:                             ;   in Loop: Header=BB6_3373 Depth=2
	s_delay_alu instid0(SALU_CYCLE_1)
	s_or_b32 exec_lo, exec_lo, s25
	flat_load_u8 v16, v[10:11] offset:128 slc dlc
	s_mov_b32 s11, 0
	s_mov_b32 s26, exec_lo
                                        ; implicit-def: $sgpr25
	s_waitcnt vmcnt(0) lgkmcnt(0)
	v_cmpx_lt_i16_e32 0x7f, v16
	s_xor_b32 s26, exec_lo, s26
	s_cbranch_execnz .LBB6_4296
; %bb.3432:                             ;   in Loop: Header=BB6_3373 Depth=2
	s_or_saveexec_b32 s26, s26
	v_mov_b32_e32 v23, s25
	s_xor_b32 exec_lo, exec_lo, s26
	s_cbranch_execnz .LBB6_4299
.LBB6_3433:                             ;   in Loop: Header=BB6_3373 Depth=2
	s_or_b32 exec_lo, exec_lo, s26
	s_and_saveexec_b32 s25, s11
	s_cbranch_execz .LBB6_3435
.LBB6_3434:                             ;   in Loop: Header=BB6_3373 Depth=2
	v_and_b32_e32 v23, 0xffff, v16
	s_delay_alu instid0(VALU_DEP_1) | instskip(NEXT) | instid1(VALU_DEP_1)
	v_and_b32_e32 v25, 7, v23
	v_clz_i32_u32_e32 v66, v25
	s_delay_alu instid0(VALU_DEP_1) | instskip(NEXT) | instid1(VALU_DEP_1)
	v_min_u32_e32 v66, 32, v66
	v_subrev_nc_u32_e32 v67, 28, v66
	v_sub_nc_u32_e32 v66, 29, v66
	s_delay_alu instid0(VALU_DEP_2) | instskip(SKIP_1) | instid1(VALU_DEP_2)
	v_lshlrev_b32_e32 v67, v67, v23
	v_bfe_u32 v23, v23, 3, 4
	v_and_b32_e32 v67, 7, v67
	s_delay_alu instid0(VALU_DEP_2) | instskip(SKIP_1) | instid1(VALU_DEP_1)
	v_cmp_eq_u32_e32 vcc_lo, 0, v23
	v_dual_cndmask_b32 v23, v23, v66 :: v_dual_lshlrev_b32 v16, 24, v16
	v_dual_cndmask_b32 v25, v25, v67 :: v_dual_and_b32 v16, 0x80000000, v16
	s_delay_alu instid0(VALU_DEP_2) | instskip(NEXT) | instid1(VALU_DEP_2)
	v_lshl_add_u32 v23, v23, 23, 0x3b800000
	v_lshlrev_b32_e32 v25, 20, v25
	s_delay_alu instid0(VALU_DEP_1)
	v_or3_b32 v23, v16, v23, v25
.LBB6_3435:                             ;   in Loop: Header=BB6_3373 Depth=2
	s_or_b32 exec_lo, exec_lo, s25
	s_delay_alu instid0(VALU_DEP_1) | instskip(SKIP_2) | instid1(VALU_DEP_2)
	v_mul_f32_e32 v16, v17, v23
	v_mov_b32_e32 v134, 0x80
	s_mov_b32 s25, exec_lo
	v_and_b32_e32 v23, 0x7f800000, v16
	s_delay_alu instid0(VALU_DEP_1)
	v_cmpx_ne_u32_e32 0x7f800000, v23
	s_cbranch_execz .LBB6_3443
; %bb.3436:                             ;   in Loop: Header=BB6_3373 Depth=2
	v_mov_b32_e32 v134, 0
	s_mov_b32 s26, exec_lo
	v_cmpx_ne_u32_e32 0, v16
	s_cbranch_execz .LBB6_3442
; %bb.3437:                             ;   in Loop: Header=BB6_3373 Depth=2
	v_bfe_u32 v23, v16, 23, 8
	s_delay_alu instid0(VALU_DEP_1) | instskip(SKIP_1) | instid1(VALU_DEP_2)
	v_sub_nc_u32_e32 v66, 0x78, v23
	v_cmp_gt_u32_e32 vcc_lo, 0x79, v23
	v_dual_cndmask_b32 v66, 0, v66 :: v_dual_and_b32 v25, 0x7fffff, v16
	s_delay_alu instid0(VALU_DEP_1) | instskip(SKIP_2) | instid1(VALU_DEP_4)
	v_or_b32_e32 v67, 0x800000, v25
	v_cmp_eq_u32_e32 vcc_lo, 0, v23
	v_add_nc_u32_e32 v23, 0xffffff89, v23
	v_cndmask_b32_e64 v66, v66, 0x77, vcc_lo
	s_delay_alu instid0(VALU_DEP_2) | instskip(SKIP_1) | instid1(VALU_DEP_3)
	v_cndmask_b32_e64 v23, v23, 0xffffff8a, vcc_lo
	v_cndmask_b32_e32 v25, v67, v25, vcc_lo
	v_lshl_add_u32 v67, 0x100000, v66, -1
	v_lshlrev_b32_e64 v71, v66, 0x80000
	s_delay_alu instid0(VALU_DEP_3) | instskip(SKIP_1) | instid1(VALU_DEP_4)
	v_lshrrev_b32_e32 v68, v66, v25
	v_add_nc_u32_e32 v66, v66, v23
	v_and_b32_e32 v25, v67, v25
	s_delay_alu instid0(VALU_DEP_3) | instskip(NEXT) | instid1(VALU_DEP_2)
	v_bfe_u32 v70, v68, 20, 1
	v_cmp_eq_u32_e64 s11, v25, v71
	s_delay_alu instid0(VALU_DEP_2) | instskip(NEXT) | instid1(VALU_DEP_1)
	v_add_nc_u32_e32 v67, -1, v70
	v_cndmask_b32_e64 v25, 0, v67, s11
	v_lshrrev_b32_e32 v67, 23, v68
	s_mov_b32 s11, exec_lo
	s_delay_alu instid0(VALU_DEP_2) | instskip(NEXT) | instid1(VALU_DEP_2)
	v_add_nc_u32_e32 v25, v25, v68
	v_xor_b32_e32 v67, 1, v67
	s_delay_alu instid0(VALU_DEP_2) | instskip(NEXT) | instid1(VALU_DEP_1)
	v_and_b32_e32 v23, 0xfffff, v25
	v_add_nc_u32_e32 v25, v23, v68
                                        ; implicit-def: $vgpr23
	s_delay_alu instid0(VALU_DEP_3)
	v_cmpx_ne_u32_e64 v66, v67
	s_xor_b32 s11, exec_lo, s11
; %bb.3438:                             ;   in Loop: Header=BB6_3373 Depth=2
	s_delay_alu instid0(VALU_DEP_2) | instskip(SKIP_2) | instid1(VALU_DEP_2)
	v_cmp_lt_u32_e32 vcc_lo, 0xffffff, v25
	v_sub_nc_u32_e32 v23, v66, v67
	v_cndmask_b32_e64 v66, 0, 1, vcc_lo
	v_add_co_ci_u32_e32 v23, vcc_lo, 0, v23, vcc_lo
	s_delay_alu instid0(VALU_DEP_2)
	v_lshrrev_b32_e32 v25, v66, v25
; %bb.3439:                             ;   in Loop: Header=BB6_3373 Depth=2
	s_and_not1_saveexec_b32 s11, s11
; %bb.3440:                             ;   in Loop: Header=BB6_3373 Depth=2
	s_delay_alu instid0(VALU_DEP_1)
	v_bfe_u32 v23, v25, 23, 1
; %bb.3441:                             ;   in Loop: Header=BB6_3373 Depth=2
	s_or_b32 exec_lo, exec_lo, s11
	v_lshrrev_b32_e32 v25, 20, v25
	s_delay_alu instid0(VALU_DEP_2) | instskip(SKIP_2) | instid1(VALU_DEP_2)
	v_cmp_gt_i32_e32 vcc_lo, 16, v23
	v_lshrrev_b32_e32 v16, 24, v16
	v_min_i32_e32 v66, 15, v23
	v_dual_cndmask_b32 v25, 7, v25 :: v_dual_and_b32 v16, 0x80, v16
	s_delay_alu instid0(VALU_DEP_2) | instskip(NEXT) | instid1(VALU_DEP_2)
	v_lshlrev_b32_e32 v66, 3, v66
	v_or_b32_e32 v23, v23, v25
	s_delay_alu instid0(VALU_DEP_1) | instskip(SKIP_1) | instid1(VALU_DEP_1)
	v_cmp_ne_u32_e32 vcc_lo, 0, v23
	v_and_b32_e32 v67, 7, v25
	v_or3_b32 v16, v66, v16, v67
	s_delay_alu instid0(VALU_DEP_1)
	v_cndmask_b32_e32 v134, 0, v16, vcc_lo
.LBB6_3442:                             ;   in Loop: Header=BB6_3373 Depth=2
	s_or_b32 exec_lo, exec_lo, s26
.LBB6_3443:                             ;   in Loop: Header=BB6_3373 Depth=2
	s_delay_alu instid0(SALU_CYCLE_1)
	s_or_b32 exec_lo, exec_lo, s25
	flat_load_u8 v16, v[10:11] offset:160 slc dlc
	s_mov_b32 s11, 0
	s_mov_b32 s26, exec_lo
                                        ; implicit-def: $sgpr25
	s_waitcnt vmcnt(0) lgkmcnt(0)
	v_cmpx_lt_i16_e32 0x7f, v16
	s_xor_b32 s26, exec_lo, s26
	s_cbranch_execnz .LBB6_4300
; %bb.3444:                             ;   in Loop: Header=BB6_3373 Depth=2
	s_or_saveexec_b32 s26, s26
	v_mov_b32_e32 v23, s25
	s_xor_b32 exec_lo, exec_lo, s26
	s_cbranch_execnz .LBB6_4303
.LBB6_3445:                             ;   in Loop: Header=BB6_3373 Depth=2
	s_or_b32 exec_lo, exec_lo, s26
	s_and_saveexec_b32 s25, s11
	s_cbranch_execz .LBB6_3447
.LBB6_3446:                             ;   in Loop: Header=BB6_3373 Depth=2
	v_and_b32_e32 v23, 0xffff, v16
	s_delay_alu instid0(VALU_DEP_1) | instskip(NEXT) | instid1(VALU_DEP_1)
	v_and_b32_e32 v25, 7, v23
	v_clz_i32_u32_e32 v66, v25
	s_delay_alu instid0(VALU_DEP_1) | instskip(NEXT) | instid1(VALU_DEP_1)
	v_min_u32_e32 v66, 32, v66
	v_subrev_nc_u32_e32 v67, 28, v66
	v_sub_nc_u32_e32 v66, 29, v66
	s_delay_alu instid0(VALU_DEP_2) | instskip(SKIP_1) | instid1(VALU_DEP_2)
	v_lshlrev_b32_e32 v67, v67, v23
	v_bfe_u32 v23, v23, 3, 4
	v_and_b32_e32 v67, 7, v67
	s_delay_alu instid0(VALU_DEP_2) | instskip(SKIP_1) | instid1(VALU_DEP_1)
	v_cmp_eq_u32_e32 vcc_lo, 0, v23
	v_dual_cndmask_b32 v23, v23, v66 :: v_dual_lshlrev_b32 v16, 24, v16
	v_dual_cndmask_b32 v25, v25, v67 :: v_dual_and_b32 v16, 0x80000000, v16
	s_delay_alu instid0(VALU_DEP_2) | instskip(NEXT) | instid1(VALU_DEP_2)
	v_lshl_add_u32 v23, v23, 23, 0x3b800000
	v_lshlrev_b32_e32 v25, 20, v25
	s_delay_alu instid0(VALU_DEP_1)
	v_or3_b32 v23, v16, v23, v25
.LBB6_3447:                             ;   in Loop: Header=BB6_3373 Depth=2
	s_or_b32 exec_lo, exec_lo, s25
	s_delay_alu instid0(VALU_DEP_1) | instskip(SKIP_1) | instid1(VALU_DEP_1)
	v_dual_mul_f32 v16, v17, v23 :: v_dual_mov_b32 v147, 0x80
	s_mov_b32 s25, exec_lo
	v_and_b32_e32 v23, 0x7f800000, v16
	s_delay_alu instid0(VALU_DEP_1)
	v_cmpx_ne_u32_e32 0x7f800000, v23
	s_cbranch_execz .LBB6_3455
; %bb.3448:                             ;   in Loop: Header=BB6_3373 Depth=2
	v_mov_b32_e32 v147, 0
	s_mov_b32 s26, exec_lo
	v_cmpx_ne_u32_e32 0, v16
	s_cbranch_execz .LBB6_3454
; %bb.3449:                             ;   in Loop: Header=BB6_3373 Depth=2
	v_bfe_u32 v23, v16, 23, 8
	s_delay_alu instid0(VALU_DEP_1) | instskip(SKIP_1) | instid1(VALU_DEP_2)
	v_sub_nc_u32_e32 v66, 0x78, v23
	v_cmp_gt_u32_e32 vcc_lo, 0x79, v23
	v_dual_cndmask_b32 v66, 0, v66 :: v_dual_and_b32 v25, 0x7fffff, v16
	s_delay_alu instid0(VALU_DEP_1) | instskip(SKIP_2) | instid1(VALU_DEP_4)
	v_or_b32_e32 v67, 0x800000, v25
	v_cmp_eq_u32_e32 vcc_lo, 0, v23
	v_add_nc_u32_e32 v23, 0xffffff89, v23
	v_cndmask_b32_e64 v66, v66, 0x77, vcc_lo
	s_delay_alu instid0(VALU_DEP_2) | instskip(SKIP_1) | instid1(VALU_DEP_3)
	v_cndmask_b32_e64 v23, v23, 0xffffff8a, vcc_lo
	v_cndmask_b32_e32 v25, v67, v25, vcc_lo
	v_lshl_add_u32 v67, 0x100000, v66, -1
	v_lshlrev_b32_e64 v71, v66, 0x80000
	s_delay_alu instid0(VALU_DEP_3) | instskip(SKIP_1) | instid1(VALU_DEP_4)
	v_lshrrev_b32_e32 v68, v66, v25
	v_add_nc_u32_e32 v66, v66, v23
	v_and_b32_e32 v25, v67, v25
	s_delay_alu instid0(VALU_DEP_3) | instskip(NEXT) | instid1(VALU_DEP_2)
	v_bfe_u32 v70, v68, 20, 1
	v_cmp_eq_u32_e64 s11, v25, v71
	s_delay_alu instid0(VALU_DEP_2) | instskip(NEXT) | instid1(VALU_DEP_1)
	v_add_nc_u32_e32 v67, -1, v70
	v_cndmask_b32_e64 v25, 0, v67, s11
	v_lshrrev_b32_e32 v67, 23, v68
	s_mov_b32 s11, exec_lo
	s_delay_alu instid0(VALU_DEP_2) | instskip(NEXT) | instid1(VALU_DEP_2)
	v_add_nc_u32_e32 v25, v25, v68
	v_xor_b32_e32 v67, 1, v67
	s_delay_alu instid0(VALU_DEP_2) | instskip(NEXT) | instid1(VALU_DEP_1)
	v_and_b32_e32 v23, 0xfffff, v25
	v_add_nc_u32_e32 v25, v23, v68
                                        ; implicit-def: $vgpr23
	s_delay_alu instid0(VALU_DEP_3)
	v_cmpx_ne_u32_e64 v66, v67
	s_xor_b32 s11, exec_lo, s11
; %bb.3450:                             ;   in Loop: Header=BB6_3373 Depth=2
	s_delay_alu instid0(VALU_DEP_2) | instskip(SKIP_2) | instid1(VALU_DEP_2)
	v_cmp_lt_u32_e32 vcc_lo, 0xffffff, v25
	v_sub_nc_u32_e32 v23, v66, v67
	v_cndmask_b32_e64 v66, 0, 1, vcc_lo
	v_add_co_ci_u32_e32 v23, vcc_lo, 0, v23, vcc_lo
	s_delay_alu instid0(VALU_DEP_2)
	v_lshrrev_b32_e32 v25, v66, v25
; %bb.3451:                             ;   in Loop: Header=BB6_3373 Depth=2
	s_and_not1_saveexec_b32 s11, s11
; %bb.3452:                             ;   in Loop: Header=BB6_3373 Depth=2
	s_delay_alu instid0(VALU_DEP_1)
	v_bfe_u32 v23, v25, 23, 1
; %bb.3453:                             ;   in Loop: Header=BB6_3373 Depth=2
	s_or_b32 exec_lo, exec_lo, s11
	v_lshrrev_b32_e32 v25, 20, v25
	s_delay_alu instid0(VALU_DEP_2) | instskip(SKIP_2) | instid1(VALU_DEP_2)
	v_cmp_gt_i32_e32 vcc_lo, 16, v23
	v_lshrrev_b32_e32 v16, 24, v16
	v_min_i32_e32 v66, 15, v23
	v_dual_cndmask_b32 v25, 7, v25 :: v_dual_and_b32 v16, 0x80, v16
	s_delay_alu instid0(VALU_DEP_1) | instskip(SKIP_1) | instid1(VALU_DEP_2)
	v_or_b32_e32 v23, v23, v25
	v_and_b32_e32 v67, 7, v25
	v_cmp_ne_u32_e32 vcc_lo, 0, v23
	v_lshlrev_b32_e32 v66, 3, v66
	s_delay_alu instid0(VALU_DEP_1) | instskip(NEXT) | instid1(VALU_DEP_1)
	v_or3_b32 v16, v66, v16, v67
	v_cndmask_b32_e32 v147, 0, v16, vcc_lo
.LBB6_3454:                             ;   in Loop: Header=BB6_3373 Depth=2
	s_or_b32 exec_lo, exec_lo, s26
.LBB6_3455:                             ;   in Loop: Header=BB6_3373 Depth=2
	s_delay_alu instid0(SALU_CYCLE_1)
	s_or_b32 exec_lo, exec_lo, s25
	flat_load_u8 v16, v[10:11] offset:192 slc dlc
	s_mov_b32 s11, 0
	s_mov_b32 s26, exec_lo
                                        ; implicit-def: $sgpr25
	s_waitcnt vmcnt(0) lgkmcnt(0)
	v_cmpx_lt_i16_e32 0x7f, v16
	s_xor_b32 s26, exec_lo, s26
	s_cbranch_execnz .LBB6_4304
; %bb.3456:                             ;   in Loop: Header=BB6_3373 Depth=2
	s_or_saveexec_b32 s26, s26
	v_mov_b32_e32 v23, s25
	s_xor_b32 exec_lo, exec_lo, s26
	s_cbranch_execnz .LBB6_4307
.LBB6_3457:                             ;   in Loop: Header=BB6_3373 Depth=2
	s_or_b32 exec_lo, exec_lo, s26
	s_and_saveexec_b32 s25, s11
	s_cbranch_execz .LBB6_3459
.LBB6_3458:                             ;   in Loop: Header=BB6_3373 Depth=2
	v_and_b32_e32 v23, 0xffff, v16
	s_delay_alu instid0(VALU_DEP_1) | instskip(NEXT) | instid1(VALU_DEP_1)
	v_and_b32_e32 v25, 7, v23
	v_clz_i32_u32_e32 v66, v25
	s_delay_alu instid0(VALU_DEP_1) | instskip(NEXT) | instid1(VALU_DEP_1)
	v_min_u32_e32 v66, 32, v66
	v_subrev_nc_u32_e32 v67, 28, v66
	v_sub_nc_u32_e32 v66, 29, v66
	s_delay_alu instid0(VALU_DEP_2) | instskip(SKIP_1) | instid1(VALU_DEP_2)
	v_lshlrev_b32_e32 v67, v67, v23
	v_bfe_u32 v23, v23, 3, 4
	v_and_b32_e32 v67, 7, v67
	s_delay_alu instid0(VALU_DEP_2) | instskip(SKIP_1) | instid1(VALU_DEP_1)
	v_cmp_eq_u32_e32 vcc_lo, 0, v23
	v_dual_cndmask_b32 v23, v23, v66 :: v_dual_lshlrev_b32 v16, 24, v16
	v_dual_cndmask_b32 v25, v25, v67 :: v_dual_and_b32 v16, 0x80000000, v16
	s_delay_alu instid0(VALU_DEP_2) | instskip(NEXT) | instid1(VALU_DEP_2)
	v_lshl_add_u32 v23, v23, 23, 0x3b800000
	v_lshlrev_b32_e32 v25, 20, v25
	s_delay_alu instid0(VALU_DEP_1)
	v_or3_b32 v23, v16, v23, v25
.LBB6_3459:                             ;   in Loop: Header=BB6_3373 Depth=2
	s_or_b32 exec_lo, exec_lo, s25
	s_delay_alu instid0(VALU_DEP_1) | instskip(SKIP_2) | instid1(VALU_DEP_2)
	v_mul_f32_e32 v16, v17, v23
	v_mov_b32_e32 v160, 0x80
	s_mov_b32 s25, exec_lo
	v_and_b32_e32 v23, 0x7f800000, v16
	s_delay_alu instid0(VALU_DEP_1)
	v_cmpx_ne_u32_e32 0x7f800000, v23
	s_cbranch_execz .LBB6_3467
; %bb.3460:                             ;   in Loop: Header=BB6_3373 Depth=2
	v_mov_b32_e32 v160, 0
	s_mov_b32 s26, exec_lo
	v_cmpx_ne_u32_e32 0, v16
	s_cbranch_execz .LBB6_3466
; %bb.3461:                             ;   in Loop: Header=BB6_3373 Depth=2
	v_bfe_u32 v23, v16, 23, 8
	s_delay_alu instid0(VALU_DEP_1) | instskip(SKIP_1) | instid1(VALU_DEP_2)
	v_sub_nc_u32_e32 v66, 0x78, v23
	v_cmp_gt_u32_e32 vcc_lo, 0x79, v23
	v_dual_cndmask_b32 v66, 0, v66 :: v_dual_and_b32 v25, 0x7fffff, v16
	s_delay_alu instid0(VALU_DEP_1) | instskip(SKIP_2) | instid1(VALU_DEP_4)
	v_or_b32_e32 v67, 0x800000, v25
	v_cmp_eq_u32_e32 vcc_lo, 0, v23
	v_add_nc_u32_e32 v23, 0xffffff89, v23
	v_cndmask_b32_e64 v66, v66, 0x77, vcc_lo
	s_delay_alu instid0(VALU_DEP_2) | instskip(SKIP_1) | instid1(VALU_DEP_3)
	v_cndmask_b32_e64 v23, v23, 0xffffff8a, vcc_lo
	v_cndmask_b32_e32 v25, v67, v25, vcc_lo
	v_lshl_add_u32 v67, 0x100000, v66, -1
	v_lshlrev_b32_e64 v71, v66, 0x80000
	s_delay_alu instid0(VALU_DEP_3) | instskip(SKIP_1) | instid1(VALU_DEP_4)
	v_lshrrev_b32_e32 v68, v66, v25
	v_add_nc_u32_e32 v66, v66, v23
	v_and_b32_e32 v25, v67, v25
	s_delay_alu instid0(VALU_DEP_3) | instskip(NEXT) | instid1(VALU_DEP_2)
	v_bfe_u32 v70, v68, 20, 1
	v_cmp_eq_u32_e64 s11, v25, v71
	s_delay_alu instid0(VALU_DEP_2) | instskip(NEXT) | instid1(VALU_DEP_1)
	v_add_nc_u32_e32 v67, -1, v70
	v_cndmask_b32_e64 v25, 0, v67, s11
	v_lshrrev_b32_e32 v67, 23, v68
	s_mov_b32 s11, exec_lo
	s_delay_alu instid0(VALU_DEP_2) | instskip(NEXT) | instid1(VALU_DEP_2)
	v_add_nc_u32_e32 v25, v25, v68
	v_xor_b32_e32 v67, 1, v67
	s_delay_alu instid0(VALU_DEP_2) | instskip(NEXT) | instid1(VALU_DEP_1)
	v_and_b32_e32 v23, 0xfffff, v25
	v_add_nc_u32_e32 v25, v23, v68
                                        ; implicit-def: $vgpr23
	s_delay_alu instid0(VALU_DEP_3)
	v_cmpx_ne_u32_e64 v66, v67
	s_xor_b32 s11, exec_lo, s11
; %bb.3462:                             ;   in Loop: Header=BB6_3373 Depth=2
	s_delay_alu instid0(VALU_DEP_2) | instskip(SKIP_2) | instid1(VALU_DEP_2)
	v_cmp_lt_u32_e32 vcc_lo, 0xffffff, v25
	v_sub_nc_u32_e32 v23, v66, v67
	v_cndmask_b32_e64 v66, 0, 1, vcc_lo
	v_add_co_ci_u32_e32 v23, vcc_lo, 0, v23, vcc_lo
	s_delay_alu instid0(VALU_DEP_2)
	v_lshrrev_b32_e32 v25, v66, v25
; %bb.3463:                             ;   in Loop: Header=BB6_3373 Depth=2
	s_and_not1_saveexec_b32 s11, s11
; %bb.3464:                             ;   in Loop: Header=BB6_3373 Depth=2
	s_delay_alu instid0(VALU_DEP_1)
	v_bfe_u32 v23, v25, 23, 1
; %bb.3465:                             ;   in Loop: Header=BB6_3373 Depth=2
	s_or_b32 exec_lo, exec_lo, s11
	v_lshrrev_b32_e32 v25, 20, v25
	s_delay_alu instid0(VALU_DEP_2) | instskip(SKIP_2) | instid1(VALU_DEP_2)
	v_cmp_gt_i32_e32 vcc_lo, 16, v23
	v_lshrrev_b32_e32 v16, 24, v16
	v_min_i32_e32 v66, 15, v23
	v_dual_cndmask_b32 v25, 7, v25 :: v_dual_and_b32 v16, 0x80, v16
	s_delay_alu instid0(VALU_DEP_2) | instskip(NEXT) | instid1(VALU_DEP_2)
	v_lshlrev_b32_e32 v66, 3, v66
	v_or_b32_e32 v23, v23, v25
	s_delay_alu instid0(VALU_DEP_1) | instskip(SKIP_1) | instid1(VALU_DEP_1)
	v_cmp_ne_u32_e32 vcc_lo, 0, v23
	v_and_b32_e32 v67, 7, v25
	v_or3_b32 v16, v66, v16, v67
	s_delay_alu instid0(VALU_DEP_1)
	v_cndmask_b32_e32 v160, 0, v16, vcc_lo
.LBB6_3466:                             ;   in Loop: Header=BB6_3373 Depth=2
	s_or_b32 exec_lo, exec_lo, s26
.LBB6_3467:                             ;   in Loop: Header=BB6_3373 Depth=2
	s_delay_alu instid0(SALU_CYCLE_1)
	s_or_b32 exec_lo, exec_lo, s25
	flat_load_u8 v16, v[10:11] offset:224 slc dlc
	s_mov_b32 s11, 0
	s_mov_b32 s26, exec_lo
                                        ; implicit-def: $sgpr25
	s_waitcnt vmcnt(0) lgkmcnt(0)
	v_cmpx_lt_i16_e32 0x7f, v16
	s_xor_b32 s26, exec_lo, s26
	s_cbranch_execnz .LBB6_4308
; %bb.3468:                             ;   in Loop: Header=BB6_3373 Depth=2
	s_or_saveexec_b32 s26, s26
	v_mov_b32_e32 v23, s25
	s_xor_b32 exec_lo, exec_lo, s26
	s_cbranch_execnz .LBB6_4311
.LBB6_3469:                             ;   in Loop: Header=BB6_3373 Depth=2
	s_or_b32 exec_lo, exec_lo, s26
	s_and_saveexec_b32 s25, s11
	s_cbranch_execz .LBB6_3471
.LBB6_3470:                             ;   in Loop: Header=BB6_3373 Depth=2
	v_and_b32_e32 v23, 0xffff, v16
	s_delay_alu instid0(VALU_DEP_1) | instskip(NEXT) | instid1(VALU_DEP_1)
	v_and_b32_e32 v25, 7, v23
	v_clz_i32_u32_e32 v66, v25
	s_delay_alu instid0(VALU_DEP_1) | instskip(NEXT) | instid1(VALU_DEP_1)
	v_min_u32_e32 v66, 32, v66
	v_subrev_nc_u32_e32 v67, 28, v66
	v_sub_nc_u32_e32 v66, 29, v66
	s_delay_alu instid0(VALU_DEP_2) | instskip(SKIP_1) | instid1(VALU_DEP_2)
	v_lshlrev_b32_e32 v67, v67, v23
	v_bfe_u32 v23, v23, 3, 4
	v_and_b32_e32 v67, 7, v67
	s_delay_alu instid0(VALU_DEP_2) | instskip(SKIP_1) | instid1(VALU_DEP_1)
	v_cmp_eq_u32_e32 vcc_lo, 0, v23
	v_dual_cndmask_b32 v23, v23, v66 :: v_dual_lshlrev_b32 v16, 24, v16
	v_dual_cndmask_b32 v25, v25, v67 :: v_dual_and_b32 v16, 0x80000000, v16
	s_delay_alu instid0(VALU_DEP_2) | instskip(NEXT) | instid1(VALU_DEP_2)
	v_lshl_add_u32 v23, v23, 23, 0x3b800000
	v_lshlrev_b32_e32 v25, 20, v25
	s_delay_alu instid0(VALU_DEP_1)
	v_or3_b32 v23, v16, v23, v25
.LBB6_3471:                             ;   in Loop: Header=BB6_3373 Depth=2
	s_or_b32 exec_lo, exec_lo, s25
	s_delay_alu instid0(VALU_DEP_1) | instskip(SKIP_1) | instid1(VALU_DEP_1)
	v_dual_mul_f32 v16, v17, v23 :: v_dual_mov_b32 v165, 0x80
	s_mov_b32 s25, exec_lo
	v_and_b32_e32 v23, 0x7f800000, v16
	s_delay_alu instid0(VALU_DEP_1)
	v_cmpx_ne_u32_e32 0x7f800000, v23
	s_cbranch_execz .LBB6_3479
; %bb.3472:                             ;   in Loop: Header=BB6_3373 Depth=2
	v_mov_b32_e32 v165, 0
	s_mov_b32 s26, exec_lo
	v_cmpx_ne_u32_e32 0, v16
	s_cbranch_execz .LBB6_3478
; %bb.3473:                             ;   in Loop: Header=BB6_3373 Depth=2
	v_bfe_u32 v23, v16, 23, 8
	s_delay_alu instid0(VALU_DEP_1) | instskip(SKIP_1) | instid1(VALU_DEP_2)
	v_sub_nc_u32_e32 v66, 0x78, v23
	v_cmp_gt_u32_e32 vcc_lo, 0x79, v23
	v_dual_cndmask_b32 v66, 0, v66 :: v_dual_and_b32 v25, 0x7fffff, v16
	s_delay_alu instid0(VALU_DEP_1) | instskip(SKIP_2) | instid1(VALU_DEP_4)
	v_or_b32_e32 v67, 0x800000, v25
	v_cmp_eq_u32_e32 vcc_lo, 0, v23
	v_add_nc_u32_e32 v23, 0xffffff89, v23
	v_cndmask_b32_e64 v66, v66, 0x77, vcc_lo
	s_delay_alu instid0(VALU_DEP_2) | instskip(SKIP_1) | instid1(VALU_DEP_3)
	v_cndmask_b32_e64 v23, v23, 0xffffff8a, vcc_lo
	v_cndmask_b32_e32 v25, v67, v25, vcc_lo
	v_lshl_add_u32 v67, 0x100000, v66, -1
	v_lshlrev_b32_e64 v71, v66, 0x80000
	s_delay_alu instid0(VALU_DEP_3) | instskip(SKIP_1) | instid1(VALU_DEP_4)
	v_lshrrev_b32_e32 v68, v66, v25
	v_add_nc_u32_e32 v66, v66, v23
	v_and_b32_e32 v25, v67, v25
	s_delay_alu instid0(VALU_DEP_3) | instskip(NEXT) | instid1(VALU_DEP_2)
	v_bfe_u32 v70, v68, 20, 1
	v_cmp_eq_u32_e64 s11, v25, v71
	s_delay_alu instid0(VALU_DEP_2) | instskip(NEXT) | instid1(VALU_DEP_1)
	v_add_nc_u32_e32 v67, -1, v70
	v_cndmask_b32_e64 v25, 0, v67, s11
	v_lshrrev_b32_e32 v67, 23, v68
	s_mov_b32 s11, exec_lo
	s_delay_alu instid0(VALU_DEP_2) | instskip(NEXT) | instid1(VALU_DEP_2)
	v_add_nc_u32_e32 v25, v25, v68
	v_xor_b32_e32 v67, 1, v67
	s_delay_alu instid0(VALU_DEP_2) | instskip(NEXT) | instid1(VALU_DEP_1)
	v_and_b32_e32 v23, 0xfffff, v25
	v_add_nc_u32_e32 v25, v23, v68
                                        ; implicit-def: $vgpr23
	s_delay_alu instid0(VALU_DEP_3)
	v_cmpx_ne_u32_e64 v66, v67
	s_xor_b32 s11, exec_lo, s11
; %bb.3474:                             ;   in Loop: Header=BB6_3373 Depth=2
	s_delay_alu instid0(VALU_DEP_2) | instskip(SKIP_2) | instid1(VALU_DEP_2)
	v_cmp_lt_u32_e32 vcc_lo, 0xffffff, v25
	v_sub_nc_u32_e32 v23, v66, v67
	v_cndmask_b32_e64 v66, 0, 1, vcc_lo
	v_add_co_ci_u32_e32 v23, vcc_lo, 0, v23, vcc_lo
	s_delay_alu instid0(VALU_DEP_2)
	v_lshrrev_b32_e32 v25, v66, v25
; %bb.3475:                             ;   in Loop: Header=BB6_3373 Depth=2
	s_and_not1_saveexec_b32 s11, s11
; %bb.3476:                             ;   in Loop: Header=BB6_3373 Depth=2
	s_delay_alu instid0(VALU_DEP_1)
	v_bfe_u32 v23, v25, 23, 1
; %bb.3477:                             ;   in Loop: Header=BB6_3373 Depth=2
	s_or_b32 exec_lo, exec_lo, s11
	v_lshrrev_b32_e32 v25, 20, v25
	s_delay_alu instid0(VALU_DEP_2) | instskip(SKIP_2) | instid1(VALU_DEP_2)
	v_cmp_gt_i32_e32 vcc_lo, 16, v23
	v_lshrrev_b32_e32 v16, 24, v16
	v_min_i32_e32 v66, 15, v23
	v_dual_cndmask_b32 v25, 7, v25 :: v_dual_and_b32 v16, 0x80, v16
	s_delay_alu instid0(VALU_DEP_1) | instskip(SKIP_1) | instid1(VALU_DEP_2)
	v_or_b32_e32 v23, v23, v25
	v_and_b32_e32 v67, 7, v25
	v_cmp_ne_u32_e32 vcc_lo, 0, v23
	v_lshlrev_b32_e32 v66, 3, v66
	s_delay_alu instid0(VALU_DEP_1) | instskip(NEXT) | instid1(VALU_DEP_1)
	v_or3_b32 v16, v66, v16, v67
	v_cndmask_b32_e32 v165, 0, v16, vcc_lo
.LBB6_3478:                             ;   in Loop: Header=BB6_3373 Depth=2
	s_or_b32 exec_lo, exec_lo, s26
.LBB6_3479:                             ;   in Loop: Header=BB6_3373 Depth=2
	s_delay_alu instid0(SALU_CYCLE_1)
	s_or_b32 exec_lo, exec_lo, s25
	flat_load_u8 v16, v[10:11] offset:256 slc dlc
	s_mov_b32 s11, 0
	s_mov_b32 s26, exec_lo
                                        ; implicit-def: $sgpr25
	s_waitcnt vmcnt(0) lgkmcnt(0)
	v_cmpx_lt_i16_e32 0x7f, v16
	s_xor_b32 s26, exec_lo, s26
	s_cbranch_execnz .LBB6_4312
; %bb.3480:                             ;   in Loop: Header=BB6_3373 Depth=2
	s_or_saveexec_b32 s26, s26
	v_mov_b32_e32 v23, s25
	s_xor_b32 exec_lo, exec_lo, s26
	s_cbranch_execnz .LBB6_4315
.LBB6_3481:                             ;   in Loop: Header=BB6_3373 Depth=2
	s_or_b32 exec_lo, exec_lo, s26
	s_and_saveexec_b32 s25, s11
	s_cbranch_execz .LBB6_3483
.LBB6_3482:                             ;   in Loop: Header=BB6_3373 Depth=2
	v_and_b32_e32 v23, 0xffff, v16
	s_delay_alu instid0(VALU_DEP_1) | instskip(NEXT) | instid1(VALU_DEP_1)
	v_and_b32_e32 v25, 7, v23
	v_clz_i32_u32_e32 v66, v25
	s_delay_alu instid0(VALU_DEP_1) | instskip(NEXT) | instid1(VALU_DEP_1)
	v_min_u32_e32 v66, 32, v66
	v_subrev_nc_u32_e32 v67, 28, v66
	v_sub_nc_u32_e32 v66, 29, v66
	s_delay_alu instid0(VALU_DEP_2) | instskip(SKIP_1) | instid1(VALU_DEP_2)
	v_lshlrev_b32_e32 v67, v67, v23
	v_bfe_u32 v23, v23, 3, 4
	v_and_b32_e32 v67, 7, v67
	s_delay_alu instid0(VALU_DEP_2) | instskip(SKIP_1) | instid1(VALU_DEP_1)
	v_cmp_eq_u32_e32 vcc_lo, 0, v23
	v_dual_cndmask_b32 v23, v23, v66 :: v_dual_lshlrev_b32 v16, 24, v16
	v_dual_cndmask_b32 v25, v25, v67 :: v_dual_and_b32 v16, 0x80000000, v16
	s_delay_alu instid0(VALU_DEP_2) | instskip(NEXT) | instid1(VALU_DEP_2)
	v_lshl_add_u32 v23, v23, 23, 0x3b800000
	v_lshlrev_b32_e32 v25, 20, v25
	s_delay_alu instid0(VALU_DEP_1)
	v_or3_b32 v23, v16, v23, v25
.LBB6_3483:                             ;   in Loop: Header=BB6_3373 Depth=2
	s_or_b32 exec_lo, exec_lo, s25
	s_delay_alu instid0(VALU_DEP_1) | instskip(SKIP_2) | instid1(VALU_DEP_2)
	v_mul_f32_e32 v16, v17, v23
	v_mov_b32_e32 v166, 0x80
	s_mov_b32 s25, exec_lo
	v_and_b32_e32 v23, 0x7f800000, v16
	s_delay_alu instid0(VALU_DEP_1)
	v_cmpx_ne_u32_e32 0x7f800000, v23
	s_cbranch_execz .LBB6_3491
; %bb.3484:                             ;   in Loop: Header=BB6_3373 Depth=2
	v_mov_b32_e32 v166, 0
	s_mov_b32 s26, exec_lo
	v_cmpx_ne_u32_e32 0, v16
	s_cbranch_execz .LBB6_3490
; %bb.3485:                             ;   in Loop: Header=BB6_3373 Depth=2
	v_bfe_u32 v23, v16, 23, 8
	s_delay_alu instid0(VALU_DEP_1) | instskip(SKIP_1) | instid1(VALU_DEP_2)
	v_sub_nc_u32_e32 v66, 0x78, v23
	v_cmp_gt_u32_e32 vcc_lo, 0x79, v23
	v_dual_cndmask_b32 v66, 0, v66 :: v_dual_and_b32 v25, 0x7fffff, v16
	s_delay_alu instid0(VALU_DEP_1) | instskip(SKIP_2) | instid1(VALU_DEP_4)
	v_or_b32_e32 v67, 0x800000, v25
	v_cmp_eq_u32_e32 vcc_lo, 0, v23
	v_add_nc_u32_e32 v23, 0xffffff89, v23
	v_cndmask_b32_e64 v66, v66, 0x77, vcc_lo
	s_delay_alu instid0(VALU_DEP_2) | instskip(SKIP_1) | instid1(VALU_DEP_3)
	v_cndmask_b32_e64 v23, v23, 0xffffff8a, vcc_lo
	v_cndmask_b32_e32 v25, v67, v25, vcc_lo
	v_lshl_add_u32 v67, 0x100000, v66, -1
	v_lshlrev_b32_e64 v71, v66, 0x80000
	s_delay_alu instid0(VALU_DEP_3) | instskip(SKIP_1) | instid1(VALU_DEP_4)
	v_lshrrev_b32_e32 v68, v66, v25
	v_add_nc_u32_e32 v66, v66, v23
	v_and_b32_e32 v25, v67, v25
	s_delay_alu instid0(VALU_DEP_3) | instskip(NEXT) | instid1(VALU_DEP_2)
	v_bfe_u32 v70, v68, 20, 1
	v_cmp_eq_u32_e64 s11, v25, v71
	s_delay_alu instid0(VALU_DEP_2) | instskip(NEXT) | instid1(VALU_DEP_1)
	v_add_nc_u32_e32 v67, -1, v70
	v_cndmask_b32_e64 v25, 0, v67, s11
	v_lshrrev_b32_e32 v67, 23, v68
	s_mov_b32 s11, exec_lo
	s_delay_alu instid0(VALU_DEP_2) | instskip(NEXT) | instid1(VALU_DEP_2)
	v_add_nc_u32_e32 v25, v25, v68
	v_xor_b32_e32 v67, 1, v67
	s_delay_alu instid0(VALU_DEP_2) | instskip(NEXT) | instid1(VALU_DEP_1)
	v_and_b32_e32 v23, 0xfffff, v25
	v_add_nc_u32_e32 v25, v23, v68
                                        ; implicit-def: $vgpr23
	s_delay_alu instid0(VALU_DEP_3)
	v_cmpx_ne_u32_e64 v66, v67
	s_xor_b32 s11, exec_lo, s11
; %bb.3486:                             ;   in Loop: Header=BB6_3373 Depth=2
	s_delay_alu instid0(VALU_DEP_2) | instskip(SKIP_2) | instid1(VALU_DEP_2)
	v_cmp_lt_u32_e32 vcc_lo, 0xffffff, v25
	v_sub_nc_u32_e32 v23, v66, v67
	v_cndmask_b32_e64 v66, 0, 1, vcc_lo
	v_add_co_ci_u32_e32 v23, vcc_lo, 0, v23, vcc_lo
	s_delay_alu instid0(VALU_DEP_2)
	v_lshrrev_b32_e32 v25, v66, v25
; %bb.3487:                             ;   in Loop: Header=BB6_3373 Depth=2
	s_and_not1_saveexec_b32 s11, s11
; %bb.3488:                             ;   in Loop: Header=BB6_3373 Depth=2
	s_delay_alu instid0(VALU_DEP_1)
	v_bfe_u32 v23, v25, 23, 1
; %bb.3489:                             ;   in Loop: Header=BB6_3373 Depth=2
	s_or_b32 exec_lo, exec_lo, s11
	v_lshrrev_b32_e32 v25, 20, v25
	s_delay_alu instid0(VALU_DEP_2) | instskip(SKIP_2) | instid1(VALU_DEP_2)
	v_cmp_gt_i32_e32 vcc_lo, 16, v23
	v_lshrrev_b32_e32 v16, 24, v16
	v_min_i32_e32 v66, 15, v23
	v_dual_cndmask_b32 v25, 7, v25 :: v_dual_and_b32 v16, 0x80, v16
	s_delay_alu instid0(VALU_DEP_2) | instskip(NEXT) | instid1(VALU_DEP_2)
	v_lshlrev_b32_e32 v66, 3, v66
	v_or_b32_e32 v23, v23, v25
	s_delay_alu instid0(VALU_DEP_1) | instskip(SKIP_1) | instid1(VALU_DEP_1)
	v_cmp_ne_u32_e32 vcc_lo, 0, v23
	v_and_b32_e32 v67, 7, v25
	v_or3_b32 v16, v66, v16, v67
	s_delay_alu instid0(VALU_DEP_1)
	v_cndmask_b32_e32 v166, 0, v16, vcc_lo
.LBB6_3490:                             ;   in Loop: Header=BB6_3373 Depth=2
	s_or_b32 exec_lo, exec_lo, s26
.LBB6_3491:                             ;   in Loop: Header=BB6_3373 Depth=2
	s_delay_alu instid0(SALU_CYCLE_1)
	s_or_b32 exec_lo, exec_lo, s25
	flat_load_u8 v16, v[10:11] offset:288 slc dlc
	s_mov_b32 s11, 0
	s_mov_b32 s26, exec_lo
                                        ; implicit-def: $sgpr25
	s_waitcnt vmcnt(0) lgkmcnt(0)
	v_cmpx_lt_i16_e32 0x7f, v16
	s_xor_b32 s26, exec_lo, s26
	s_cbranch_execnz .LBB6_4316
; %bb.3492:                             ;   in Loop: Header=BB6_3373 Depth=2
	s_or_saveexec_b32 s26, s26
	v_mov_b32_e32 v23, s25
	s_xor_b32 exec_lo, exec_lo, s26
	s_cbranch_execnz .LBB6_4319
.LBB6_3493:                             ;   in Loop: Header=BB6_3373 Depth=2
	s_or_b32 exec_lo, exec_lo, s26
	s_and_saveexec_b32 s25, s11
	s_cbranch_execz .LBB6_3495
.LBB6_3494:                             ;   in Loop: Header=BB6_3373 Depth=2
	v_and_b32_e32 v23, 0xffff, v16
	s_delay_alu instid0(VALU_DEP_1) | instskip(NEXT) | instid1(VALU_DEP_1)
	v_and_b32_e32 v25, 7, v23
	v_clz_i32_u32_e32 v66, v25
	s_delay_alu instid0(VALU_DEP_1) | instskip(NEXT) | instid1(VALU_DEP_1)
	v_min_u32_e32 v66, 32, v66
	v_subrev_nc_u32_e32 v67, 28, v66
	v_sub_nc_u32_e32 v66, 29, v66
	s_delay_alu instid0(VALU_DEP_2) | instskip(SKIP_1) | instid1(VALU_DEP_2)
	v_lshlrev_b32_e32 v67, v67, v23
	v_bfe_u32 v23, v23, 3, 4
	v_and_b32_e32 v67, 7, v67
	s_delay_alu instid0(VALU_DEP_2) | instskip(SKIP_1) | instid1(VALU_DEP_1)
	v_cmp_eq_u32_e32 vcc_lo, 0, v23
	v_dual_cndmask_b32 v23, v23, v66 :: v_dual_lshlrev_b32 v16, 24, v16
	v_dual_cndmask_b32 v25, v25, v67 :: v_dual_and_b32 v16, 0x80000000, v16
	s_delay_alu instid0(VALU_DEP_2) | instskip(NEXT) | instid1(VALU_DEP_2)
	v_lshl_add_u32 v23, v23, 23, 0x3b800000
	v_lshlrev_b32_e32 v25, 20, v25
	s_delay_alu instid0(VALU_DEP_1)
	v_or3_b32 v23, v16, v23, v25
.LBB6_3495:                             ;   in Loop: Header=BB6_3373 Depth=2
	s_or_b32 exec_lo, exec_lo, s25
	s_delay_alu instid0(VALU_DEP_1) | instskip(SKIP_2) | instid1(VALU_DEP_2)
	v_mul_f32_e32 v16, v17, v23
	v_mov_b32_e32 v164, 0x80
	s_mov_b32 s25, exec_lo
	v_and_b32_e32 v23, 0x7f800000, v16
	s_delay_alu instid0(VALU_DEP_1)
	v_cmpx_ne_u32_e32 0x7f800000, v23
	s_cbranch_execz .LBB6_3503
; %bb.3496:                             ;   in Loop: Header=BB6_3373 Depth=2
	v_mov_b32_e32 v164, 0
	s_mov_b32 s26, exec_lo
	v_cmpx_ne_u32_e32 0, v16
	s_cbranch_execz .LBB6_3502
; %bb.3497:                             ;   in Loop: Header=BB6_3373 Depth=2
	v_bfe_u32 v23, v16, 23, 8
	s_delay_alu instid0(VALU_DEP_1) | instskip(SKIP_1) | instid1(VALU_DEP_2)
	v_sub_nc_u32_e32 v66, 0x78, v23
	v_cmp_gt_u32_e32 vcc_lo, 0x79, v23
	v_dual_cndmask_b32 v66, 0, v66 :: v_dual_and_b32 v25, 0x7fffff, v16
	s_delay_alu instid0(VALU_DEP_1) | instskip(SKIP_2) | instid1(VALU_DEP_4)
	v_or_b32_e32 v67, 0x800000, v25
	v_cmp_eq_u32_e32 vcc_lo, 0, v23
	v_add_nc_u32_e32 v23, 0xffffff89, v23
	v_cndmask_b32_e64 v66, v66, 0x77, vcc_lo
	s_delay_alu instid0(VALU_DEP_2) | instskip(SKIP_1) | instid1(VALU_DEP_3)
	v_cndmask_b32_e64 v23, v23, 0xffffff8a, vcc_lo
	v_cndmask_b32_e32 v25, v67, v25, vcc_lo
	v_lshl_add_u32 v67, 0x100000, v66, -1
	v_lshlrev_b32_e64 v71, v66, 0x80000
	s_delay_alu instid0(VALU_DEP_3) | instskip(SKIP_1) | instid1(VALU_DEP_4)
	v_lshrrev_b32_e32 v68, v66, v25
	v_add_nc_u32_e32 v66, v66, v23
	v_and_b32_e32 v25, v67, v25
	s_delay_alu instid0(VALU_DEP_3) | instskip(NEXT) | instid1(VALU_DEP_2)
	v_bfe_u32 v70, v68, 20, 1
	v_cmp_eq_u32_e64 s11, v25, v71
	s_delay_alu instid0(VALU_DEP_2) | instskip(NEXT) | instid1(VALU_DEP_1)
	v_add_nc_u32_e32 v67, -1, v70
	v_cndmask_b32_e64 v25, 0, v67, s11
	v_lshrrev_b32_e32 v67, 23, v68
	s_mov_b32 s11, exec_lo
	s_delay_alu instid0(VALU_DEP_2) | instskip(NEXT) | instid1(VALU_DEP_2)
	v_add_nc_u32_e32 v25, v25, v68
	v_xor_b32_e32 v67, 1, v67
	s_delay_alu instid0(VALU_DEP_2) | instskip(NEXT) | instid1(VALU_DEP_1)
	v_and_b32_e32 v23, 0xfffff, v25
	v_add_nc_u32_e32 v25, v23, v68
                                        ; implicit-def: $vgpr23
	s_delay_alu instid0(VALU_DEP_3)
	v_cmpx_ne_u32_e64 v66, v67
	s_xor_b32 s11, exec_lo, s11
; %bb.3498:                             ;   in Loop: Header=BB6_3373 Depth=2
	s_delay_alu instid0(VALU_DEP_2) | instskip(SKIP_2) | instid1(VALU_DEP_2)
	v_cmp_lt_u32_e32 vcc_lo, 0xffffff, v25
	v_sub_nc_u32_e32 v23, v66, v67
	v_cndmask_b32_e64 v66, 0, 1, vcc_lo
	v_add_co_ci_u32_e32 v23, vcc_lo, 0, v23, vcc_lo
	s_delay_alu instid0(VALU_DEP_2)
	v_lshrrev_b32_e32 v25, v66, v25
; %bb.3499:                             ;   in Loop: Header=BB6_3373 Depth=2
	s_and_not1_saveexec_b32 s11, s11
; %bb.3500:                             ;   in Loop: Header=BB6_3373 Depth=2
	s_delay_alu instid0(VALU_DEP_1)
	v_bfe_u32 v23, v25, 23, 1
; %bb.3501:                             ;   in Loop: Header=BB6_3373 Depth=2
	s_or_b32 exec_lo, exec_lo, s11
	v_lshrrev_b32_e32 v25, 20, v25
	s_delay_alu instid0(VALU_DEP_2) | instskip(SKIP_2) | instid1(VALU_DEP_2)
	v_cmp_gt_i32_e32 vcc_lo, 16, v23
	v_lshrrev_b32_e32 v16, 24, v16
	v_min_i32_e32 v66, 15, v23
	v_dual_cndmask_b32 v25, 7, v25 :: v_dual_and_b32 v16, 0x80, v16
	s_delay_alu instid0(VALU_DEP_2) | instskip(NEXT) | instid1(VALU_DEP_2)
	v_lshlrev_b32_e32 v66, 3, v66
	v_or_b32_e32 v23, v23, v25
	s_delay_alu instid0(VALU_DEP_1) | instskip(SKIP_1) | instid1(VALU_DEP_1)
	v_cmp_ne_u32_e32 vcc_lo, 0, v23
	v_and_b32_e32 v67, 7, v25
	v_or3_b32 v16, v66, v16, v67
	s_delay_alu instid0(VALU_DEP_1)
	v_cndmask_b32_e32 v164, 0, v16, vcc_lo
.LBB6_3502:                             ;   in Loop: Header=BB6_3373 Depth=2
	s_or_b32 exec_lo, exec_lo, s26
.LBB6_3503:                             ;   in Loop: Header=BB6_3373 Depth=2
	s_delay_alu instid0(SALU_CYCLE_1)
	s_or_b32 exec_lo, exec_lo, s25
	flat_load_u8 v16, v[10:11] offset:320 slc dlc
	s_mov_b32 s11, 0
	s_mov_b32 s26, exec_lo
                                        ; implicit-def: $sgpr25
	s_waitcnt vmcnt(0) lgkmcnt(0)
	v_cmpx_lt_i16_e32 0x7f, v16
	s_xor_b32 s26, exec_lo, s26
	s_cbranch_execnz .LBB6_4320
; %bb.3504:                             ;   in Loop: Header=BB6_3373 Depth=2
	s_or_saveexec_b32 s26, s26
	v_mov_b32_e32 v23, s25
	s_xor_b32 exec_lo, exec_lo, s26
	s_cbranch_execnz .LBB6_4323
.LBB6_3505:                             ;   in Loop: Header=BB6_3373 Depth=2
	s_or_b32 exec_lo, exec_lo, s26
	s_and_saveexec_b32 s25, s11
	s_cbranch_execz .LBB6_3507
.LBB6_3506:                             ;   in Loop: Header=BB6_3373 Depth=2
	v_and_b32_e32 v23, 0xffff, v16
	s_delay_alu instid0(VALU_DEP_1) | instskip(NEXT) | instid1(VALU_DEP_1)
	v_and_b32_e32 v25, 7, v23
	v_clz_i32_u32_e32 v66, v25
	s_delay_alu instid0(VALU_DEP_1) | instskip(NEXT) | instid1(VALU_DEP_1)
	v_min_u32_e32 v66, 32, v66
	v_subrev_nc_u32_e32 v67, 28, v66
	v_sub_nc_u32_e32 v66, 29, v66
	s_delay_alu instid0(VALU_DEP_2) | instskip(SKIP_1) | instid1(VALU_DEP_2)
	v_lshlrev_b32_e32 v67, v67, v23
	v_bfe_u32 v23, v23, 3, 4
	v_and_b32_e32 v67, 7, v67
	s_delay_alu instid0(VALU_DEP_2) | instskip(SKIP_1) | instid1(VALU_DEP_1)
	v_cmp_eq_u32_e32 vcc_lo, 0, v23
	v_dual_cndmask_b32 v23, v23, v66 :: v_dual_lshlrev_b32 v16, 24, v16
	v_dual_cndmask_b32 v25, v25, v67 :: v_dual_and_b32 v16, 0x80000000, v16
	s_delay_alu instid0(VALU_DEP_2) | instskip(NEXT) | instid1(VALU_DEP_2)
	v_lshl_add_u32 v23, v23, 23, 0x3b800000
	v_lshlrev_b32_e32 v25, 20, v25
	s_delay_alu instid0(VALU_DEP_1)
	v_or3_b32 v23, v16, v23, v25
.LBB6_3507:                             ;   in Loop: Header=BB6_3373 Depth=2
	s_or_b32 exec_lo, exec_lo, s25
	s_delay_alu instid0(VALU_DEP_1) | instskip(SKIP_2) | instid1(VALU_DEP_2)
	v_mul_f32_e32 v16, v17, v23
	v_mov_b32_e32 v162, 0x80
	s_mov_b32 s25, exec_lo
	v_and_b32_e32 v23, 0x7f800000, v16
	s_delay_alu instid0(VALU_DEP_1)
	v_cmpx_ne_u32_e32 0x7f800000, v23
	s_cbranch_execz .LBB6_3515
; %bb.3508:                             ;   in Loop: Header=BB6_3373 Depth=2
	v_mov_b32_e32 v162, 0
	s_mov_b32 s26, exec_lo
	v_cmpx_ne_u32_e32 0, v16
	s_cbranch_execz .LBB6_3514
; %bb.3509:                             ;   in Loop: Header=BB6_3373 Depth=2
	v_bfe_u32 v23, v16, 23, 8
	s_delay_alu instid0(VALU_DEP_1) | instskip(SKIP_1) | instid1(VALU_DEP_2)
	v_sub_nc_u32_e32 v66, 0x78, v23
	v_cmp_gt_u32_e32 vcc_lo, 0x79, v23
	v_dual_cndmask_b32 v66, 0, v66 :: v_dual_and_b32 v25, 0x7fffff, v16
	s_delay_alu instid0(VALU_DEP_1) | instskip(SKIP_2) | instid1(VALU_DEP_4)
	v_or_b32_e32 v67, 0x800000, v25
	v_cmp_eq_u32_e32 vcc_lo, 0, v23
	v_add_nc_u32_e32 v23, 0xffffff89, v23
	v_cndmask_b32_e64 v66, v66, 0x77, vcc_lo
	s_delay_alu instid0(VALU_DEP_2) | instskip(SKIP_1) | instid1(VALU_DEP_3)
	v_cndmask_b32_e64 v23, v23, 0xffffff8a, vcc_lo
	v_cndmask_b32_e32 v25, v67, v25, vcc_lo
	v_lshl_add_u32 v67, 0x100000, v66, -1
	v_lshlrev_b32_e64 v71, v66, 0x80000
	s_delay_alu instid0(VALU_DEP_3) | instskip(SKIP_1) | instid1(VALU_DEP_4)
	v_lshrrev_b32_e32 v68, v66, v25
	v_add_nc_u32_e32 v66, v66, v23
	v_and_b32_e32 v25, v67, v25
	s_delay_alu instid0(VALU_DEP_3) | instskip(NEXT) | instid1(VALU_DEP_2)
	v_bfe_u32 v70, v68, 20, 1
	v_cmp_eq_u32_e64 s11, v25, v71
	s_delay_alu instid0(VALU_DEP_2) | instskip(NEXT) | instid1(VALU_DEP_1)
	v_add_nc_u32_e32 v67, -1, v70
	v_cndmask_b32_e64 v25, 0, v67, s11
	v_lshrrev_b32_e32 v67, 23, v68
	s_mov_b32 s11, exec_lo
	s_delay_alu instid0(VALU_DEP_2) | instskip(NEXT) | instid1(VALU_DEP_2)
	v_add_nc_u32_e32 v25, v25, v68
	v_xor_b32_e32 v67, 1, v67
	s_delay_alu instid0(VALU_DEP_2) | instskip(NEXT) | instid1(VALU_DEP_1)
	v_and_b32_e32 v23, 0xfffff, v25
	v_add_nc_u32_e32 v25, v23, v68
                                        ; implicit-def: $vgpr23
	s_delay_alu instid0(VALU_DEP_3)
	v_cmpx_ne_u32_e64 v66, v67
	s_xor_b32 s11, exec_lo, s11
; %bb.3510:                             ;   in Loop: Header=BB6_3373 Depth=2
	s_delay_alu instid0(VALU_DEP_2) | instskip(SKIP_2) | instid1(VALU_DEP_2)
	v_cmp_lt_u32_e32 vcc_lo, 0xffffff, v25
	v_sub_nc_u32_e32 v23, v66, v67
	v_cndmask_b32_e64 v66, 0, 1, vcc_lo
	v_add_co_ci_u32_e32 v23, vcc_lo, 0, v23, vcc_lo
	s_delay_alu instid0(VALU_DEP_2)
	v_lshrrev_b32_e32 v25, v66, v25
; %bb.3511:                             ;   in Loop: Header=BB6_3373 Depth=2
	s_and_not1_saveexec_b32 s11, s11
; %bb.3512:                             ;   in Loop: Header=BB6_3373 Depth=2
	s_delay_alu instid0(VALU_DEP_1)
	v_bfe_u32 v23, v25, 23, 1
; %bb.3513:                             ;   in Loop: Header=BB6_3373 Depth=2
	s_or_b32 exec_lo, exec_lo, s11
	v_lshrrev_b32_e32 v25, 20, v25
	s_delay_alu instid0(VALU_DEP_2) | instskip(SKIP_2) | instid1(VALU_DEP_2)
	v_cmp_gt_i32_e32 vcc_lo, 16, v23
	v_lshrrev_b32_e32 v16, 24, v16
	v_min_i32_e32 v66, 15, v23
	v_dual_cndmask_b32 v25, 7, v25 :: v_dual_and_b32 v16, 0x80, v16
	s_delay_alu instid0(VALU_DEP_2) | instskip(NEXT) | instid1(VALU_DEP_2)
	v_lshlrev_b32_e32 v66, 3, v66
	v_or_b32_e32 v23, v23, v25
	s_delay_alu instid0(VALU_DEP_1) | instskip(SKIP_1) | instid1(VALU_DEP_1)
	v_cmp_ne_u32_e32 vcc_lo, 0, v23
	v_and_b32_e32 v67, 7, v25
	v_or3_b32 v16, v66, v16, v67
	s_delay_alu instid0(VALU_DEP_1)
	v_cndmask_b32_e32 v162, 0, v16, vcc_lo
.LBB6_3514:                             ;   in Loop: Header=BB6_3373 Depth=2
	s_or_b32 exec_lo, exec_lo, s26
.LBB6_3515:                             ;   in Loop: Header=BB6_3373 Depth=2
	s_delay_alu instid0(SALU_CYCLE_1)
	s_or_b32 exec_lo, exec_lo, s25
	flat_load_u8 v16, v[10:11] offset:352 slc dlc
	s_mov_b32 s11, 0
	s_mov_b32 s26, exec_lo
                                        ; implicit-def: $sgpr25
	s_waitcnt vmcnt(0) lgkmcnt(0)
	v_cmpx_lt_i16_e32 0x7f, v16
	s_xor_b32 s26, exec_lo, s26
	s_cbranch_execnz .LBB6_4324
; %bb.3516:                             ;   in Loop: Header=BB6_3373 Depth=2
	s_or_saveexec_b32 s26, s26
	v_mov_b32_e32 v23, s25
	s_xor_b32 exec_lo, exec_lo, s26
	s_cbranch_execnz .LBB6_4327
.LBB6_3517:                             ;   in Loop: Header=BB6_3373 Depth=2
	s_or_b32 exec_lo, exec_lo, s26
	s_and_saveexec_b32 s25, s11
	s_cbranch_execz .LBB6_3519
.LBB6_3518:                             ;   in Loop: Header=BB6_3373 Depth=2
	v_and_b32_e32 v23, 0xffff, v16
	s_delay_alu instid0(VALU_DEP_1) | instskip(NEXT) | instid1(VALU_DEP_1)
	v_and_b32_e32 v25, 7, v23
	v_clz_i32_u32_e32 v66, v25
	s_delay_alu instid0(VALU_DEP_1) | instskip(NEXT) | instid1(VALU_DEP_1)
	v_min_u32_e32 v66, 32, v66
	v_subrev_nc_u32_e32 v67, 28, v66
	v_sub_nc_u32_e32 v66, 29, v66
	s_delay_alu instid0(VALU_DEP_2) | instskip(SKIP_1) | instid1(VALU_DEP_2)
	v_lshlrev_b32_e32 v67, v67, v23
	v_bfe_u32 v23, v23, 3, 4
	v_and_b32_e32 v67, 7, v67
	s_delay_alu instid0(VALU_DEP_2) | instskip(SKIP_1) | instid1(VALU_DEP_1)
	v_cmp_eq_u32_e32 vcc_lo, 0, v23
	v_dual_cndmask_b32 v23, v23, v66 :: v_dual_lshlrev_b32 v16, 24, v16
	v_dual_cndmask_b32 v25, v25, v67 :: v_dual_and_b32 v16, 0x80000000, v16
	s_delay_alu instid0(VALU_DEP_2) | instskip(NEXT) | instid1(VALU_DEP_2)
	v_lshl_add_u32 v23, v23, 23, 0x3b800000
	v_lshlrev_b32_e32 v25, 20, v25
	s_delay_alu instid0(VALU_DEP_1)
	v_or3_b32 v23, v16, v23, v25
.LBB6_3519:                             ;   in Loop: Header=BB6_3373 Depth=2
	s_or_b32 exec_lo, exec_lo, s25
	s_delay_alu instid0(VALU_DEP_1) | instskip(SKIP_1) | instid1(VALU_DEP_1)
	v_dual_mul_f32 v16, v17, v23 :: v_dual_mov_b32 v161, 0x80
	s_mov_b32 s25, exec_lo
	v_and_b32_e32 v23, 0x7f800000, v16
	s_delay_alu instid0(VALU_DEP_1)
	v_cmpx_ne_u32_e32 0x7f800000, v23
	s_cbranch_execz .LBB6_3527
; %bb.3520:                             ;   in Loop: Header=BB6_3373 Depth=2
	v_mov_b32_e32 v161, 0
	s_mov_b32 s26, exec_lo
	v_cmpx_ne_u32_e32 0, v16
	s_cbranch_execz .LBB6_3526
; %bb.3521:                             ;   in Loop: Header=BB6_3373 Depth=2
	v_bfe_u32 v23, v16, 23, 8
	s_delay_alu instid0(VALU_DEP_1) | instskip(SKIP_1) | instid1(VALU_DEP_2)
	v_sub_nc_u32_e32 v66, 0x78, v23
	v_cmp_gt_u32_e32 vcc_lo, 0x79, v23
	v_dual_cndmask_b32 v66, 0, v66 :: v_dual_and_b32 v25, 0x7fffff, v16
	s_delay_alu instid0(VALU_DEP_1) | instskip(SKIP_2) | instid1(VALU_DEP_4)
	v_or_b32_e32 v67, 0x800000, v25
	v_cmp_eq_u32_e32 vcc_lo, 0, v23
	v_add_nc_u32_e32 v23, 0xffffff89, v23
	v_cndmask_b32_e64 v66, v66, 0x77, vcc_lo
	s_delay_alu instid0(VALU_DEP_2) | instskip(SKIP_1) | instid1(VALU_DEP_3)
	v_cndmask_b32_e64 v23, v23, 0xffffff8a, vcc_lo
	v_cndmask_b32_e32 v25, v67, v25, vcc_lo
	v_lshl_add_u32 v67, 0x100000, v66, -1
	v_lshlrev_b32_e64 v71, v66, 0x80000
	s_delay_alu instid0(VALU_DEP_3) | instskip(SKIP_1) | instid1(VALU_DEP_4)
	v_lshrrev_b32_e32 v68, v66, v25
	v_add_nc_u32_e32 v66, v66, v23
	v_and_b32_e32 v25, v67, v25
	s_delay_alu instid0(VALU_DEP_3) | instskip(NEXT) | instid1(VALU_DEP_2)
	v_bfe_u32 v70, v68, 20, 1
	v_cmp_eq_u32_e64 s11, v25, v71
	s_delay_alu instid0(VALU_DEP_2) | instskip(NEXT) | instid1(VALU_DEP_1)
	v_add_nc_u32_e32 v67, -1, v70
	v_cndmask_b32_e64 v25, 0, v67, s11
	v_lshrrev_b32_e32 v67, 23, v68
	s_mov_b32 s11, exec_lo
	s_delay_alu instid0(VALU_DEP_2) | instskip(NEXT) | instid1(VALU_DEP_2)
	v_add_nc_u32_e32 v25, v25, v68
	v_xor_b32_e32 v67, 1, v67
	s_delay_alu instid0(VALU_DEP_2) | instskip(NEXT) | instid1(VALU_DEP_1)
	v_and_b32_e32 v23, 0xfffff, v25
	v_add_nc_u32_e32 v25, v23, v68
                                        ; implicit-def: $vgpr23
	s_delay_alu instid0(VALU_DEP_3)
	v_cmpx_ne_u32_e64 v66, v67
	s_xor_b32 s11, exec_lo, s11
; %bb.3522:                             ;   in Loop: Header=BB6_3373 Depth=2
	s_delay_alu instid0(VALU_DEP_2) | instskip(SKIP_2) | instid1(VALU_DEP_2)
	v_cmp_lt_u32_e32 vcc_lo, 0xffffff, v25
	v_sub_nc_u32_e32 v23, v66, v67
	v_cndmask_b32_e64 v66, 0, 1, vcc_lo
	v_add_co_ci_u32_e32 v23, vcc_lo, 0, v23, vcc_lo
	s_delay_alu instid0(VALU_DEP_2)
	v_lshrrev_b32_e32 v25, v66, v25
; %bb.3523:                             ;   in Loop: Header=BB6_3373 Depth=2
	s_and_not1_saveexec_b32 s11, s11
; %bb.3524:                             ;   in Loop: Header=BB6_3373 Depth=2
	s_delay_alu instid0(VALU_DEP_1)
	v_bfe_u32 v23, v25, 23, 1
; %bb.3525:                             ;   in Loop: Header=BB6_3373 Depth=2
	s_or_b32 exec_lo, exec_lo, s11
	v_lshrrev_b32_e32 v25, 20, v25
	s_delay_alu instid0(VALU_DEP_2) | instskip(SKIP_2) | instid1(VALU_DEP_2)
	v_cmp_gt_i32_e32 vcc_lo, 16, v23
	v_lshrrev_b32_e32 v16, 24, v16
	v_min_i32_e32 v66, 15, v23
	v_dual_cndmask_b32 v25, 7, v25 :: v_dual_and_b32 v16, 0x80, v16
	s_delay_alu instid0(VALU_DEP_1) | instskip(SKIP_1) | instid1(VALU_DEP_2)
	v_or_b32_e32 v23, v23, v25
	v_and_b32_e32 v67, 7, v25
	v_cmp_ne_u32_e32 vcc_lo, 0, v23
	v_lshlrev_b32_e32 v66, 3, v66
	s_delay_alu instid0(VALU_DEP_1) | instskip(NEXT) | instid1(VALU_DEP_1)
	v_or3_b32 v16, v66, v16, v67
	v_cndmask_b32_e32 v161, 0, v16, vcc_lo
.LBB6_3526:                             ;   in Loop: Header=BB6_3373 Depth=2
	s_or_b32 exec_lo, exec_lo, s26
.LBB6_3527:                             ;   in Loop: Header=BB6_3373 Depth=2
	s_delay_alu instid0(SALU_CYCLE_1)
	s_or_b32 exec_lo, exec_lo, s25
	flat_load_u8 v16, v[10:11] offset:384 slc dlc
	s_mov_b32 s11, 0
	s_mov_b32 s26, exec_lo
                                        ; implicit-def: $sgpr25
	s_waitcnt vmcnt(0) lgkmcnt(0)
	v_cmpx_lt_i16_e32 0x7f, v16
	s_xor_b32 s26, exec_lo, s26
	s_cbranch_execnz .LBB6_4328
; %bb.3528:                             ;   in Loop: Header=BB6_3373 Depth=2
	s_or_saveexec_b32 s26, s26
	v_mov_b32_e32 v23, s25
	s_xor_b32 exec_lo, exec_lo, s26
	s_cbranch_execnz .LBB6_4331
.LBB6_3529:                             ;   in Loop: Header=BB6_3373 Depth=2
	s_or_b32 exec_lo, exec_lo, s26
	s_and_saveexec_b32 s25, s11
	s_cbranch_execz .LBB6_3531
.LBB6_3530:                             ;   in Loop: Header=BB6_3373 Depth=2
	v_and_b32_e32 v23, 0xffff, v16
	s_delay_alu instid0(VALU_DEP_1) | instskip(NEXT) | instid1(VALU_DEP_1)
	v_and_b32_e32 v25, 7, v23
	v_clz_i32_u32_e32 v66, v25
	s_delay_alu instid0(VALU_DEP_1) | instskip(NEXT) | instid1(VALU_DEP_1)
	v_min_u32_e32 v66, 32, v66
	v_subrev_nc_u32_e32 v67, 28, v66
	v_sub_nc_u32_e32 v66, 29, v66
	s_delay_alu instid0(VALU_DEP_2) | instskip(SKIP_1) | instid1(VALU_DEP_2)
	v_lshlrev_b32_e32 v67, v67, v23
	v_bfe_u32 v23, v23, 3, 4
	v_and_b32_e32 v67, 7, v67
	s_delay_alu instid0(VALU_DEP_2) | instskip(SKIP_1) | instid1(VALU_DEP_1)
	v_cmp_eq_u32_e32 vcc_lo, 0, v23
	v_dual_cndmask_b32 v23, v23, v66 :: v_dual_lshlrev_b32 v16, 24, v16
	v_dual_cndmask_b32 v25, v25, v67 :: v_dual_and_b32 v16, 0x80000000, v16
	s_delay_alu instid0(VALU_DEP_2) | instskip(NEXT) | instid1(VALU_DEP_2)
	v_lshl_add_u32 v23, v23, 23, 0x3b800000
	v_lshlrev_b32_e32 v25, 20, v25
	s_delay_alu instid0(VALU_DEP_1)
	v_or3_b32 v23, v16, v23, v25
.LBB6_3531:                             ;   in Loop: Header=BB6_3373 Depth=2
	s_or_b32 exec_lo, exec_lo, s25
	s_delay_alu instid0(VALU_DEP_1) | instskip(SKIP_1) | instid1(VALU_DEP_1)
	v_dual_mul_f32 v16, v17, v23 :: v_dual_mov_b32 v151, 0x80
	s_mov_b32 s25, exec_lo
	v_and_b32_e32 v23, 0x7f800000, v16
	s_delay_alu instid0(VALU_DEP_1)
	v_cmpx_ne_u32_e32 0x7f800000, v23
	s_cbranch_execz .LBB6_3539
; %bb.3532:                             ;   in Loop: Header=BB6_3373 Depth=2
	v_mov_b32_e32 v151, 0
	s_mov_b32 s26, exec_lo
	v_cmpx_ne_u32_e32 0, v16
	s_cbranch_execz .LBB6_3538
; %bb.3533:                             ;   in Loop: Header=BB6_3373 Depth=2
	v_bfe_u32 v23, v16, 23, 8
	s_delay_alu instid0(VALU_DEP_1) | instskip(SKIP_1) | instid1(VALU_DEP_2)
	v_sub_nc_u32_e32 v66, 0x78, v23
	v_cmp_gt_u32_e32 vcc_lo, 0x79, v23
	v_dual_cndmask_b32 v66, 0, v66 :: v_dual_and_b32 v25, 0x7fffff, v16
	s_delay_alu instid0(VALU_DEP_1) | instskip(SKIP_2) | instid1(VALU_DEP_4)
	v_or_b32_e32 v67, 0x800000, v25
	v_cmp_eq_u32_e32 vcc_lo, 0, v23
	v_add_nc_u32_e32 v23, 0xffffff89, v23
	v_cndmask_b32_e64 v66, v66, 0x77, vcc_lo
	s_delay_alu instid0(VALU_DEP_2) | instskip(SKIP_1) | instid1(VALU_DEP_3)
	v_cndmask_b32_e64 v23, v23, 0xffffff8a, vcc_lo
	v_cndmask_b32_e32 v25, v67, v25, vcc_lo
	v_lshl_add_u32 v67, 0x100000, v66, -1
	v_lshlrev_b32_e64 v71, v66, 0x80000
	s_delay_alu instid0(VALU_DEP_3) | instskip(SKIP_1) | instid1(VALU_DEP_4)
	v_lshrrev_b32_e32 v68, v66, v25
	v_add_nc_u32_e32 v66, v66, v23
	v_and_b32_e32 v25, v67, v25
	s_delay_alu instid0(VALU_DEP_3) | instskip(NEXT) | instid1(VALU_DEP_2)
	v_bfe_u32 v70, v68, 20, 1
	v_cmp_eq_u32_e64 s11, v25, v71
	s_delay_alu instid0(VALU_DEP_2) | instskip(NEXT) | instid1(VALU_DEP_1)
	v_add_nc_u32_e32 v67, -1, v70
	v_cndmask_b32_e64 v25, 0, v67, s11
	v_lshrrev_b32_e32 v67, 23, v68
	s_mov_b32 s11, exec_lo
	s_delay_alu instid0(VALU_DEP_2) | instskip(NEXT) | instid1(VALU_DEP_2)
	v_add_nc_u32_e32 v25, v25, v68
	v_xor_b32_e32 v67, 1, v67
	s_delay_alu instid0(VALU_DEP_2) | instskip(NEXT) | instid1(VALU_DEP_1)
	v_and_b32_e32 v23, 0xfffff, v25
	v_add_nc_u32_e32 v25, v23, v68
                                        ; implicit-def: $vgpr23
	s_delay_alu instid0(VALU_DEP_3)
	v_cmpx_ne_u32_e64 v66, v67
	s_xor_b32 s11, exec_lo, s11
; %bb.3534:                             ;   in Loop: Header=BB6_3373 Depth=2
	s_delay_alu instid0(VALU_DEP_2) | instskip(SKIP_2) | instid1(VALU_DEP_2)
	v_cmp_lt_u32_e32 vcc_lo, 0xffffff, v25
	v_sub_nc_u32_e32 v23, v66, v67
	v_cndmask_b32_e64 v66, 0, 1, vcc_lo
	v_add_co_ci_u32_e32 v23, vcc_lo, 0, v23, vcc_lo
	s_delay_alu instid0(VALU_DEP_2)
	v_lshrrev_b32_e32 v25, v66, v25
; %bb.3535:                             ;   in Loop: Header=BB6_3373 Depth=2
	s_and_not1_saveexec_b32 s11, s11
; %bb.3536:                             ;   in Loop: Header=BB6_3373 Depth=2
	s_delay_alu instid0(VALU_DEP_1)
	v_bfe_u32 v23, v25, 23, 1
; %bb.3537:                             ;   in Loop: Header=BB6_3373 Depth=2
	s_or_b32 exec_lo, exec_lo, s11
	v_lshrrev_b32_e32 v25, 20, v25
	s_delay_alu instid0(VALU_DEP_2) | instskip(SKIP_2) | instid1(VALU_DEP_2)
	v_cmp_gt_i32_e32 vcc_lo, 16, v23
	v_lshrrev_b32_e32 v16, 24, v16
	v_min_i32_e32 v66, 15, v23
	v_dual_cndmask_b32 v25, 7, v25 :: v_dual_and_b32 v16, 0x80, v16
	s_delay_alu instid0(VALU_DEP_1) | instskip(SKIP_1) | instid1(VALU_DEP_2)
	v_or_b32_e32 v23, v23, v25
	v_and_b32_e32 v67, 7, v25
	v_cmp_ne_u32_e32 vcc_lo, 0, v23
	v_lshlrev_b32_e32 v66, 3, v66
	s_delay_alu instid0(VALU_DEP_1) | instskip(NEXT) | instid1(VALU_DEP_1)
	v_or3_b32 v16, v66, v16, v67
	v_cndmask_b32_e32 v151, 0, v16, vcc_lo
.LBB6_3538:                             ;   in Loop: Header=BB6_3373 Depth=2
	s_or_b32 exec_lo, exec_lo, s26
.LBB6_3539:                             ;   in Loop: Header=BB6_3373 Depth=2
	s_delay_alu instid0(SALU_CYCLE_1)
	s_or_b32 exec_lo, exec_lo, s25
	flat_load_u8 v16, v[10:11] offset:416 slc dlc
	s_mov_b32 s11, 0
	s_mov_b32 s26, exec_lo
                                        ; implicit-def: $sgpr25
	s_waitcnt vmcnt(0) lgkmcnt(0)
	v_cmpx_lt_i16_e32 0x7f, v16
	s_xor_b32 s26, exec_lo, s26
	s_cbranch_execnz .LBB6_4332
; %bb.3540:                             ;   in Loop: Header=BB6_3373 Depth=2
	s_or_saveexec_b32 s26, s26
	v_mov_b32_e32 v23, s25
	s_xor_b32 exec_lo, exec_lo, s26
	s_cbranch_execnz .LBB6_4335
.LBB6_3541:                             ;   in Loop: Header=BB6_3373 Depth=2
	s_or_b32 exec_lo, exec_lo, s26
	s_and_saveexec_b32 s25, s11
	s_cbranch_execz .LBB6_3543
.LBB6_3542:                             ;   in Loop: Header=BB6_3373 Depth=2
	v_and_b32_e32 v23, 0xffff, v16
	s_delay_alu instid0(VALU_DEP_1) | instskip(NEXT) | instid1(VALU_DEP_1)
	v_and_b32_e32 v25, 7, v23
	v_clz_i32_u32_e32 v66, v25
	s_delay_alu instid0(VALU_DEP_1) | instskip(NEXT) | instid1(VALU_DEP_1)
	v_min_u32_e32 v66, 32, v66
	v_subrev_nc_u32_e32 v67, 28, v66
	v_sub_nc_u32_e32 v66, 29, v66
	s_delay_alu instid0(VALU_DEP_2) | instskip(SKIP_1) | instid1(VALU_DEP_2)
	v_lshlrev_b32_e32 v67, v67, v23
	v_bfe_u32 v23, v23, 3, 4
	v_and_b32_e32 v67, 7, v67
	s_delay_alu instid0(VALU_DEP_2) | instskip(SKIP_1) | instid1(VALU_DEP_1)
	v_cmp_eq_u32_e32 vcc_lo, 0, v23
	v_dual_cndmask_b32 v23, v23, v66 :: v_dual_lshlrev_b32 v16, 24, v16
	v_dual_cndmask_b32 v25, v25, v67 :: v_dual_and_b32 v16, 0x80000000, v16
	s_delay_alu instid0(VALU_DEP_2) | instskip(NEXT) | instid1(VALU_DEP_2)
	v_lshl_add_u32 v23, v23, 23, 0x3b800000
	v_lshlrev_b32_e32 v25, 20, v25
	s_delay_alu instid0(VALU_DEP_1)
	v_or3_b32 v23, v16, v23, v25
.LBB6_3543:                             ;   in Loop: Header=BB6_3373 Depth=2
	s_or_b32 exec_lo, exec_lo, s25
	s_delay_alu instid0(VALU_DEP_1) | instskip(SKIP_1) | instid1(VALU_DEP_1)
	v_dual_mul_f32 v16, v17, v23 :: v_dual_mov_b32 v149, 0x80
	s_mov_b32 s25, exec_lo
	v_and_b32_e32 v23, 0x7f800000, v16
	s_delay_alu instid0(VALU_DEP_1)
	v_cmpx_ne_u32_e32 0x7f800000, v23
	s_cbranch_execz .LBB6_3551
; %bb.3544:                             ;   in Loop: Header=BB6_3373 Depth=2
	v_mov_b32_e32 v149, 0
	s_mov_b32 s26, exec_lo
	v_cmpx_ne_u32_e32 0, v16
	s_cbranch_execz .LBB6_3550
; %bb.3545:                             ;   in Loop: Header=BB6_3373 Depth=2
	v_bfe_u32 v23, v16, 23, 8
	s_delay_alu instid0(VALU_DEP_1) | instskip(SKIP_1) | instid1(VALU_DEP_2)
	v_sub_nc_u32_e32 v66, 0x78, v23
	v_cmp_gt_u32_e32 vcc_lo, 0x79, v23
	v_dual_cndmask_b32 v66, 0, v66 :: v_dual_and_b32 v25, 0x7fffff, v16
	s_delay_alu instid0(VALU_DEP_1) | instskip(SKIP_2) | instid1(VALU_DEP_4)
	v_or_b32_e32 v67, 0x800000, v25
	v_cmp_eq_u32_e32 vcc_lo, 0, v23
	v_add_nc_u32_e32 v23, 0xffffff89, v23
	v_cndmask_b32_e64 v66, v66, 0x77, vcc_lo
	s_delay_alu instid0(VALU_DEP_2) | instskip(SKIP_1) | instid1(VALU_DEP_3)
	v_cndmask_b32_e64 v23, v23, 0xffffff8a, vcc_lo
	v_cndmask_b32_e32 v25, v67, v25, vcc_lo
	v_lshl_add_u32 v67, 0x100000, v66, -1
	v_lshlrev_b32_e64 v71, v66, 0x80000
	s_delay_alu instid0(VALU_DEP_3) | instskip(SKIP_1) | instid1(VALU_DEP_4)
	v_lshrrev_b32_e32 v68, v66, v25
	v_add_nc_u32_e32 v66, v66, v23
	v_and_b32_e32 v25, v67, v25
	s_delay_alu instid0(VALU_DEP_3) | instskip(NEXT) | instid1(VALU_DEP_2)
	v_bfe_u32 v70, v68, 20, 1
	v_cmp_eq_u32_e64 s11, v25, v71
	s_delay_alu instid0(VALU_DEP_2) | instskip(NEXT) | instid1(VALU_DEP_1)
	v_add_nc_u32_e32 v67, -1, v70
	v_cndmask_b32_e64 v25, 0, v67, s11
	v_lshrrev_b32_e32 v67, 23, v68
	s_mov_b32 s11, exec_lo
	s_delay_alu instid0(VALU_DEP_2) | instskip(NEXT) | instid1(VALU_DEP_2)
	v_add_nc_u32_e32 v25, v25, v68
	v_xor_b32_e32 v67, 1, v67
	s_delay_alu instid0(VALU_DEP_2) | instskip(NEXT) | instid1(VALU_DEP_1)
	v_and_b32_e32 v23, 0xfffff, v25
	v_add_nc_u32_e32 v25, v23, v68
                                        ; implicit-def: $vgpr23
	s_delay_alu instid0(VALU_DEP_3)
	v_cmpx_ne_u32_e64 v66, v67
	s_xor_b32 s11, exec_lo, s11
; %bb.3546:                             ;   in Loop: Header=BB6_3373 Depth=2
	s_delay_alu instid0(VALU_DEP_2) | instskip(SKIP_2) | instid1(VALU_DEP_2)
	v_cmp_lt_u32_e32 vcc_lo, 0xffffff, v25
	v_sub_nc_u32_e32 v23, v66, v67
	v_cndmask_b32_e64 v66, 0, 1, vcc_lo
	v_add_co_ci_u32_e32 v23, vcc_lo, 0, v23, vcc_lo
	s_delay_alu instid0(VALU_DEP_2)
	v_lshrrev_b32_e32 v25, v66, v25
; %bb.3547:                             ;   in Loop: Header=BB6_3373 Depth=2
	s_and_not1_saveexec_b32 s11, s11
; %bb.3548:                             ;   in Loop: Header=BB6_3373 Depth=2
	s_delay_alu instid0(VALU_DEP_1)
	v_bfe_u32 v23, v25, 23, 1
; %bb.3549:                             ;   in Loop: Header=BB6_3373 Depth=2
	s_or_b32 exec_lo, exec_lo, s11
	v_lshrrev_b32_e32 v25, 20, v25
	s_delay_alu instid0(VALU_DEP_2) | instskip(SKIP_2) | instid1(VALU_DEP_2)
	v_cmp_gt_i32_e32 vcc_lo, 16, v23
	v_lshrrev_b32_e32 v16, 24, v16
	v_min_i32_e32 v66, 15, v23
	v_dual_cndmask_b32 v25, 7, v25 :: v_dual_and_b32 v16, 0x80, v16
	s_delay_alu instid0(VALU_DEP_1) | instskip(SKIP_1) | instid1(VALU_DEP_2)
	v_or_b32_e32 v23, v23, v25
	v_and_b32_e32 v67, 7, v25
	v_cmp_ne_u32_e32 vcc_lo, 0, v23
	v_lshlrev_b32_e32 v66, 3, v66
	s_delay_alu instid0(VALU_DEP_1) | instskip(NEXT) | instid1(VALU_DEP_1)
	v_or3_b32 v16, v66, v16, v67
	v_cndmask_b32_e32 v149, 0, v16, vcc_lo
.LBB6_3550:                             ;   in Loop: Header=BB6_3373 Depth=2
	s_or_b32 exec_lo, exec_lo, s26
.LBB6_3551:                             ;   in Loop: Header=BB6_3373 Depth=2
	s_delay_alu instid0(SALU_CYCLE_1)
	s_or_b32 exec_lo, exec_lo, s25
	flat_load_u8 v16, v[10:11] offset:448 slc dlc
	s_mov_b32 s11, 0
	s_mov_b32 s26, exec_lo
                                        ; implicit-def: $sgpr25
	s_waitcnt vmcnt(0) lgkmcnt(0)
	v_cmpx_lt_i16_e32 0x7f, v16
	s_xor_b32 s26, exec_lo, s26
	s_cbranch_execnz .LBB6_4336
; %bb.3552:                             ;   in Loop: Header=BB6_3373 Depth=2
	s_or_saveexec_b32 s26, s26
	v_mov_b32_e32 v23, s25
	s_xor_b32 exec_lo, exec_lo, s26
	s_cbranch_execnz .LBB6_4339
.LBB6_3553:                             ;   in Loop: Header=BB6_3373 Depth=2
	s_or_b32 exec_lo, exec_lo, s26
	s_and_saveexec_b32 s25, s11
	s_cbranch_execz .LBB6_3555
.LBB6_3554:                             ;   in Loop: Header=BB6_3373 Depth=2
	v_and_b32_e32 v23, 0xffff, v16
	s_delay_alu instid0(VALU_DEP_1) | instskip(NEXT) | instid1(VALU_DEP_1)
	v_and_b32_e32 v25, 7, v23
	v_clz_i32_u32_e32 v66, v25
	s_delay_alu instid0(VALU_DEP_1) | instskip(NEXT) | instid1(VALU_DEP_1)
	v_min_u32_e32 v66, 32, v66
	v_subrev_nc_u32_e32 v67, 28, v66
	v_sub_nc_u32_e32 v66, 29, v66
	s_delay_alu instid0(VALU_DEP_2) | instskip(SKIP_1) | instid1(VALU_DEP_2)
	v_lshlrev_b32_e32 v67, v67, v23
	v_bfe_u32 v23, v23, 3, 4
	v_and_b32_e32 v67, 7, v67
	s_delay_alu instid0(VALU_DEP_2) | instskip(SKIP_1) | instid1(VALU_DEP_1)
	v_cmp_eq_u32_e32 vcc_lo, 0, v23
	v_dual_cndmask_b32 v23, v23, v66 :: v_dual_lshlrev_b32 v16, 24, v16
	v_dual_cndmask_b32 v25, v25, v67 :: v_dual_and_b32 v16, 0x80000000, v16
	s_delay_alu instid0(VALU_DEP_2) | instskip(NEXT) | instid1(VALU_DEP_2)
	v_lshl_add_u32 v23, v23, 23, 0x3b800000
	v_lshlrev_b32_e32 v25, 20, v25
	s_delay_alu instid0(VALU_DEP_1)
	v_or3_b32 v23, v16, v23, v25
.LBB6_3555:                             ;   in Loop: Header=BB6_3373 Depth=2
	s_or_b32 exec_lo, exec_lo, s25
	s_delay_alu instid0(VALU_DEP_1) | instskip(SKIP_2) | instid1(VALU_DEP_2)
	v_mul_f32_e32 v16, v17, v23
	v_mov_b32_e32 v148, 0x80
	s_mov_b32 s25, exec_lo
	v_and_b32_e32 v23, 0x7f800000, v16
	s_delay_alu instid0(VALU_DEP_1)
	v_cmpx_ne_u32_e32 0x7f800000, v23
	s_cbranch_execz .LBB6_3563
; %bb.3556:                             ;   in Loop: Header=BB6_3373 Depth=2
	v_mov_b32_e32 v148, 0
	s_mov_b32 s26, exec_lo
	v_cmpx_ne_u32_e32 0, v16
	s_cbranch_execz .LBB6_3562
; %bb.3557:                             ;   in Loop: Header=BB6_3373 Depth=2
	v_bfe_u32 v23, v16, 23, 8
	s_delay_alu instid0(VALU_DEP_1) | instskip(SKIP_1) | instid1(VALU_DEP_2)
	v_sub_nc_u32_e32 v66, 0x78, v23
	v_cmp_gt_u32_e32 vcc_lo, 0x79, v23
	v_dual_cndmask_b32 v66, 0, v66 :: v_dual_and_b32 v25, 0x7fffff, v16
	s_delay_alu instid0(VALU_DEP_1) | instskip(SKIP_2) | instid1(VALU_DEP_4)
	v_or_b32_e32 v67, 0x800000, v25
	v_cmp_eq_u32_e32 vcc_lo, 0, v23
	v_add_nc_u32_e32 v23, 0xffffff89, v23
	v_cndmask_b32_e64 v66, v66, 0x77, vcc_lo
	s_delay_alu instid0(VALU_DEP_2) | instskip(SKIP_1) | instid1(VALU_DEP_3)
	v_cndmask_b32_e64 v23, v23, 0xffffff8a, vcc_lo
	v_cndmask_b32_e32 v25, v67, v25, vcc_lo
	v_lshl_add_u32 v67, 0x100000, v66, -1
	v_lshlrev_b32_e64 v71, v66, 0x80000
	s_delay_alu instid0(VALU_DEP_3) | instskip(SKIP_1) | instid1(VALU_DEP_4)
	v_lshrrev_b32_e32 v68, v66, v25
	v_add_nc_u32_e32 v66, v66, v23
	v_and_b32_e32 v25, v67, v25
	s_delay_alu instid0(VALU_DEP_3) | instskip(NEXT) | instid1(VALU_DEP_2)
	v_bfe_u32 v70, v68, 20, 1
	v_cmp_eq_u32_e64 s11, v25, v71
	s_delay_alu instid0(VALU_DEP_2) | instskip(NEXT) | instid1(VALU_DEP_1)
	v_add_nc_u32_e32 v67, -1, v70
	v_cndmask_b32_e64 v25, 0, v67, s11
	v_lshrrev_b32_e32 v67, 23, v68
	s_mov_b32 s11, exec_lo
	s_delay_alu instid0(VALU_DEP_2) | instskip(NEXT) | instid1(VALU_DEP_2)
	v_add_nc_u32_e32 v25, v25, v68
	v_xor_b32_e32 v67, 1, v67
	s_delay_alu instid0(VALU_DEP_2) | instskip(NEXT) | instid1(VALU_DEP_1)
	v_and_b32_e32 v23, 0xfffff, v25
	v_add_nc_u32_e32 v25, v23, v68
                                        ; implicit-def: $vgpr23
	s_delay_alu instid0(VALU_DEP_3)
	v_cmpx_ne_u32_e64 v66, v67
	s_xor_b32 s11, exec_lo, s11
; %bb.3558:                             ;   in Loop: Header=BB6_3373 Depth=2
	s_delay_alu instid0(VALU_DEP_2) | instskip(SKIP_2) | instid1(VALU_DEP_2)
	v_cmp_lt_u32_e32 vcc_lo, 0xffffff, v25
	v_sub_nc_u32_e32 v23, v66, v67
	v_cndmask_b32_e64 v66, 0, 1, vcc_lo
	v_add_co_ci_u32_e32 v23, vcc_lo, 0, v23, vcc_lo
	s_delay_alu instid0(VALU_DEP_2)
	v_lshrrev_b32_e32 v25, v66, v25
; %bb.3559:                             ;   in Loop: Header=BB6_3373 Depth=2
	s_and_not1_saveexec_b32 s11, s11
; %bb.3560:                             ;   in Loop: Header=BB6_3373 Depth=2
	s_delay_alu instid0(VALU_DEP_1)
	v_bfe_u32 v23, v25, 23, 1
; %bb.3561:                             ;   in Loop: Header=BB6_3373 Depth=2
	s_or_b32 exec_lo, exec_lo, s11
	v_lshrrev_b32_e32 v25, 20, v25
	s_delay_alu instid0(VALU_DEP_2) | instskip(SKIP_2) | instid1(VALU_DEP_2)
	v_cmp_gt_i32_e32 vcc_lo, 16, v23
	v_lshrrev_b32_e32 v16, 24, v16
	v_min_i32_e32 v66, 15, v23
	v_dual_cndmask_b32 v25, 7, v25 :: v_dual_and_b32 v16, 0x80, v16
	s_delay_alu instid0(VALU_DEP_2) | instskip(NEXT) | instid1(VALU_DEP_2)
	v_lshlrev_b32_e32 v66, 3, v66
	v_or_b32_e32 v23, v23, v25
	s_delay_alu instid0(VALU_DEP_1) | instskip(SKIP_1) | instid1(VALU_DEP_1)
	v_cmp_ne_u32_e32 vcc_lo, 0, v23
	v_and_b32_e32 v67, 7, v25
	v_or3_b32 v16, v66, v16, v67
	s_delay_alu instid0(VALU_DEP_1)
	v_cndmask_b32_e32 v148, 0, v16, vcc_lo
.LBB6_3562:                             ;   in Loop: Header=BB6_3373 Depth=2
	s_or_b32 exec_lo, exec_lo, s26
.LBB6_3563:                             ;   in Loop: Header=BB6_3373 Depth=2
	s_delay_alu instid0(SALU_CYCLE_1)
	s_or_b32 exec_lo, exec_lo, s25
	flat_load_u8 v16, v[10:11] offset:480 slc dlc
	s_mov_b32 s11, 0
	s_mov_b32 s26, exec_lo
                                        ; implicit-def: $sgpr25
	s_waitcnt vmcnt(0) lgkmcnt(0)
	v_cmpx_lt_i16_e32 0x7f, v16
	s_xor_b32 s26, exec_lo, s26
	s_cbranch_execnz .LBB6_4340
; %bb.3564:                             ;   in Loop: Header=BB6_3373 Depth=2
	s_or_saveexec_b32 s26, s26
	v_mov_b32_e32 v23, s25
	s_xor_b32 exec_lo, exec_lo, s26
	s_cbranch_execnz .LBB6_4343
.LBB6_3565:                             ;   in Loop: Header=BB6_3373 Depth=2
	s_or_b32 exec_lo, exec_lo, s26
	s_and_saveexec_b32 s25, s11
	s_cbranch_execz .LBB6_3567
.LBB6_3566:                             ;   in Loop: Header=BB6_3373 Depth=2
	v_and_b32_e32 v23, 0xffff, v16
	s_delay_alu instid0(VALU_DEP_1) | instskip(NEXT) | instid1(VALU_DEP_1)
	v_and_b32_e32 v25, 7, v23
	v_clz_i32_u32_e32 v66, v25
	s_delay_alu instid0(VALU_DEP_1) | instskip(NEXT) | instid1(VALU_DEP_1)
	v_min_u32_e32 v66, 32, v66
	v_subrev_nc_u32_e32 v67, 28, v66
	v_sub_nc_u32_e32 v66, 29, v66
	s_delay_alu instid0(VALU_DEP_2) | instskip(SKIP_1) | instid1(VALU_DEP_2)
	v_lshlrev_b32_e32 v67, v67, v23
	v_bfe_u32 v23, v23, 3, 4
	v_and_b32_e32 v67, 7, v67
	s_delay_alu instid0(VALU_DEP_2) | instskip(SKIP_1) | instid1(VALU_DEP_1)
	v_cmp_eq_u32_e32 vcc_lo, 0, v23
	v_dual_cndmask_b32 v23, v23, v66 :: v_dual_lshlrev_b32 v16, 24, v16
	v_dual_cndmask_b32 v25, v25, v67 :: v_dual_and_b32 v16, 0x80000000, v16
	s_delay_alu instid0(VALU_DEP_2) | instskip(NEXT) | instid1(VALU_DEP_2)
	v_lshl_add_u32 v23, v23, 23, 0x3b800000
	v_lshlrev_b32_e32 v25, 20, v25
	s_delay_alu instid0(VALU_DEP_1)
	v_or3_b32 v23, v16, v23, v25
.LBB6_3567:                             ;   in Loop: Header=BB6_3373 Depth=2
	s_or_b32 exec_lo, exec_lo, s25
	s_delay_alu instid0(VALU_DEP_1) | instskip(SKIP_2) | instid1(VALU_DEP_2)
	v_mul_f32_e32 v16, v17, v23
	v_mov_b32_e32 v146, 0x80
	s_mov_b32 s25, exec_lo
	v_and_b32_e32 v23, 0x7f800000, v16
	s_delay_alu instid0(VALU_DEP_1)
	v_cmpx_ne_u32_e32 0x7f800000, v23
	s_cbranch_execz .LBB6_3575
; %bb.3568:                             ;   in Loop: Header=BB6_3373 Depth=2
	v_mov_b32_e32 v146, 0
	s_mov_b32 s26, exec_lo
	v_cmpx_ne_u32_e32 0, v16
	s_cbranch_execz .LBB6_3574
; %bb.3569:                             ;   in Loop: Header=BB6_3373 Depth=2
	v_bfe_u32 v23, v16, 23, 8
	s_delay_alu instid0(VALU_DEP_1) | instskip(SKIP_1) | instid1(VALU_DEP_2)
	v_sub_nc_u32_e32 v66, 0x78, v23
	v_cmp_gt_u32_e32 vcc_lo, 0x79, v23
	v_dual_cndmask_b32 v66, 0, v66 :: v_dual_and_b32 v25, 0x7fffff, v16
	s_delay_alu instid0(VALU_DEP_1) | instskip(SKIP_2) | instid1(VALU_DEP_4)
	v_or_b32_e32 v67, 0x800000, v25
	v_cmp_eq_u32_e32 vcc_lo, 0, v23
	v_add_nc_u32_e32 v23, 0xffffff89, v23
	v_cndmask_b32_e64 v66, v66, 0x77, vcc_lo
	s_delay_alu instid0(VALU_DEP_2) | instskip(SKIP_1) | instid1(VALU_DEP_3)
	v_cndmask_b32_e64 v23, v23, 0xffffff8a, vcc_lo
	v_cndmask_b32_e32 v25, v67, v25, vcc_lo
	v_lshl_add_u32 v67, 0x100000, v66, -1
	v_lshlrev_b32_e64 v71, v66, 0x80000
	s_delay_alu instid0(VALU_DEP_3) | instskip(SKIP_1) | instid1(VALU_DEP_4)
	v_lshrrev_b32_e32 v68, v66, v25
	v_add_nc_u32_e32 v66, v66, v23
	v_and_b32_e32 v25, v67, v25
	s_delay_alu instid0(VALU_DEP_3) | instskip(NEXT) | instid1(VALU_DEP_2)
	v_bfe_u32 v70, v68, 20, 1
	v_cmp_eq_u32_e64 s11, v25, v71
	s_delay_alu instid0(VALU_DEP_2) | instskip(NEXT) | instid1(VALU_DEP_1)
	v_add_nc_u32_e32 v67, -1, v70
	v_cndmask_b32_e64 v25, 0, v67, s11
	v_lshrrev_b32_e32 v67, 23, v68
	s_mov_b32 s11, exec_lo
	s_delay_alu instid0(VALU_DEP_2) | instskip(NEXT) | instid1(VALU_DEP_2)
	v_add_nc_u32_e32 v25, v25, v68
	v_xor_b32_e32 v67, 1, v67
	s_delay_alu instid0(VALU_DEP_2) | instskip(NEXT) | instid1(VALU_DEP_1)
	v_and_b32_e32 v23, 0xfffff, v25
	v_add_nc_u32_e32 v25, v23, v68
                                        ; implicit-def: $vgpr23
	s_delay_alu instid0(VALU_DEP_3)
	v_cmpx_ne_u32_e64 v66, v67
	s_xor_b32 s11, exec_lo, s11
; %bb.3570:                             ;   in Loop: Header=BB6_3373 Depth=2
	s_delay_alu instid0(VALU_DEP_2) | instskip(SKIP_2) | instid1(VALU_DEP_2)
	v_cmp_lt_u32_e32 vcc_lo, 0xffffff, v25
	v_sub_nc_u32_e32 v23, v66, v67
	v_cndmask_b32_e64 v66, 0, 1, vcc_lo
	v_add_co_ci_u32_e32 v23, vcc_lo, 0, v23, vcc_lo
	s_delay_alu instid0(VALU_DEP_2)
	v_lshrrev_b32_e32 v25, v66, v25
; %bb.3571:                             ;   in Loop: Header=BB6_3373 Depth=2
	s_and_not1_saveexec_b32 s11, s11
; %bb.3572:                             ;   in Loop: Header=BB6_3373 Depth=2
	s_delay_alu instid0(VALU_DEP_1)
	v_bfe_u32 v23, v25, 23, 1
; %bb.3573:                             ;   in Loop: Header=BB6_3373 Depth=2
	s_or_b32 exec_lo, exec_lo, s11
	v_lshrrev_b32_e32 v25, 20, v25
	s_delay_alu instid0(VALU_DEP_2) | instskip(SKIP_2) | instid1(VALU_DEP_2)
	v_cmp_gt_i32_e32 vcc_lo, 16, v23
	v_lshrrev_b32_e32 v16, 24, v16
	v_min_i32_e32 v66, 15, v23
	v_dual_cndmask_b32 v25, 7, v25 :: v_dual_and_b32 v16, 0x80, v16
	s_delay_alu instid0(VALU_DEP_2) | instskip(NEXT) | instid1(VALU_DEP_2)
	v_lshlrev_b32_e32 v66, 3, v66
	v_or_b32_e32 v23, v23, v25
	s_delay_alu instid0(VALU_DEP_1) | instskip(SKIP_1) | instid1(VALU_DEP_1)
	v_cmp_ne_u32_e32 vcc_lo, 0, v23
	v_and_b32_e32 v67, 7, v25
	v_or3_b32 v16, v66, v16, v67
	s_delay_alu instid0(VALU_DEP_1)
	v_cndmask_b32_e32 v146, 0, v16, vcc_lo
.LBB6_3574:                             ;   in Loop: Header=BB6_3373 Depth=2
	s_or_b32 exec_lo, exec_lo, s26
.LBB6_3575:                             ;   in Loop: Header=BB6_3373 Depth=2
	s_delay_alu instid0(SALU_CYCLE_1)
	s_or_b32 exec_lo, exec_lo, s25
	flat_load_u8 v16, v[10:11] offset:512 slc dlc
	s_mov_b32 s11, 0
	s_mov_b32 s26, exec_lo
                                        ; implicit-def: $sgpr25
	s_waitcnt vmcnt(0) lgkmcnt(0)
	v_cmpx_lt_i16_e32 0x7f, v16
	s_xor_b32 s26, exec_lo, s26
	s_cbranch_execnz .LBB6_4344
; %bb.3576:                             ;   in Loop: Header=BB6_3373 Depth=2
	s_or_saveexec_b32 s26, s26
	v_mov_b32_e32 v23, s25
	s_xor_b32 exec_lo, exec_lo, s26
	s_cbranch_execnz .LBB6_4347
.LBB6_3577:                             ;   in Loop: Header=BB6_3373 Depth=2
	s_or_b32 exec_lo, exec_lo, s26
	s_and_saveexec_b32 s25, s11
	s_cbranch_execz .LBB6_3579
.LBB6_3578:                             ;   in Loop: Header=BB6_3373 Depth=2
	v_and_b32_e32 v23, 0xffff, v16
	s_delay_alu instid0(VALU_DEP_1) | instskip(NEXT) | instid1(VALU_DEP_1)
	v_and_b32_e32 v25, 7, v23
	v_clz_i32_u32_e32 v66, v25
	s_delay_alu instid0(VALU_DEP_1) | instskip(NEXT) | instid1(VALU_DEP_1)
	v_min_u32_e32 v66, 32, v66
	v_subrev_nc_u32_e32 v67, 28, v66
	v_sub_nc_u32_e32 v66, 29, v66
	s_delay_alu instid0(VALU_DEP_2) | instskip(SKIP_1) | instid1(VALU_DEP_2)
	v_lshlrev_b32_e32 v67, v67, v23
	v_bfe_u32 v23, v23, 3, 4
	v_and_b32_e32 v67, 7, v67
	s_delay_alu instid0(VALU_DEP_2) | instskip(SKIP_1) | instid1(VALU_DEP_1)
	v_cmp_eq_u32_e32 vcc_lo, 0, v23
	v_dual_cndmask_b32 v23, v23, v66 :: v_dual_lshlrev_b32 v16, 24, v16
	v_dual_cndmask_b32 v25, v25, v67 :: v_dual_and_b32 v16, 0x80000000, v16
	s_delay_alu instid0(VALU_DEP_2) | instskip(NEXT) | instid1(VALU_DEP_2)
	v_lshl_add_u32 v23, v23, 23, 0x3b800000
	v_lshlrev_b32_e32 v25, 20, v25
	s_delay_alu instid0(VALU_DEP_1)
	v_or3_b32 v23, v16, v23, v25
.LBB6_3579:                             ;   in Loop: Header=BB6_3373 Depth=2
	s_or_b32 exec_lo, exec_lo, s25
	s_delay_alu instid0(VALU_DEP_1) | instskip(SKIP_2) | instid1(VALU_DEP_2)
	v_mul_f32_e32 v16, v17, v23
	v_mov_b32_e32 v144, 0x80
	s_mov_b32 s25, exec_lo
	v_and_b32_e32 v23, 0x7f800000, v16
	s_delay_alu instid0(VALU_DEP_1)
	v_cmpx_ne_u32_e32 0x7f800000, v23
	s_cbranch_execz .LBB6_3587
; %bb.3580:                             ;   in Loop: Header=BB6_3373 Depth=2
	v_mov_b32_e32 v144, 0
	s_mov_b32 s26, exec_lo
	v_cmpx_ne_u32_e32 0, v16
	s_cbranch_execz .LBB6_3586
; %bb.3581:                             ;   in Loop: Header=BB6_3373 Depth=2
	v_bfe_u32 v23, v16, 23, 8
	s_delay_alu instid0(VALU_DEP_1) | instskip(SKIP_1) | instid1(VALU_DEP_2)
	v_sub_nc_u32_e32 v66, 0x78, v23
	v_cmp_gt_u32_e32 vcc_lo, 0x79, v23
	v_dual_cndmask_b32 v66, 0, v66 :: v_dual_and_b32 v25, 0x7fffff, v16
	s_delay_alu instid0(VALU_DEP_1) | instskip(SKIP_2) | instid1(VALU_DEP_4)
	v_or_b32_e32 v67, 0x800000, v25
	v_cmp_eq_u32_e32 vcc_lo, 0, v23
	v_add_nc_u32_e32 v23, 0xffffff89, v23
	v_cndmask_b32_e64 v66, v66, 0x77, vcc_lo
	s_delay_alu instid0(VALU_DEP_2) | instskip(SKIP_1) | instid1(VALU_DEP_3)
	v_cndmask_b32_e64 v23, v23, 0xffffff8a, vcc_lo
	v_cndmask_b32_e32 v25, v67, v25, vcc_lo
	v_lshl_add_u32 v67, 0x100000, v66, -1
	v_lshlrev_b32_e64 v71, v66, 0x80000
	s_delay_alu instid0(VALU_DEP_3) | instskip(SKIP_1) | instid1(VALU_DEP_4)
	v_lshrrev_b32_e32 v68, v66, v25
	v_add_nc_u32_e32 v66, v66, v23
	v_and_b32_e32 v25, v67, v25
	s_delay_alu instid0(VALU_DEP_3) | instskip(NEXT) | instid1(VALU_DEP_2)
	v_bfe_u32 v70, v68, 20, 1
	v_cmp_eq_u32_e64 s11, v25, v71
	s_delay_alu instid0(VALU_DEP_2) | instskip(NEXT) | instid1(VALU_DEP_1)
	v_add_nc_u32_e32 v67, -1, v70
	v_cndmask_b32_e64 v25, 0, v67, s11
	v_lshrrev_b32_e32 v67, 23, v68
	s_mov_b32 s11, exec_lo
	s_delay_alu instid0(VALU_DEP_2) | instskip(NEXT) | instid1(VALU_DEP_2)
	v_add_nc_u32_e32 v25, v25, v68
	v_xor_b32_e32 v67, 1, v67
	s_delay_alu instid0(VALU_DEP_2) | instskip(NEXT) | instid1(VALU_DEP_1)
	v_and_b32_e32 v23, 0xfffff, v25
	v_add_nc_u32_e32 v25, v23, v68
                                        ; implicit-def: $vgpr23
	s_delay_alu instid0(VALU_DEP_3)
	v_cmpx_ne_u32_e64 v66, v67
	s_xor_b32 s11, exec_lo, s11
; %bb.3582:                             ;   in Loop: Header=BB6_3373 Depth=2
	s_delay_alu instid0(VALU_DEP_2) | instskip(SKIP_2) | instid1(VALU_DEP_2)
	v_cmp_lt_u32_e32 vcc_lo, 0xffffff, v25
	v_sub_nc_u32_e32 v23, v66, v67
	v_cndmask_b32_e64 v66, 0, 1, vcc_lo
	v_add_co_ci_u32_e32 v23, vcc_lo, 0, v23, vcc_lo
	s_delay_alu instid0(VALU_DEP_2)
	v_lshrrev_b32_e32 v25, v66, v25
; %bb.3583:                             ;   in Loop: Header=BB6_3373 Depth=2
	s_and_not1_saveexec_b32 s11, s11
; %bb.3584:                             ;   in Loop: Header=BB6_3373 Depth=2
	s_delay_alu instid0(VALU_DEP_1)
	v_bfe_u32 v23, v25, 23, 1
; %bb.3585:                             ;   in Loop: Header=BB6_3373 Depth=2
	s_or_b32 exec_lo, exec_lo, s11
	v_lshrrev_b32_e32 v25, 20, v25
	s_delay_alu instid0(VALU_DEP_2) | instskip(SKIP_2) | instid1(VALU_DEP_2)
	v_cmp_gt_i32_e32 vcc_lo, 16, v23
	v_lshrrev_b32_e32 v16, 24, v16
	v_min_i32_e32 v66, 15, v23
	v_dual_cndmask_b32 v25, 7, v25 :: v_dual_and_b32 v16, 0x80, v16
	s_delay_alu instid0(VALU_DEP_2) | instskip(NEXT) | instid1(VALU_DEP_2)
	v_lshlrev_b32_e32 v66, 3, v66
	v_or_b32_e32 v23, v23, v25
	s_delay_alu instid0(VALU_DEP_1) | instskip(SKIP_1) | instid1(VALU_DEP_1)
	v_cmp_ne_u32_e32 vcc_lo, 0, v23
	v_and_b32_e32 v67, 7, v25
	v_or3_b32 v16, v66, v16, v67
	s_delay_alu instid0(VALU_DEP_1)
	v_cndmask_b32_e32 v144, 0, v16, vcc_lo
.LBB6_3586:                             ;   in Loop: Header=BB6_3373 Depth=2
	s_or_b32 exec_lo, exec_lo, s26
.LBB6_3587:                             ;   in Loop: Header=BB6_3373 Depth=2
	s_delay_alu instid0(SALU_CYCLE_1)
	s_or_b32 exec_lo, exec_lo, s25
	flat_load_u8 v16, v[10:11] offset:544 slc dlc
	s_mov_b32 s11, 0
	s_mov_b32 s26, exec_lo
                                        ; implicit-def: $sgpr25
	s_waitcnt vmcnt(0) lgkmcnt(0)
	v_cmpx_lt_i16_e32 0x7f, v16
	s_xor_b32 s26, exec_lo, s26
	s_cbranch_execnz .LBB6_4348
; %bb.3588:                             ;   in Loop: Header=BB6_3373 Depth=2
	s_or_saveexec_b32 s26, s26
	v_mov_b32_e32 v23, s25
	s_xor_b32 exec_lo, exec_lo, s26
	s_cbranch_execnz .LBB6_4351
.LBB6_3589:                             ;   in Loop: Header=BB6_3373 Depth=2
	s_or_b32 exec_lo, exec_lo, s26
	s_and_saveexec_b32 s25, s11
	s_cbranch_execz .LBB6_3591
.LBB6_3590:                             ;   in Loop: Header=BB6_3373 Depth=2
	v_and_b32_e32 v23, 0xffff, v16
	s_delay_alu instid0(VALU_DEP_1) | instskip(NEXT) | instid1(VALU_DEP_1)
	v_and_b32_e32 v25, 7, v23
	v_clz_i32_u32_e32 v66, v25
	s_delay_alu instid0(VALU_DEP_1) | instskip(NEXT) | instid1(VALU_DEP_1)
	v_min_u32_e32 v66, 32, v66
	v_subrev_nc_u32_e32 v67, 28, v66
	v_sub_nc_u32_e32 v66, 29, v66
	s_delay_alu instid0(VALU_DEP_2) | instskip(SKIP_1) | instid1(VALU_DEP_2)
	v_lshlrev_b32_e32 v67, v67, v23
	v_bfe_u32 v23, v23, 3, 4
	v_and_b32_e32 v67, 7, v67
	s_delay_alu instid0(VALU_DEP_2) | instskip(SKIP_1) | instid1(VALU_DEP_1)
	v_cmp_eq_u32_e32 vcc_lo, 0, v23
	v_dual_cndmask_b32 v23, v23, v66 :: v_dual_lshlrev_b32 v16, 24, v16
	v_dual_cndmask_b32 v25, v25, v67 :: v_dual_and_b32 v16, 0x80000000, v16
	s_delay_alu instid0(VALU_DEP_2) | instskip(NEXT) | instid1(VALU_DEP_2)
	v_lshl_add_u32 v23, v23, 23, 0x3b800000
	v_lshlrev_b32_e32 v25, 20, v25
	s_delay_alu instid0(VALU_DEP_1)
	v_or3_b32 v23, v16, v23, v25
.LBB6_3591:                             ;   in Loop: Header=BB6_3373 Depth=2
	s_or_b32 exec_lo, exec_lo, s25
	s_delay_alu instid0(VALU_DEP_1) | instskip(SKIP_1) | instid1(VALU_DEP_1)
	v_dual_mul_f32 v16, v17, v23 :: v_dual_mov_b32 v135, 0x80
	s_mov_b32 s25, exec_lo
	v_and_b32_e32 v23, 0x7f800000, v16
	s_delay_alu instid0(VALU_DEP_1)
	v_cmpx_ne_u32_e32 0x7f800000, v23
	s_cbranch_execz .LBB6_3599
; %bb.3592:                             ;   in Loop: Header=BB6_3373 Depth=2
	v_mov_b32_e32 v135, 0
	s_mov_b32 s26, exec_lo
	v_cmpx_ne_u32_e32 0, v16
	s_cbranch_execz .LBB6_3598
; %bb.3593:                             ;   in Loop: Header=BB6_3373 Depth=2
	v_bfe_u32 v23, v16, 23, 8
	s_delay_alu instid0(VALU_DEP_1) | instskip(SKIP_1) | instid1(VALU_DEP_2)
	v_sub_nc_u32_e32 v66, 0x78, v23
	v_cmp_gt_u32_e32 vcc_lo, 0x79, v23
	v_dual_cndmask_b32 v66, 0, v66 :: v_dual_and_b32 v25, 0x7fffff, v16
	s_delay_alu instid0(VALU_DEP_1) | instskip(SKIP_2) | instid1(VALU_DEP_4)
	v_or_b32_e32 v67, 0x800000, v25
	v_cmp_eq_u32_e32 vcc_lo, 0, v23
	v_add_nc_u32_e32 v23, 0xffffff89, v23
	v_cndmask_b32_e64 v66, v66, 0x77, vcc_lo
	s_delay_alu instid0(VALU_DEP_2) | instskip(SKIP_1) | instid1(VALU_DEP_3)
	v_cndmask_b32_e64 v23, v23, 0xffffff8a, vcc_lo
	v_cndmask_b32_e32 v25, v67, v25, vcc_lo
	v_lshl_add_u32 v67, 0x100000, v66, -1
	v_lshlrev_b32_e64 v71, v66, 0x80000
	s_delay_alu instid0(VALU_DEP_3) | instskip(SKIP_1) | instid1(VALU_DEP_4)
	v_lshrrev_b32_e32 v68, v66, v25
	v_add_nc_u32_e32 v66, v66, v23
	v_and_b32_e32 v25, v67, v25
	s_delay_alu instid0(VALU_DEP_3) | instskip(NEXT) | instid1(VALU_DEP_2)
	v_bfe_u32 v70, v68, 20, 1
	v_cmp_eq_u32_e64 s11, v25, v71
	s_delay_alu instid0(VALU_DEP_2) | instskip(NEXT) | instid1(VALU_DEP_1)
	v_add_nc_u32_e32 v67, -1, v70
	v_cndmask_b32_e64 v25, 0, v67, s11
	v_lshrrev_b32_e32 v67, 23, v68
	s_mov_b32 s11, exec_lo
	s_delay_alu instid0(VALU_DEP_2) | instskip(NEXT) | instid1(VALU_DEP_2)
	v_add_nc_u32_e32 v25, v25, v68
	v_xor_b32_e32 v67, 1, v67
	s_delay_alu instid0(VALU_DEP_2) | instskip(NEXT) | instid1(VALU_DEP_1)
	v_and_b32_e32 v23, 0xfffff, v25
	v_add_nc_u32_e32 v25, v23, v68
                                        ; implicit-def: $vgpr23
	s_delay_alu instid0(VALU_DEP_3)
	v_cmpx_ne_u32_e64 v66, v67
	s_xor_b32 s11, exec_lo, s11
; %bb.3594:                             ;   in Loop: Header=BB6_3373 Depth=2
	s_delay_alu instid0(VALU_DEP_2) | instskip(SKIP_2) | instid1(VALU_DEP_2)
	v_cmp_lt_u32_e32 vcc_lo, 0xffffff, v25
	v_sub_nc_u32_e32 v23, v66, v67
	v_cndmask_b32_e64 v66, 0, 1, vcc_lo
	v_add_co_ci_u32_e32 v23, vcc_lo, 0, v23, vcc_lo
	s_delay_alu instid0(VALU_DEP_2)
	v_lshrrev_b32_e32 v25, v66, v25
; %bb.3595:                             ;   in Loop: Header=BB6_3373 Depth=2
	s_and_not1_saveexec_b32 s11, s11
; %bb.3596:                             ;   in Loop: Header=BB6_3373 Depth=2
	s_delay_alu instid0(VALU_DEP_1)
	v_bfe_u32 v23, v25, 23, 1
; %bb.3597:                             ;   in Loop: Header=BB6_3373 Depth=2
	s_or_b32 exec_lo, exec_lo, s11
	v_lshrrev_b32_e32 v25, 20, v25
	s_delay_alu instid0(VALU_DEP_2) | instskip(SKIP_2) | instid1(VALU_DEP_2)
	v_cmp_gt_i32_e32 vcc_lo, 16, v23
	v_lshrrev_b32_e32 v16, 24, v16
	v_min_i32_e32 v66, 15, v23
	v_dual_cndmask_b32 v25, 7, v25 :: v_dual_and_b32 v16, 0x80, v16
	s_delay_alu instid0(VALU_DEP_1) | instskip(SKIP_1) | instid1(VALU_DEP_2)
	v_or_b32_e32 v23, v23, v25
	v_and_b32_e32 v67, 7, v25
	v_cmp_ne_u32_e32 vcc_lo, 0, v23
	v_lshlrev_b32_e32 v66, 3, v66
	s_delay_alu instid0(VALU_DEP_1) | instskip(NEXT) | instid1(VALU_DEP_1)
	v_or3_b32 v16, v66, v16, v67
	v_cndmask_b32_e32 v135, 0, v16, vcc_lo
.LBB6_3598:                             ;   in Loop: Header=BB6_3373 Depth=2
	s_or_b32 exec_lo, exec_lo, s26
.LBB6_3599:                             ;   in Loop: Header=BB6_3373 Depth=2
	s_delay_alu instid0(SALU_CYCLE_1)
	s_or_b32 exec_lo, exec_lo, s25
	flat_load_u8 v16, v[10:11] offset:576 slc dlc
	s_mov_b32 s11, 0
	s_mov_b32 s26, exec_lo
                                        ; implicit-def: $sgpr25
	s_waitcnt vmcnt(0) lgkmcnt(0)
	v_cmpx_lt_i16_e32 0x7f, v16
	s_xor_b32 s26, exec_lo, s26
	s_cbranch_execnz .LBB6_4352
; %bb.3600:                             ;   in Loop: Header=BB6_3373 Depth=2
	s_or_saveexec_b32 s26, s26
	v_mov_b32_e32 v23, s25
	s_xor_b32 exec_lo, exec_lo, s26
	s_cbranch_execnz .LBB6_4355
.LBB6_3601:                             ;   in Loop: Header=BB6_3373 Depth=2
	s_or_b32 exec_lo, exec_lo, s26
	s_and_saveexec_b32 s25, s11
	s_cbranch_execz .LBB6_3603
.LBB6_3602:                             ;   in Loop: Header=BB6_3373 Depth=2
	v_and_b32_e32 v23, 0xffff, v16
	s_delay_alu instid0(VALU_DEP_1) | instskip(NEXT) | instid1(VALU_DEP_1)
	v_and_b32_e32 v25, 7, v23
	v_clz_i32_u32_e32 v66, v25
	s_delay_alu instid0(VALU_DEP_1) | instskip(NEXT) | instid1(VALU_DEP_1)
	v_min_u32_e32 v66, 32, v66
	v_subrev_nc_u32_e32 v67, 28, v66
	v_sub_nc_u32_e32 v66, 29, v66
	s_delay_alu instid0(VALU_DEP_2) | instskip(SKIP_1) | instid1(VALU_DEP_2)
	v_lshlrev_b32_e32 v67, v67, v23
	v_bfe_u32 v23, v23, 3, 4
	v_and_b32_e32 v67, 7, v67
	s_delay_alu instid0(VALU_DEP_2) | instskip(SKIP_1) | instid1(VALU_DEP_1)
	v_cmp_eq_u32_e32 vcc_lo, 0, v23
	v_dual_cndmask_b32 v23, v23, v66 :: v_dual_lshlrev_b32 v16, 24, v16
	v_dual_cndmask_b32 v25, v25, v67 :: v_dual_and_b32 v16, 0x80000000, v16
	s_delay_alu instid0(VALU_DEP_2) | instskip(NEXT) | instid1(VALU_DEP_2)
	v_lshl_add_u32 v23, v23, 23, 0x3b800000
	v_lshlrev_b32_e32 v25, 20, v25
	s_delay_alu instid0(VALU_DEP_1)
	v_or3_b32 v23, v16, v23, v25
.LBB6_3603:                             ;   in Loop: Header=BB6_3373 Depth=2
	s_or_b32 exec_lo, exec_lo, s25
	s_delay_alu instid0(VALU_DEP_1) | instskip(SKIP_1) | instid1(VALU_DEP_1)
	v_dual_mul_f32 v16, v17, v23 :: v_dual_mov_b32 v133, 0x80
	s_mov_b32 s25, exec_lo
	v_and_b32_e32 v23, 0x7f800000, v16
	s_delay_alu instid0(VALU_DEP_1)
	v_cmpx_ne_u32_e32 0x7f800000, v23
	s_cbranch_execz .LBB6_3611
; %bb.3604:                             ;   in Loop: Header=BB6_3373 Depth=2
	v_mov_b32_e32 v133, 0
	s_mov_b32 s26, exec_lo
	v_cmpx_ne_u32_e32 0, v16
	s_cbranch_execz .LBB6_3610
; %bb.3605:                             ;   in Loop: Header=BB6_3373 Depth=2
	v_bfe_u32 v23, v16, 23, 8
	s_delay_alu instid0(VALU_DEP_1) | instskip(SKIP_1) | instid1(VALU_DEP_2)
	v_sub_nc_u32_e32 v66, 0x78, v23
	v_cmp_gt_u32_e32 vcc_lo, 0x79, v23
	v_dual_cndmask_b32 v66, 0, v66 :: v_dual_and_b32 v25, 0x7fffff, v16
	s_delay_alu instid0(VALU_DEP_1) | instskip(SKIP_2) | instid1(VALU_DEP_4)
	v_or_b32_e32 v67, 0x800000, v25
	v_cmp_eq_u32_e32 vcc_lo, 0, v23
	v_add_nc_u32_e32 v23, 0xffffff89, v23
	v_cndmask_b32_e64 v66, v66, 0x77, vcc_lo
	s_delay_alu instid0(VALU_DEP_2) | instskip(SKIP_1) | instid1(VALU_DEP_3)
	v_cndmask_b32_e64 v23, v23, 0xffffff8a, vcc_lo
	v_cndmask_b32_e32 v25, v67, v25, vcc_lo
	v_lshl_add_u32 v67, 0x100000, v66, -1
	v_lshlrev_b32_e64 v71, v66, 0x80000
	s_delay_alu instid0(VALU_DEP_3) | instskip(SKIP_1) | instid1(VALU_DEP_4)
	v_lshrrev_b32_e32 v68, v66, v25
	v_add_nc_u32_e32 v66, v66, v23
	v_and_b32_e32 v25, v67, v25
	s_delay_alu instid0(VALU_DEP_3) | instskip(NEXT) | instid1(VALU_DEP_2)
	v_bfe_u32 v70, v68, 20, 1
	v_cmp_eq_u32_e64 s11, v25, v71
	s_delay_alu instid0(VALU_DEP_2) | instskip(NEXT) | instid1(VALU_DEP_1)
	v_add_nc_u32_e32 v67, -1, v70
	v_cndmask_b32_e64 v25, 0, v67, s11
	v_lshrrev_b32_e32 v67, 23, v68
	s_mov_b32 s11, exec_lo
	s_delay_alu instid0(VALU_DEP_2) | instskip(NEXT) | instid1(VALU_DEP_2)
	v_add_nc_u32_e32 v25, v25, v68
	v_xor_b32_e32 v67, 1, v67
	s_delay_alu instid0(VALU_DEP_2) | instskip(NEXT) | instid1(VALU_DEP_1)
	v_and_b32_e32 v23, 0xfffff, v25
	v_add_nc_u32_e32 v25, v23, v68
                                        ; implicit-def: $vgpr23
	s_delay_alu instid0(VALU_DEP_3)
	v_cmpx_ne_u32_e64 v66, v67
	s_xor_b32 s11, exec_lo, s11
; %bb.3606:                             ;   in Loop: Header=BB6_3373 Depth=2
	s_delay_alu instid0(VALU_DEP_2) | instskip(SKIP_2) | instid1(VALU_DEP_2)
	v_cmp_lt_u32_e32 vcc_lo, 0xffffff, v25
	v_sub_nc_u32_e32 v23, v66, v67
	v_cndmask_b32_e64 v66, 0, 1, vcc_lo
	v_add_co_ci_u32_e32 v23, vcc_lo, 0, v23, vcc_lo
	s_delay_alu instid0(VALU_DEP_2)
	v_lshrrev_b32_e32 v25, v66, v25
; %bb.3607:                             ;   in Loop: Header=BB6_3373 Depth=2
	s_and_not1_saveexec_b32 s11, s11
; %bb.3608:                             ;   in Loop: Header=BB6_3373 Depth=2
	s_delay_alu instid0(VALU_DEP_1)
	v_bfe_u32 v23, v25, 23, 1
; %bb.3609:                             ;   in Loop: Header=BB6_3373 Depth=2
	s_or_b32 exec_lo, exec_lo, s11
	v_lshrrev_b32_e32 v25, 20, v25
	s_delay_alu instid0(VALU_DEP_2) | instskip(SKIP_2) | instid1(VALU_DEP_2)
	v_cmp_gt_i32_e32 vcc_lo, 16, v23
	v_lshrrev_b32_e32 v16, 24, v16
	v_min_i32_e32 v66, 15, v23
	v_dual_cndmask_b32 v25, 7, v25 :: v_dual_and_b32 v16, 0x80, v16
	s_delay_alu instid0(VALU_DEP_1) | instskip(SKIP_1) | instid1(VALU_DEP_2)
	v_or_b32_e32 v23, v23, v25
	v_and_b32_e32 v67, 7, v25
	v_cmp_ne_u32_e32 vcc_lo, 0, v23
	v_lshlrev_b32_e32 v66, 3, v66
	s_delay_alu instid0(VALU_DEP_1) | instskip(NEXT) | instid1(VALU_DEP_1)
	v_or3_b32 v16, v66, v16, v67
	v_cndmask_b32_e32 v133, 0, v16, vcc_lo
.LBB6_3610:                             ;   in Loop: Header=BB6_3373 Depth=2
	s_or_b32 exec_lo, exec_lo, s26
.LBB6_3611:                             ;   in Loop: Header=BB6_3373 Depth=2
	s_delay_alu instid0(SALU_CYCLE_1)
	s_or_b32 exec_lo, exec_lo, s25
	flat_load_u8 v16, v[10:11] offset:608 slc dlc
	s_mov_b32 s11, 0
	s_mov_b32 s26, exec_lo
                                        ; implicit-def: $sgpr25
	s_waitcnt vmcnt(0) lgkmcnt(0)
	v_cmpx_lt_i16_e32 0x7f, v16
	s_xor_b32 s26, exec_lo, s26
	s_cbranch_execnz .LBB6_4356
; %bb.3612:                             ;   in Loop: Header=BB6_3373 Depth=2
	s_or_saveexec_b32 s26, s26
	v_mov_b32_e32 v23, s25
	s_xor_b32 exec_lo, exec_lo, s26
	s_cbranch_execnz .LBB6_4359
.LBB6_3613:                             ;   in Loop: Header=BB6_3373 Depth=2
	s_or_b32 exec_lo, exec_lo, s26
	s_and_saveexec_b32 s25, s11
	s_cbranch_execz .LBB6_3615
.LBB6_3614:                             ;   in Loop: Header=BB6_3373 Depth=2
	v_and_b32_e32 v23, 0xffff, v16
	s_delay_alu instid0(VALU_DEP_1) | instskip(NEXT) | instid1(VALU_DEP_1)
	v_and_b32_e32 v25, 7, v23
	v_clz_i32_u32_e32 v66, v25
	s_delay_alu instid0(VALU_DEP_1) | instskip(NEXT) | instid1(VALU_DEP_1)
	v_min_u32_e32 v66, 32, v66
	v_subrev_nc_u32_e32 v67, 28, v66
	v_sub_nc_u32_e32 v66, 29, v66
	s_delay_alu instid0(VALU_DEP_2) | instskip(SKIP_1) | instid1(VALU_DEP_2)
	v_lshlrev_b32_e32 v67, v67, v23
	v_bfe_u32 v23, v23, 3, 4
	v_and_b32_e32 v67, 7, v67
	s_delay_alu instid0(VALU_DEP_2) | instskip(SKIP_1) | instid1(VALU_DEP_1)
	v_cmp_eq_u32_e32 vcc_lo, 0, v23
	v_dual_cndmask_b32 v23, v23, v66 :: v_dual_lshlrev_b32 v16, 24, v16
	v_dual_cndmask_b32 v25, v25, v67 :: v_dual_and_b32 v16, 0x80000000, v16
	s_delay_alu instid0(VALU_DEP_2) | instskip(NEXT) | instid1(VALU_DEP_2)
	v_lshl_add_u32 v23, v23, 23, 0x3b800000
	v_lshlrev_b32_e32 v25, 20, v25
	s_delay_alu instid0(VALU_DEP_1)
	v_or3_b32 v23, v16, v23, v25
.LBB6_3615:                             ;   in Loop: Header=BB6_3373 Depth=2
	s_or_b32 exec_lo, exec_lo, s25
	s_delay_alu instid0(VALU_DEP_1) | instskip(SKIP_1) | instid1(VALU_DEP_1)
	v_dual_mul_f32 v16, v17, v23 :: v_dual_mov_b32 v131, 0x80
	s_mov_b32 s25, exec_lo
	v_and_b32_e32 v23, 0x7f800000, v16
	s_delay_alu instid0(VALU_DEP_1)
	v_cmpx_ne_u32_e32 0x7f800000, v23
	s_cbranch_execz .LBB6_3623
; %bb.3616:                             ;   in Loop: Header=BB6_3373 Depth=2
	v_mov_b32_e32 v131, 0
	s_mov_b32 s26, exec_lo
	v_cmpx_ne_u32_e32 0, v16
	s_cbranch_execz .LBB6_3622
; %bb.3617:                             ;   in Loop: Header=BB6_3373 Depth=2
	v_bfe_u32 v23, v16, 23, 8
	s_delay_alu instid0(VALU_DEP_1) | instskip(SKIP_1) | instid1(VALU_DEP_2)
	v_sub_nc_u32_e32 v66, 0x78, v23
	v_cmp_gt_u32_e32 vcc_lo, 0x79, v23
	v_dual_cndmask_b32 v66, 0, v66 :: v_dual_and_b32 v25, 0x7fffff, v16
	s_delay_alu instid0(VALU_DEP_1) | instskip(SKIP_2) | instid1(VALU_DEP_4)
	v_or_b32_e32 v67, 0x800000, v25
	v_cmp_eq_u32_e32 vcc_lo, 0, v23
	v_add_nc_u32_e32 v23, 0xffffff89, v23
	v_cndmask_b32_e64 v66, v66, 0x77, vcc_lo
	s_delay_alu instid0(VALU_DEP_2) | instskip(SKIP_1) | instid1(VALU_DEP_3)
	v_cndmask_b32_e64 v23, v23, 0xffffff8a, vcc_lo
	v_cndmask_b32_e32 v25, v67, v25, vcc_lo
	v_lshl_add_u32 v67, 0x100000, v66, -1
	v_lshlrev_b32_e64 v71, v66, 0x80000
	s_delay_alu instid0(VALU_DEP_3) | instskip(SKIP_1) | instid1(VALU_DEP_4)
	v_lshrrev_b32_e32 v68, v66, v25
	v_add_nc_u32_e32 v66, v66, v23
	v_and_b32_e32 v25, v67, v25
	s_delay_alu instid0(VALU_DEP_3) | instskip(NEXT) | instid1(VALU_DEP_2)
	v_bfe_u32 v70, v68, 20, 1
	v_cmp_eq_u32_e64 s11, v25, v71
	s_delay_alu instid0(VALU_DEP_2) | instskip(NEXT) | instid1(VALU_DEP_1)
	v_add_nc_u32_e32 v67, -1, v70
	v_cndmask_b32_e64 v25, 0, v67, s11
	v_lshrrev_b32_e32 v67, 23, v68
	s_mov_b32 s11, exec_lo
	s_delay_alu instid0(VALU_DEP_2) | instskip(NEXT) | instid1(VALU_DEP_2)
	v_add_nc_u32_e32 v25, v25, v68
	v_xor_b32_e32 v67, 1, v67
	s_delay_alu instid0(VALU_DEP_2) | instskip(NEXT) | instid1(VALU_DEP_1)
	v_and_b32_e32 v23, 0xfffff, v25
	v_add_nc_u32_e32 v25, v23, v68
                                        ; implicit-def: $vgpr23
	s_delay_alu instid0(VALU_DEP_3)
	v_cmpx_ne_u32_e64 v66, v67
	s_xor_b32 s11, exec_lo, s11
; %bb.3618:                             ;   in Loop: Header=BB6_3373 Depth=2
	s_delay_alu instid0(VALU_DEP_2) | instskip(SKIP_2) | instid1(VALU_DEP_2)
	v_cmp_lt_u32_e32 vcc_lo, 0xffffff, v25
	v_sub_nc_u32_e32 v23, v66, v67
	v_cndmask_b32_e64 v66, 0, 1, vcc_lo
	v_add_co_ci_u32_e32 v23, vcc_lo, 0, v23, vcc_lo
	s_delay_alu instid0(VALU_DEP_2)
	v_lshrrev_b32_e32 v25, v66, v25
; %bb.3619:                             ;   in Loop: Header=BB6_3373 Depth=2
	s_and_not1_saveexec_b32 s11, s11
; %bb.3620:                             ;   in Loop: Header=BB6_3373 Depth=2
	s_delay_alu instid0(VALU_DEP_1)
	v_bfe_u32 v23, v25, 23, 1
; %bb.3621:                             ;   in Loop: Header=BB6_3373 Depth=2
	s_or_b32 exec_lo, exec_lo, s11
	v_lshrrev_b32_e32 v25, 20, v25
	s_delay_alu instid0(VALU_DEP_2) | instskip(SKIP_2) | instid1(VALU_DEP_2)
	v_cmp_gt_i32_e32 vcc_lo, 16, v23
	v_lshrrev_b32_e32 v16, 24, v16
	v_min_i32_e32 v66, 15, v23
	v_dual_cndmask_b32 v25, 7, v25 :: v_dual_and_b32 v16, 0x80, v16
	s_delay_alu instid0(VALU_DEP_1) | instskip(SKIP_1) | instid1(VALU_DEP_2)
	v_or_b32_e32 v23, v23, v25
	v_and_b32_e32 v67, 7, v25
	v_cmp_ne_u32_e32 vcc_lo, 0, v23
	v_lshlrev_b32_e32 v66, 3, v66
	s_delay_alu instid0(VALU_DEP_1) | instskip(NEXT) | instid1(VALU_DEP_1)
	v_or3_b32 v16, v66, v16, v67
	v_cndmask_b32_e32 v131, 0, v16, vcc_lo
.LBB6_3622:                             ;   in Loop: Header=BB6_3373 Depth=2
	s_or_b32 exec_lo, exec_lo, s26
.LBB6_3623:                             ;   in Loop: Header=BB6_3373 Depth=2
	s_delay_alu instid0(SALU_CYCLE_1)
	s_or_b32 exec_lo, exec_lo, s25
	flat_load_u8 v16, v[10:11] offset:640 slc dlc
	s_mov_b32 s11, 0
	s_mov_b32 s26, exec_lo
                                        ; implicit-def: $sgpr25
	s_waitcnt vmcnt(0) lgkmcnt(0)
	v_cmpx_lt_i16_e32 0x7f, v16
	s_xor_b32 s26, exec_lo, s26
	s_cbranch_execnz .LBB6_4360
; %bb.3624:                             ;   in Loop: Header=BB6_3373 Depth=2
	s_or_saveexec_b32 s26, s26
	v_mov_b32_e32 v23, s25
	s_xor_b32 exec_lo, exec_lo, s26
	s_cbranch_execnz .LBB6_4363
.LBB6_3625:                             ;   in Loop: Header=BB6_3373 Depth=2
	s_or_b32 exec_lo, exec_lo, s26
	s_and_saveexec_b32 s25, s11
	s_cbranch_execz .LBB6_3627
.LBB6_3626:                             ;   in Loop: Header=BB6_3373 Depth=2
	v_and_b32_e32 v23, 0xffff, v16
	s_delay_alu instid0(VALU_DEP_1) | instskip(NEXT) | instid1(VALU_DEP_1)
	v_and_b32_e32 v25, 7, v23
	v_clz_i32_u32_e32 v66, v25
	s_delay_alu instid0(VALU_DEP_1) | instskip(NEXT) | instid1(VALU_DEP_1)
	v_min_u32_e32 v66, 32, v66
	v_subrev_nc_u32_e32 v67, 28, v66
	v_sub_nc_u32_e32 v66, 29, v66
	s_delay_alu instid0(VALU_DEP_2) | instskip(SKIP_1) | instid1(VALU_DEP_2)
	v_lshlrev_b32_e32 v67, v67, v23
	v_bfe_u32 v23, v23, 3, 4
	v_and_b32_e32 v67, 7, v67
	s_delay_alu instid0(VALU_DEP_2) | instskip(SKIP_1) | instid1(VALU_DEP_1)
	v_cmp_eq_u32_e32 vcc_lo, 0, v23
	v_dual_cndmask_b32 v23, v23, v66 :: v_dual_lshlrev_b32 v16, 24, v16
	v_dual_cndmask_b32 v25, v25, v67 :: v_dual_and_b32 v16, 0x80000000, v16
	s_delay_alu instid0(VALU_DEP_2) | instskip(NEXT) | instid1(VALU_DEP_2)
	v_lshl_add_u32 v23, v23, 23, 0x3b800000
	v_lshlrev_b32_e32 v25, 20, v25
	s_delay_alu instid0(VALU_DEP_1)
	v_or3_b32 v23, v16, v23, v25
.LBB6_3627:                             ;   in Loop: Header=BB6_3373 Depth=2
	s_or_b32 exec_lo, exec_lo, s25
	s_delay_alu instid0(VALU_DEP_1) | instskip(SKIP_2) | instid1(VALU_DEP_2)
	v_mul_f32_e32 v16, v17, v23
	v_mov_b32_e32 v130, 0x80
	s_mov_b32 s25, exec_lo
	v_and_b32_e32 v23, 0x7f800000, v16
	s_delay_alu instid0(VALU_DEP_1)
	v_cmpx_ne_u32_e32 0x7f800000, v23
	s_cbranch_execz .LBB6_3635
; %bb.3628:                             ;   in Loop: Header=BB6_3373 Depth=2
	v_mov_b32_e32 v130, 0
	s_mov_b32 s26, exec_lo
	v_cmpx_ne_u32_e32 0, v16
	s_cbranch_execz .LBB6_3634
; %bb.3629:                             ;   in Loop: Header=BB6_3373 Depth=2
	v_bfe_u32 v23, v16, 23, 8
	s_delay_alu instid0(VALU_DEP_1) | instskip(SKIP_1) | instid1(VALU_DEP_2)
	v_sub_nc_u32_e32 v66, 0x78, v23
	v_cmp_gt_u32_e32 vcc_lo, 0x79, v23
	v_dual_cndmask_b32 v66, 0, v66 :: v_dual_and_b32 v25, 0x7fffff, v16
	s_delay_alu instid0(VALU_DEP_1) | instskip(SKIP_2) | instid1(VALU_DEP_4)
	v_or_b32_e32 v67, 0x800000, v25
	v_cmp_eq_u32_e32 vcc_lo, 0, v23
	v_add_nc_u32_e32 v23, 0xffffff89, v23
	v_cndmask_b32_e64 v66, v66, 0x77, vcc_lo
	s_delay_alu instid0(VALU_DEP_2) | instskip(SKIP_1) | instid1(VALU_DEP_3)
	v_cndmask_b32_e64 v23, v23, 0xffffff8a, vcc_lo
	v_cndmask_b32_e32 v25, v67, v25, vcc_lo
	v_lshl_add_u32 v67, 0x100000, v66, -1
	v_lshlrev_b32_e64 v71, v66, 0x80000
	s_delay_alu instid0(VALU_DEP_3) | instskip(SKIP_1) | instid1(VALU_DEP_4)
	v_lshrrev_b32_e32 v68, v66, v25
	v_add_nc_u32_e32 v66, v66, v23
	v_and_b32_e32 v25, v67, v25
	s_delay_alu instid0(VALU_DEP_3) | instskip(NEXT) | instid1(VALU_DEP_2)
	v_bfe_u32 v70, v68, 20, 1
	v_cmp_eq_u32_e64 s11, v25, v71
	s_delay_alu instid0(VALU_DEP_2) | instskip(NEXT) | instid1(VALU_DEP_1)
	v_add_nc_u32_e32 v67, -1, v70
	v_cndmask_b32_e64 v25, 0, v67, s11
	v_lshrrev_b32_e32 v67, 23, v68
	s_mov_b32 s11, exec_lo
	s_delay_alu instid0(VALU_DEP_2) | instskip(NEXT) | instid1(VALU_DEP_2)
	v_add_nc_u32_e32 v25, v25, v68
	v_xor_b32_e32 v67, 1, v67
	s_delay_alu instid0(VALU_DEP_2) | instskip(NEXT) | instid1(VALU_DEP_1)
	v_and_b32_e32 v23, 0xfffff, v25
	v_add_nc_u32_e32 v25, v23, v68
                                        ; implicit-def: $vgpr23
	s_delay_alu instid0(VALU_DEP_3)
	v_cmpx_ne_u32_e64 v66, v67
	s_xor_b32 s11, exec_lo, s11
; %bb.3630:                             ;   in Loop: Header=BB6_3373 Depth=2
	s_delay_alu instid0(VALU_DEP_2) | instskip(SKIP_2) | instid1(VALU_DEP_2)
	v_cmp_lt_u32_e32 vcc_lo, 0xffffff, v25
	v_sub_nc_u32_e32 v23, v66, v67
	v_cndmask_b32_e64 v66, 0, 1, vcc_lo
	v_add_co_ci_u32_e32 v23, vcc_lo, 0, v23, vcc_lo
	s_delay_alu instid0(VALU_DEP_2)
	v_lshrrev_b32_e32 v25, v66, v25
; %bb.3631:                             ;   in Loop: Header=BB6_3373 Depth=2
	s_and_not1_saveexec_b32 s11, s11
; %bb.3632:                             ;   in Loop: Header=BB6_3373 Depth=2
	s_delay_alu instid0(VALU_DEP_1)
	v_bfe_u32 v23, v25, 23, 1
; %bb.3633:                             ;   in Loop: Header=BB6_3373 Depth=2
	s_or_b32 exec_lo, exec_lo, s11
	v_lshrrev_b32_e32 v25, 20, v25
	s_delay_alu instid0(VALU_DEP_2) | instskip(SKIP_2) | instid1(VALU_DEP_2)
	v_cmp_gt_i32_e32 vcc_lo, 16, v23
	v_lshrrev_b32_e32 v16, 24, v16
	v_min_i32_e32 v66, 15, v23
	v_dual_cndmask_b32 v25, 7, v25 :: v_dual_and_b32 v16, 0x80, v16
	s_delay_alu instid0(VALU_DEP_2) | instskip(NEXT) | instid1(VALU_DEP_2)
	v_lshlrev_b32_e32 v66, 3, v66
	v_or_b32_e32 v23, v23, v25
	s_delay_alu instid0(VALU_DEP_1) | instskip(SKIP_1) | instid1(VALU_DEP_1)
	v_cmp_ne_u32_e32 vcc_lo, 0, v23
	v_and_b32_e32 v67, 7, v25
	v_or3_b32 v16, v66, v16, v67
	s_delay_alu instid0(VALU_DEP_1)
	v_cndmask_b32_e32 v130, 0, v16, vcc_lo
.LBB6_3634:                             ;   in Loop: Header=BB6_3373 Depth=2
	s_or_b32 exec_lo, exec_lo, s26
.LBB6_3635:                             ;   in Loop: Header=BB6_3373 Depth=2
	s_delay_alu instid0(SALU_CYCLE_1)
	s_or_b32 exec_lo, exec_lo, s25
	flat_load_u8 v16, v[10:11] offset:672 slc dlc
	s_mov_b32 s11, 0
	s_mov_b32 s26, exec_lo
                                        ; implicit-def: $sgpr25
	s_waitcnt vmcnt(0) lgkmcnt(0)
	v_cmpx_lt_i16_e32 0x7f, v16
	s_xor_b32 s26, exec_lo, s26
	s_cbranch_execnz .LBB6_4364
; %bb.3636:                             ;   in Loop: Header=BB6_3373 Depth=2
	s_or_saveexec_b32 s26, s26
	v_mov_b32_e32 v23, s25
	s_xor_b32 exec_lo, exec_lo, s26
	s_cbranch_execnz .LBB6_4367
.LBB6_3637:                             ;   in Loop: Header=BB6_3373 Depth=2
	s_or_b32 exec_lo, exec_lo, s26
	s_and_saveexec_b32 s25, s11
	s_cbranch_execz .LBB6_3639
.LBB6_3638:                             ;   in Loop: Header=BB6_3373 Depth=2
	v_and_b32_e32 v23, 0xffff, v16
	s_delay_alu instid0(VALU_DEP_1) | instskip(NEXT) | instid1(VALU_DEP_1)
	v_and_b32_e32 v25, 7, v23
	v_clz_i32_u32_e32 v66, v25
	s_delay_alu instid0(VALU_DEP_1) | instskip(NEXT) | instid1(VALU_DEP_1)
	v_min_u32_e32 v66, 32, v66
	v_subrev_nc_u32_e32 v67, 28, v66
	v_sub_nc_u32_e32 v66, 29, v66
	s_delay_alu instid0(VALU_DEP_2) | instskip(SKIP_1) | instid1(VALU_DEP_2)
	v_lshlrev_b32_e32 v67, v67, v23
	v_bfe_u32 v23, v23, 3, 4
	v_and_b32_e32 v67, 7, v67
	s_delay_alu instid0(VALU_DEP_2) | instskip(SKIP_1) | instid1(VALU_DEP_1)
	v_cmp_eq_u32_e32 vcc_lo, 0, v23
	v_dual_cndmask_b32 v23, v23, v66 :: v_dual_lshlrev_b32 v16, 24, v16
	v_dual_cndmask_b32 v25, v25, v67 :: v_dual_and_b32 v16, 0x80000000, v16
	s_delay_alu instid0(VALU_DEP_2) | instskip(NEXT) | instid1(VALU_DEP_2)
	v_lshl_add_u32 v23, v23, 23, 0x3b800000
	v_lshlrev_b32_e32 v25, 20, v25
	s_delay_alu instid0(VALU_DEP_1)
	v_or3_b32 v23, v16, v23, v25
.LBB6_3639:                             ;   in Loop: Header=BB6_3373 Depth=2
	s_or_b32 exec_lo, exec_lo, s25
	s_delay_alu instid0(VALU_DEP_1) | instskip(SKIP_2) | instid1(VALU_DEP_2)
	v_mul_f32_e32 v16, v17, v23
	v_mov_b32_e32 v128, 0x80
	s_mov_b32 s25, exec_lo
	v_and_b32_e32 v23, 0x7f800000, v16
	s_delay_alu instid0(VALU_DEP_1)
	v_cmpx_ne_u32_e32 0x7f800000, v23
	s_cbranch_execz .LBB6_3647
; %bb.3640:                             ;   in Loop: Header=BB6_3373 Depth=2
	v_mov_b32_e32 v128, 0
	s_mov_b32 s26, exec_lo
	v_cmpx_ne_u32_e32 0, v16
	s_cbranch_execz .LBB6_3646
; %bb.3641:                             ;   in Loop: Header=BB6_3373 Depth=2
	v_bfe_u32 v23, v16, 23, 8
	s_delay_alu instid0(VALU_DEP_1) | instskip(SKIP_1) | instid1(VALU_DEP_2)
	v_sub_nc_u32_e32 v66, 0x78, v23
	v_cmp_gt_u32_e32 vcc_lo, 0x79, v23
	v_dual_cndmask_b32 v66, 0, v66 :: v_dual_and_b32 v25, 0x7fffff, v16
	s_delay_alu instid0(VALU_DEP_1) | instskip(SKIP_2) | instid1(VALU_DEP_4)
	v_or_b32_e32 v67, 0x800000, v25
	v_cmp_eq_u32_e32 vcc_lo, 0, v23
	v_add_nc_u32_e32 v23, 0xffffff89, v23
	v_cndmask_b32_e64 v66, v66, 0x77, vcc_lo
	s_delay_alu instid0(VALU_DEP_2) | instskip(SKIP_1) | instid1(VALU_DEP_3)
	v_cndmask_b32_e64 v23, v23, 0xffffff8a, vcc_lo
	v_cndmask_b32_e32 v25, v67, v25, vcc_lo
	v_lshl_add_u32 v67, 0x100000, v66, -1
	v_lshlrev_b32_e64 v71, v66, 0x80000
	s_delay_alu instid0(VALU_DEP_3) | instskip(SKIP_1) | instid1(VALU_DEP_4)
	v_lshrrev_b32_e32 v68, v66, v25
	v_add_nc_u32_e32 v66, v66, v23
	v_and_b32_e32 v25, v67, v25
	s_delay_alu instid0(VALU_DEP_3) | instskip(NEXT) | instid1(VALU_DEP_2)
	v_bfe_u32 v70, v68, 20, 1
	v_cmp_eq_u32_e64 s11, v25, v71
	s_delay_alu instid0(VALU_DEP_2) | instskip(NEXT) | instid1(VALU_DEP_1)
	v_add_nc_u32_e32 v67, -1, v70
	v_cndmask_b32_e64 v25, 0, v67, s11
	v_lshrrev_b32_e32 v67, 23, v68
	s_mov_b32 s11, exec_lo
	s_delay_alu instid0(VALU_DEP_2) | instskip(NEXT) | instid1(VALU_DEP_2)
	v_add_nc_u32_e32 v25, v25, v68
	v_xor_b32_e32 v67, 1, v67
	s_delay_alu instid0(VALU_DEP_2) | instskip(NEXT) | instid1(VALU_DEP_1)
	v_and_b32_e32 v23, 0xfffff, v25
	v_add_nc_u32_e32 v25, v23, v68
                                        ; implicit-def: $vgpr23
	s_delay_alu instid0(VALU_DEP_3)
	v_cmpx_ne_u32_e64 v66, v67
	s_xor_b32 s11, exec_lo, s11
; %bb.3642:                             ;   in Loop: Header=BB6_3373 Depth=2
	s_delay_alu instid0(VALU_DEP_2) | instskip(SKIP_2) | instid1(VALU_DEP_2)
	v_cmp_lt_u32_e32 vcc_lo, 0xffffff, v25
	v_sub_nc_u32_e32 v23, v66, v67
	v_cndmask_b32_e64 v66, 0, 1, vcc_lo
	v_add_co_ci_u32_e32 v23, vcc_lo, 0, v23, vcc_lo
	s_delay_alu instid0(VALU_DEP_2)
	v_lshrrev_b32_e32 v25, v66, v25
; %bb.3643:                             ;   in Loop: Header=BB6_3373 Depth=2
	s_and_not1_saveexec_b32 s11, s11
; %bb.3644:                             ;   in Loop: Header=BB6_3373 Depth=2
	s_delay_alu instid0(VALU_DEP_1)
	v_bfe_u32 v23, v25, 23, 1
; %bb.3645:                             ;   in Loop: Header=BB6_3373 Depth=2
	s_or_b32 exec_lo, exec_lo, s11
	v_lshrrev_b32_e32 v25, 20, v25
	s_delay_alu instid0(VALU_DEP_2) | instskip(SKIP_2) | instid1(VALU_DEP_2)
	v_cmp_gt_i32_e32 vcc_lo, 16, v23
	v_lshrrev_b32_e32 v16, 24, v16
	v_min_i32_e32 v66, 15, v23
	v_dual_cndmask_b32 v25, 7, v25 :: v_dual_and_b32 v16, 0x80, v16
	s_delay_alu instid0(VALU_DEP_2) | instskip(NEXT) | instid1(VALU_DEP_2)
	v_lshlrev_b32_e32 v66, 3, v66
	v_or_b32_e32 v23, v23, v25
	s_delay_alu instid0(VALU_DEP_1) | instskip(SKIP_1) | instid1(VALU_DEP_1)
	v_cmp_ne_u32_e32 vcc_lo, 0, v23
	v_and_b32_e32 v67, 7, v25
	v_or3_b32 v16, v66, v16, v67
	s_delay_alu instid0(VALU_DEP_1)
	v_cndmask_b32_e32 v128, 0, v16, vcc_lo
.LBB6_3646:                             ;   in Loop: Header=BB6_3373 Depth=2
	s_or_b32 exec_lo, exec_lo, s26
.LBB6_3647:                             ;   in Loop: Header=BB6_3373 Depth=2
	s_delay_alu instid0(SALU_CYCLE_1)
	s_or_b32 exec_lo, exec_lo, s25
	flat_load_u8 v16, v[10:11] offset:704 slc dlc
	s_mov_b32 s11, 0
	s_mov_b32 s26, exec_lo
                                        ; implicit-def: $sgpr25
	s_waitcnt vmcnt(0) lgkmcnt(0)
	v_cmpx_lt_i16_e32 0x7f, v16
	s_xor_b32 s26, exec_lo, s26
	s_cbranch_execnz .LBB6_4368
; %bb.3648:                             ;   in Loop: Header=BB6_3373 Depth=2
	s_or_saveexec_b32 s26, s26
	v_mov_b32_e32 v23, s25
	s_xor_b32 exec_lo, exec_lo, s26
	s_cbranch_execnz .LBB6_4371
.LBB6_3649:                             ;   in Loop: Header=BB6_3373 Depth=2
	s_or_b32 exec_lo, exec_lo, s26
	s_and_saveexec_b32 s25, s11
	s_cbranch_execz .LBB6_3651
.LBB6_3650:                             ;   in Loop: Header=BB6_3373 Depth=2
	v_and_b32_e32 v23, 0xffff, v16
	s_delay_alu instid0(VALU_DEP_1) | instskip(NEXT) | instid1(VALU_DEP_1)
	v_and_b32_e32 v25, 7, v23
	v_clz_i32_u32_e32 v66, v25
	s_delay_alu instid0(VALU_DEP_1) | instskip(NEXT) | instid1(VALU_DEP_1)
	v_min_u32_e32 v66, 32, v66
	v_subrev_nc_u32_e32 v67, 28, v66
	v_sub_nc_u32_e32 v66, 29, v66
	s_delay_alu instid0(VALU_DEP_2) | instskip(SKIP_1) | instid1(VALU_DEP_2)
	v_lshlrev_b32_e32 v67, v67, v23
	v_bfe_u32 v23, v23, 3, 4
	v_and_b32_e32 v67, 7, v67
	s_delay_alu instid0(VALU_DEP_2) | instskip(SKIP_1) | instid1(VALU_DEP_1)
	v_cmp_eq_u32_e32 vcc_lo, 0, v23
	v_dual_cndmask_b32 v23, v23, v66 :: v_dual_lshlrev_b32 v16, 24, v16
	v_dual_cndmask_b32 v25, v25, v67 :: v_dual_and_b32 v16, 0x80000000, v16
	s_delay_alu instid0(VALU_DEP_2) | instskip(NEXT) | instid1(VALU_DEP_2)
	v_lshl_add_u32 v23, v23, 23, 0x3b800000
	v_lshlrev_b32_e32 v25, 20, v25
	s_delay_alu instid0(VALU_DEP_1)
	v_or3_b32 v23, v16, v23, v25
.LBB6_3651:                             ;   in Loop: Header=BB6_3373 Depth=2
	s_or_b32 exec_lo, exec_lo, s25
	s_delay_alu instid0(VALU_DEP_1) | instskip(SKIP_1) | instid1(VALU_DEP_1)
	v_dual_mul_f32 v16, v17, v23 :: v_dual_mov_b32 v119, 0x80
	s_mov_b32 s25, exec_lo
	v_and_b32_e32 v23, 0x7f800000, v16
	s_delay_alu instid0(VALU_DEP_1)
	v_cmpx_ne_u32_e32 0x7f800000, v23
	s_cbranch_execz .LBB6_3659
; %bb.3652:                             ;   in Loop: Header=BB6_3373 Depth=2
	v_mov_b32_e32 v119, 0
	s_mov_b32 s26, exec_lo
	v_cmpx_ne_u32_e32 0, v16
	s_cbranch_execz .LBB6_3658
; %bb.3653:                             ;   in Loop: Header=BB6_3373 Depth=2
	v_bfe_u32 v23, v16, 23, 8
	s_delay_alu instid0(VALU_DEP_1) | instskip(SKIP_1) | instid1(VALU_DEP_2)
	v_sub_nc_u32_e32 v66, 0x78, v23
	v_cmp_gt_u32_e32 vcc_lo, 0x79, v23
	v_dual_cndmask_b32 v66, 0, v66 :: v_dual_and_b32 v25, 0x7fffff, v16
	s_delay_alu instid0(VALU_DEP_1) | instskip(SKIP_2) | instid1(VALU_DEP_4)
	v_or_b32_e32 v67, 0x800000, v25
	v_cmp_eq_u32_e32 vcc_lo, 0, v23
	v_add_nc_u32_e32 v23, 0xffffff89, v23
	v_cndmask_b32_e64 v66, v66, 0x77, vcc_lo
	s_delay_alu instid0(VALU_DEP_2) | instskip(SKIP_1) | instid1(VALU_DEP_3)
	v_cndmask_b32_e64 v23, v23, 0xffffff8a, vcc_lo
	v_cndmask_b32_e32 v25, v67, v25, vcc_lo
	v_lshl_add_u32 v67, 0x100000, v66, -1
	v_lshlrev_b32_e64 v71, v66, 0x80000
	s_delay_alu instid0(VALU_DEP_3) | instskip(SKIP_1) | instid1(VALU_DEP_4)
	v_lshrrev_b32_e32 v68, v66, v25
	v_add_nc_u32_e32 v66, v66, v23
	v_and_b32_e32 v25, v67, v25
	s_delay_alu instid0(VALU_DEP_3) | instskip(NEXT) | instid1(VALU_DEP_2)
	v_bfe_u32 v70, v68, 20, 1
	v_cmp_eq_u32_e64 s11, v25, v71
	s_delay_alu instid0(VALU_DEP_2) | instskip(NEXT) | instid1(VALU_DEP_1)
	v_add_nc_u32_e32 v67, -1, v70
	v_cndmask_b32_e64 v25, 0, v67, s11
	v_lshrrev_b32_e32 v67, 23, v68
	s_mov_b32 s11, exec_lo
	s_delay_alu instid0(VALU_DEP_2) | instskip(NEXT) | instid1(VALU_DEP_2)
	v_add_nc_u32_e32 v25, v25, v68
	v_xor_b32_e32 v67, 1, v67
	s_delay_alu instid0(VALU_DEP_2) | instskip(NEXT) | instid1(VALU_DEP_1)
	v_and_b32_e32 v23, 0xfffff, v25
	v_add_nc_u32_e32 v25, v23, v68
                                        ; implicit-def: $vgpr23
	s_delay_alu instid0(VALU_DEP_3)
	v_cmpx_ne_u32_e64 v66, v67
	s_xor_b32 s11, exec_lo, s11
; %bb.3654:                             ;   in Loop: Header=BB6_3373 Depth=2
	s_delay_alu instid0(VALU_DEP_2) | instskip(SKIP_2) | instid1(VALU_DEP_2)
	v_cmp_lt_u32_e32 vcc_lo, 0xffffff, v25
	v_sub_nc_u32_e32 v23, v66, v67
	v_cndmask_b32_e64 v66, 0, 1, vcc_lo
	v_add_co_ci_u32_e32 v23, vcc_lo, 0, v23, vcc_lo
	s_delay_alu instid0(VALU_DEP_2)
	v_lshrrev_b32_e32 v25, v66, v25
; %bb.3655:                             ;   in Loop: Header=BB6_3373 Depth=2
	s_and_not1_saveexec_b32 s11, s11
; %bb.3656:                             ;   in Loop: Header=BB6_3373 Depth=2
	s_delay_alu instid0(VALU_DEP_1)
	v_bfe_u32 v23, v25, 23, 1
; %bb.3657:                             ;   in Loop: Header=BB6_3373 Depth=2
	s_or_b32 exec_lo, exec_lo, s11
	v_lshrrev_b32_e32 v25, 20, v25
	s_delay_alu instid0(VALU_DEP_2) | instskip(SKIP_2) | instid1(VALU_DEP_2)
	v_cmp_gt_i32_e32 vcc_lo, 16, v23
	v_lshrrev_b32_e32 v16, 24, v16
	v_min_i32_e32 v66, 15, v23
	v_dual_cndmask_b32 v25, 7, v25 :: v_dual_and_b32 v16, 0x80, v16
	s_delay_alu instid0(VALU_DEP_1) | instskip(SKIP_1) | instid1(VALU_DEP_2)
	v_or_b32_e32 v23, v23, v25
	v_and_b32_e32 v67, 7, v25
	v_cmp_ne_u32_e32 vcc_lo, 0, v23
	v_lshlrev_b32_e32 v66, 3, v66
	s_delay_alu instid0(VALU_DEP_1) | instskip(NEXT) | instid1(VALU_DEP_1)
	v_or3_b32 v16, v66, v16, v67
	v_cndmask_b32_e32 v119, 0, v16, vcc_lo
.LBB6_3658:                             ;   in Loop: Header=BB6_3373 Depth=2
	s_or_b32 exec_lo, exec_lo, s26
.LBB6_3659:                             ;   in Loop: Header=BB6_3373 Depth=2
	s_delay_alu instid0(SALU_CYCLE_1)
	s_or_b32 exec_lo, exec_lo, s25
	flat_load_u8 v16, v[10:11] offset:736 slc dlc
	s_mov_b32 s11, 0
	s_mov_b32 s26, exec_lo
                                        ; implicit-def: $sgpr25
	s_waitcnt vmcnt(0) lgkmcnt(0)
	v_cmpx_lt_i16_e32 0x7f, v16
	s_xor_b32 s26, exec_lo, s26
	s_cbranch_execnz .LBB6_4372
; %bb.3660:                             ;   in Loop: Header=BB6_3373 Depth=2
	s_or_saveexec_b32 s26, s26
	v_mov_b32_e32 v23, s25
	s_xor_b32 exec_lo, exec_lo, s26
	s_cbranch_execnz .LBB6_4375
.LBB6_3661:                             ;   in Loop: Header=BB6_3373 Depth=2
	s_or_b32 exec_lo, exec_lo, s26
	s_and_saveexec_b32 s25, s11
	s_cbranch_execz .LBB6_3663
.LBB6_3662:                             ;   in Loop: Header=BB6_3373 Depth=2
	v_and_b32_e32 v23, 0xffff, v16
	s_delay_alu instid0(VALU_DEP_1) | instskip(NEXT) | instid1(VALU_DEP_1)
	v_and_b32_e32 v25, 7, v23
	v_clz_i32_u32_e32 v66, v25
	s_delay_alu instid0(VALU_DEP_1) | instskip(NEXT) | instid1(VALU_DEP_1)
	v_min_u32_e32 v66, 32, v66
	v_subrev_nc_u32_e32 v67, 28, v66
	v_sub_nc_u32_e32 v66, 29, v66
	s_delay_alu instid0(VALU_DEP_2) | instskip(SKIP_1) | instid1(VALU_DEP_2)
	v_lshlrev_b32_e32 v67, v67, v23
	v_bfe_u32 v23, v23, 3, 4
	v_and_b32_e32 v67, 7, v67
	s_delay_alu instid0(VALU_DEP_2) | instskip(SKIP_1) | instid1(VALU_DEP_1)
	v_cmp_eq_u32_e32 vcc_lo, 0, v23
	v_dual_cndmask_b32 v23, v23, v66 :: v_dual_lshlrev_b32 v16, 24, v16
	v_dual_cndmask_b32 v25, v25, v67 :: v_dual_and_b32 v16, 0x80000000, v16
	s_delay_alu instid0(VALU_DEP_2) | instskip(NEXT) | instid1(VALU_DEP_2)
	v_lshl_add_u32 v23, v23, 23, 0x3b800000
	v_lshlrev_b32_e32 v25, 20, v25
	s_delay_alu instid0(VALU_DEP_1)
	v_or3_b32 v23, v16, v23, v25
.LBB6_3663:                             ;   in Loop: Header=BB6_3373 Depth=2
	s_or_b32 exec_lo, exec_lo, s25
	s_delay_alu instid0(VALU_DEP_1) | instskip(SKIP_1) | instid1(VALU_DEP_1)
	v_dual_mul_f32 v16, v17, v23 :: v_dual_mov_b32 v117, 0x80
	s_mov_b32 s25, exec_lo
	v_and_b32_e32 v23, 0x7f800000, v16
	s_delay_alu instid0(VALU_DEP_1)
	v_cmpx_ne_u32_e32 0x7f800000, v23
	s_cbranch_execz .LBB6_3671
; %bb.3664:                             ;   in Loop: Header=BB6_3373 Depth=2
	v_mov_b32_e32 v117, 0
	s_mov_b32 s26, exec_lo
	v_cmpx_ne_u32_e32 0, v16
	s_cbranch_execz .LBB6_3670
; %bb.3665:                             ;   in Loop: Header=BB6_3373 Depth=2
	v_bfe_u32 v23, v16, 23, 8
	s_delay_alu instid0(VALU_DEP_1) | instskip(SKIP_1) | instid1(VALU_DEP_2)
	v_sub_nc_u32_e32 v66, 0x78, v23
	v_cmp_gt_u32_e32 vcc_lo, 0x79, v23
	v_dual_cndmask_b32 v66, 0, v66 :: v_dual_and_b32 v25, 0x7fffff, v16
	s_delay_alu instid0(VALU_DEP_1) | instskip(SKIP_2) | instid1(VALU_DEP_4)
	v_or_b32_e32 v67, 0x800000, v25
	v_cmp_eq_u32_e32 vcc_lo, 0, v23
	v_add_nc_u32_e32 v23, 0xffffff89, v23
	v_cndmask_b32_e64 v66, v66, 0x77, vcc_lo
	s_delay_alu instid0(VALU_DEP_2) | instskip(SKIP_1) | instid1(VALU_DEP_3)
	v_cndmask_b32_e64 v23, v23, 0xffffff8a, vcc_lo
	v_cndmask_b32_e32 v25, v67, v25, vcc_lo
	v_lshl_add_u32 v67, 0x100000, v66, -1
	v_lshlrev_b32_e64 v71, v66, 0x80000
	s_delay_alu instid0(VALU_DEP_3) | instskip(SKIP_1) | instid1(VALU_DEP_4)
	v_lshrrev_b32_e32 v68, v66, v25
	v_add_nc_u32_e32 v66, v66, v23
	v_and_b32_e32 v25, v67, v25
	s_delay_alu instid0(VALU_DEP_3) | instskip(NEXT) | instid1(VALU_DEP_2)
	v_bfe_u32 v70, v68, 20, 1
	v_cmp_eq_u32_e64 s11, v25, v71
	s_delay_alu instid0(VALU_DEP_2) | instskip(NEXT) | instid1(VALU_DEP_1)
	v_add_nc_u32_e32 v67, -1, v70
	v_cndmask_b32_e64 v25, 0, v67, s11
	v_lshrrev_b32_e32 v67, 23, v68
	s_mov_b32 s11, exec_lo
	s_delay_alu instid0(VALU_DEP_2) | instskip(NEXT) | instid1(VALU_DEP_2)
	v_add_nc_u32_e32 v25, v25, v68
	v_xor_b32_e32 v67, 1, v67
	s_delay_alu instid0(VALU_DEP_2) | instskip(NEXT) | instid1(VALU_DEP_1)
	v_and_b32_e32 v23, 0xfffff, v25
	v_add_nc_u32_e32 v25, v23, v68
                                        ; implicit-def: $vgpr23
	s_delay_alu instid0(VALU_DEP_3)
	v_cmpx_ne_u32_e64 v66, v67
	s_xor_b32 s11, exec_lo, s11
; %bb.3666:                             ;   in Loop: Header=BB6_3373 Depth=2
	s_delay_alu instid0(VALU_DEP_2) | instskip(SKIP_2) | instid1(VALU_DEP_2)
	v_cmp_lt_u32_e32 vcc_lo, 0xffffff, v25
	v_sub_nc_u32_e32 v23, v66, v67
	v_cndmask_b32_e64 v66, 0, 1, vcc_lo
	v_add_co_ci_u32_e32 v23, vcc_lo, 0, v23, vcc_lo
	s_delay_alu instid0(VALU_DEP_2)
	v_lshrrev_b32_e32 v25, v66, v25
; %bb.3667:                             ;   in Loop: Header=BB6_3373 Depth=2
	s_and_not1_saveexec_b32 s11, s11
; %bb.3668:                             ;   in Loop: Header=BB6_3373 Depth=2
	s_delay_alu instid0(VALU_DEP_1)
	v_bfe_u32 v23, v25, 23, 1
; %bb.3669:                             ;   in Loop: Header=BB6_3373 Depth=2
	s_or_b32 exec_lo, exec_lo, s11
	v_lshrrev_b32_e32 v25, 20, v25
	s_delay_alu instid0(VALU_DEP_2) | instskip(SKIP_2) | instid1(VALU_DEP_2)
	v_cmp_gt_i32_e32 vcc_lo, 16, v23
	v_lshrrev_b32_e32 v16, 24, v16
	v_min_i32_e32 v66, 15, v23
	v_dual_cndmask_b32 v25, 7, v25 :: v_dual_and_b32 v16, 0x80, v16
	s_delay_alu instid0(VALU_DEP_1) | instskip(SKIP_1) | instid1(VALU_DEP_2)
	v_or_b32_e32 v23, v23, v25
	v_and_b32_e32 v67, 7, v25
	v_cmp_ne_u32_e32 vcc_lo, 0, v23
	v_lshlrev_b32_e32 v66, 3, v66
	s_delay_alu instid0(VALU_DEP_1) | instskip(NEXT) | instid1(VALU_DEP_1)
	v_or3_b32 v16, v66, v16, v67
	v_cndmask_b32_e32 v117, 0, v16, vcc_lo
.LBB6_3670:                             ;   in Loop: Header=BB6_3373 Depth=2
	s_or_b32 exec_lo, exec_lo, s26
.LBB6_3671:                             ;   in Loop: Header=BB6_3373 Depth=2
	s_delay_alu instid0(SALU_CYCLE_1)
	s_or_b32 exec_lo, exec_lo, s25
	flat_load_u8 v16, v[10:11] offset:768 slc dlc
	s_mov_b32 s11, 0
	s_mov_b32 s26, exec_lo
                                        ; implicit-def: $sgpr25
	s_waitcnt vmcnt(0) lgkmcnt(0)
	v_cmpx_lt_i16_e32 0x7f, v16
	s_xor_b32 s26, exec_lo, s26
	s_cbranch_execnz .LBB6_4376
; %bb.3672:                             ;   in Loop: Header=BB6_3373 Depth=2
	s_or_saveexec_b32 s26, s26
	v_mov_b32_e32 v23, s25
	s_xor_b32 exec_lo, exec_lo, s26
	s_cbranch_execnz .LBB6_4379
.LBB6_3673:                             ;   in Loop: Header=BB6_3373 Depth=2
	s_or_b32 exec_lo, exec_lo, s26
	s_and_saveexec_b32 s25, s11
	s_cbranch_execz .LBB6_3675
.LBB6_3674:                             ;   in Loop: Header=BB6_3373 Depth=2
	v_and_b32_e32 v23, 0xffff, v16
	s_delay_alu instid0(VALU_DEP_1) | instskip(NEXT) | instid1(VALU_DEP_1)
	v_and_b32_e32 v25, 7, v23
	v_clz_i32_u32_e32 v66, v25
	s_delay_alu instid0(VALU_DEP_1) | instskip(NEXT) | instid1(VALU_DEP_1)
	v_min_u32_e32 v66, 32, v66
	v_subrev_nc_u32_e32 v67, 28, v66
	v_sub_nc_u32_e32 v66, 29, v66
	s_delay_alu instid0(VALU_DEP_2) | instskip(SKIP_1) | instid1(VALU_DEP_2)
	v_lshlrev_b32_e32 v67, v67, v23
	v_bfe_u32 v23, v23, 3, 4
	v_and_b32_e32 v67, 7, v67
	s_delay_alu instid0(VALU_DEP_2) | instskip(SKIP_1) | instid1(VALU_DEP_1)
	v_cmp_eq_u32_e32 vcc_lo, 0, v23
	v_dual_cndmask_b32 v23, v23, v66 :: v_dual_lshlrev_b32 v16, 24, v16
	v_dual_cndmask_b32 v25, v25, v67 :: v_dual_and_b32 v16, 0x80000000, v16
	s_delay_alu instid0(VALU_DEP_2) | instskip(NEXT) | instid1(VALU_DEP_2)
	v_lshl_add_u32 v23, v23, 23, 0x3b800000
	v_lshlrev_b32_e32 v25, 20, v25
	s_delay_alu instid0(VALU_DEP_1)
	v_or3_b32 v23, v16, v23, v25
.LBB6_3675:                             ;   in Loop: Header=BB6_3373 Depth=2
	s_or_b32 exec_lo, exec_lo, s25
	s_delay_alu instid0(VALU_DEP_1) | instskip(SKIP_1) | instid1(VALU_DEP_1)
	v_dual_mul_f32 v16, v17, v23 :: v_dual_mov_b32 v115, 0x80
	s_mov_b32 s25, exec_lo
	v_and_b32_e32 v23, 0x7f800000, v16
	s_delay_alu instid0(VALU_DEP_1)
	v_cmpx_ne_u32_e32 0x7f800000, v23
	s_cbranch_execz .LBB6_3683
; %bb.3676:                             ;   in Loop: Header=BB6_3373 Depth=2
	v_mov_b32_e32 v115, 0
	s_mov_b32 s26, exec_lo
	v_cmpx_ne_u32_e32 0, v16
	s_cbranch_execz .LBB6_3682
; %bb.3677:                             ;   in Loop: Header=BB6_3373 Depth=2
	v_bfe_u32 v23, v16, 23, 8
	s_delay_alu instid0(VALU_DEP_1) | instskip(SKIP_1) | instid1(VALU_DEP_2)
	v_sub_nc_u32_e32 v66, 0x78, v23
	v_cmp_gt_u32_e32 vcc_lo, 0x79, v23
	v_dual_cndmask_b32 v66, 0, v66 :: v_dual_and_b32 v25, 0x7fffff, v16
	s_delay_alu instid0(VALU_DEP_1) | instskip(SKIP_2) | instid1(VALU_DEP_4)
	v_or_b32_e32 v67, 0x800000, v25
	v_cmp_eq_u32_e32 vcc_lo, 0, v23
	v_add_nc_u32_e32 v23, 0xffffff89, v23
	v_cndmask_b32_e64 v66, v66, 0x77, vcc_lo
	s_delay_alu instid0(VALU_DEP_2) | instskip(SKIP_1) | instid1(VALU_DEP_3)
	v_cndmask_b32_e64 v23, v23, 0xffffff8a, vcc_lo
	v_cndmask_b32_e32 v25, v67, v25, vcc_lo
	v_lshl_add_u32 v67, 0x100000, v66, -1
	v_lshlrev_b32_e64 v71, v66, 0x80000
	s_delay_alu instid0(VALU_DEP_3) | instskip(SKIP_1) | instid1(VALU_DEP_4)
	v_lshrrev_b32_e32 v68, v66, v25
	v_add_nc_u32_e32 v66, v66, v23
	v_and_b32_e32 v25, v67, v25
	s_delay_alu instid0(VALU_DEP_3) | instskip(NEXT) | instid1(VALU_DEP_2)
	v_bfe_u32 v70, v68, 20, 1
	v_cmp_eq_u32_e64 s11, v25, v71
	s_delay_alu instid0(VALU_DEP_2) | instskip(NEXT) | instid1(VALU_DEP_1)
	v_add_nc_u32_e32 v67, -1, v70
	v_cndmask_b32_e64 v25, 0, v67, s11
	v_lshrrev_b32_e32 v67, 23, v68
	s_mov_b32 s11, exec_lo
	s_delay_alu instid0(VALU_DEP_2) | instskip(NEXT) | instid1(VALU_DEP_2)
	v_add_nc_u32_e32 v25, v25, v68
	v_xor_b32_e32 v67, 1, v67
	s_delay_alu instid0(VALU_DEP_2) | instskip(NEXT) | instid1(VALU_DEP_1)
	v_and_b32_e32 v23, 0xfffff, v25
	v_add_nc_u32_e32 v25, v23, v68
                                        ; implicit-def: $vgpr23
	s_delay_alu instid0(VALU_DEP_3)
	v_cmpx_ne_u32_e64 v66, v67
	s_xor_b32 s11, exec_lo, s11
; %bb.3678:                             ;   in Loop: Header=BB6_3373 Depth=2
	s_delay_alu instid0(VALU_DEP_2) | instskip(SKIP_2) | instid1(VALU_DEP_2)
	v_cmp_lt_u32_e32 vcc_lo, 0xffffff, v25
	v_sub_nc_u32_e32 v23, v66, v67
	v_cndmask_b32_e64 v66, 0, 1, vcc_lo
	v_add_co_ci_u32_e32 v23, vcc_lo, 0, v23, vcc_lo
	s_delay_alu instid0(VALU_DEP_2)
	v_lshrrev_b32_e32 v25, v66, v25
; %bb.3679:                             ;   in Loop: Header=BB6_3373 Depth=2
	s_and_not1_saveexec_b32 s11, s11
; %bb.3680:                             ;   in Loop: Header=BB6_3373 Depth=2
	s_delay_alu instid0(VALU_DEP_1)
	v_bfe_u32 v23, v25, 23, 1
; %bb.3681:                             ;   in Loop: Header=BB6_3373 Depth=2
	s_or_b32 exec_lo, exec_lo, s11
	v_lshrrev_b32_e32 v25, 20, v25
	s_delay_alu instid0(VALU_DEP_2) | instskip(SKIP_2) | instid1(VALU_DEP_2)
	v_cmp_gt_i32_e32 vcc_lo, 16, v23
	v_lshrrev_b32_e32 v16, 24, v16
	v_min_i32_e32 v66, 15, v23
	v_dual_cndmask_b32 v25, 7, v25 :: v_dual_and_b32 v16, 0x80, v16
	s_delay_alu instid0(VALU_DEP_1) | instskip(SKIP_1) | instid1(VALU_DEP_2)
	v_or_b32_e32 v23, v23, v25
	v_and_b32_e32 v67, 7, v25
	v_cmp_ne_u32_e32 vcc_lo, 0, v23
	v_lshlrev_b32_e32 v66, 3, v66
	s_delay_alu instid0(VALU_DEP_1) | instskip(NEXT) | instid1(VALU_DEP_1)
	v_or3_b32 v16, v66, v16, v67
	v_cndmask_b32_e32 v115, 0, v16, vcc_lo
.LBB6_3682:                             ;   in Loop: Header=BB6_3373 Depth=2
	s_or_b32 exec_lo, exec_lo, s26
.LBB6_3683:                             ;   in Loop: Header=BB6_3373 Depth=2
	s_delay_alu instid0(SALU_CYCLE_1)
	s_or_b32 exec_lo, exec_lo, s25
	flat_load_u8 v16, v[10:11] offset:800 slc dlc
	s_mov_b32 s11, 0
	s_mov_b32 s26, exec_lo
                                        ; implicit-def: $sgpr25
	s_waitcnt vmcnt(0) lgkmcnt(0)
	v_cmpx_lt_i16_e32 0x7f, v16
	s_xor_b32 s26, exec_lo, s26
	s_cbranch_execnz .LBB6_4380
; %bb.3684:                             ;   in Loop: Header=BB6_3373 Depth=2
	s_or_saveexec_b32 s26, s26
	v_mov_b32_e32 v23, s25
	s_xor_b32 exec_lo, exec_lo, s26
	s_cbranch_execnz .LBB6_4383
.LBB6_3685:                             ;   in Loop: Header=BB6_3373 Depth=2
	s_or_b32 exec_lo, exec_lo, s26
	s_and_saveexec_b32 s25, s11
	s_cbranch_execz .LBB6_3687
.LBB6_3686:                             ;   in Loop: Header=BB6_3373 Depth=2
	v_and_b32_e32 v23, 0xffff, v16
	s_delay_alu instid0(VALU_DEP_1) | instskip(NEXT) | instid1(VALU_DEP_1)
	v_and_b32_e32 v25, 7, v23
	v_clz_i32_u32_e32 v66, v25
	s_delay_alu instid0(VALU_DEP_1) | instskip(NEXT) | instid1(VALU_DEP_1)
	v_min_u32_e32 v66, 32, v66
	v_subrev_nc_u32_e32 v67, 28, v66
	v_sub_nc_u32_e32 v66, 29, v66
	s_delay_alu instid0(VALU_DEP_2) | instskip(SKIP_1) | instid1(VALU_DEP_2)
	v_lshlrev_b32_e32 v67, v67, v23
	v_bfe_u32 v23, v23, 3, 4
	v_and_b32_e32 v67, 7, v67
	s_delay_alu instid0(VALU_DEP_2) | instskip(SKIP_1) | instid1(VALU_DEP_1)
	v_cmp_eq_u32_e32 vcc_lo, 0, v23
	v_dual_cndmask_b32 v23, v23, v66 :: v_dual_lshlrev_b32 v16, 24, v16
	v_dual_cndmask_b32 v25, v25, v67 :: v_dual_and_b32 v16, 0x80000000, v16
	s_delay_alu instid0(VALU_DEP_2) | instskip(NEXT) | instid1(VALU_DEP_2)
	v_lshl_add_u32 v23, v23, 23, 0x3b800000
	v_lshlrev_b32_e32 v25, 20, v25
	s_delay_alu instid0(VALU_DEP_1)
	v_or3_b32 v23, v16, v23, v25
.LBB6_3687:                             ;   in Loop: Header=BB6_3373 Depth=2
	s_or_b32 exec_lo, exec_lo, s25
	s_delay_alu instid0(VALU_DEP_1) | instskip(SKIP_2) | instid1(VALU_DEP_2)
	v_mul_f32_e32 v16, v17, v23
	v_mov_b32_e32 v114, 0x80
	s_mov_b32 s25, exec_lo
	v_and_b32_e32 v23, 0x7f800000, v16
	s_delay_alu instid0(VALU_DEP_1)
	v_cmpx_ne_u32_e32 0x7f800000, v23
	s_cbranch_execz .LBB6_3695
; %bb.3688:                             ;   in Loop: Header=BB6_3373 Depth=2
	v_mov_b32_e32 v114, 0
	s_mov_b32 s26, exec_lo
	v_cmpx_ne_u32_e32 0, v16
	s_cbranch_execz .LBB6_3694
; %bb.3689:                             ;   in Loop: Header=BB6_3373 Depth=2
	v_bfe_u32 v23, v16, 23, 8
	s_delay_alu instid0(VALU_DEP_1) | instskip(SKIP_1) | instid1(VALU_DEP_2)
	v_sub_nc_u32_e32 v66, 0x78, v23
	v_cmp_gt_u32_e32 vcc_lo, 0x79, v23
	v_dual_cndmask_b32 v66, 0, v66 :: v_dual_and_b32 v25, 0x7fffff, v16
	s_delay_alu instid0(VALU_DEP_1) | instskip(SKIP_2) | instid1(VALU_DEP_4)
	v_or_b32_e32 v67, 0x800000, v25
	v_cmp_eq_u32_e32 vcc_lo, 0, v23
	v_add_nc_u32_e32 v23, 0xffffff89, v23
	v_cndmask_b32_e64 v66, v66, 0x77, vcc_lo
	s_delay_alu instid0(VALU_DEP_2) | instskip(SKIP_1) | instid1(VALU_DEP_3)
	v_cndmask_b32_e64 v23, v23, 0xffffff8a, vcc_lo
	v_cndmask_b32_e32 v25, v67, v25, vcc_lo
	v_lshl_add_u32 v67, 0x100000, v66, -1
	v_lshlrev_b32_e64 v71, v66, 0x80000
	s_delay_alu instid0(VALU_DEP_3) | instskip(SKIP_1) | instid1(VALU_DEP_4)
	v_lshrrev_b32_e32 v68, v66, v25
	v_add_nc_u32_e32 v66, v66, v23
	v_and_b32_e32 v25, v67, v25
	s_delay_alu instid0(VALU_DEP_3) | instskip(NEXT) | instid1(VALU_DEP_2)
	v_bfe_u32 v70, v68, 20, 1
	v_cmp_eq_u32_e64 s11, v25, v71
	s_delay_alu instid0(VALU_DEP_2) | instskip(NEXT) | instid1(VALU_DEP_1)
	v_add_nc_u32_e32 v67, -1, v70
	v_cndmask_b32_e64 v25, 0, v67, s11
	v_lshrrev_b32_e32 v67, 23, v68
	s_mov_b32 s11, exec_lo
	s_delay_alu instid0(VALU_DEP_2) | instskip(NEXT) | instid1(VALU_DEP_2)
	v_add_nc_u32_e32 v25, v25, v68
	v_xor_b32_e32 v67, 1, v67
	s_delay_alu instid0(VALU_DEP_2) | instskip(NEXT) | instid1(VALU_DEP_1)
	v_and_b32_e32 v23, 0xfffff, v25
	v_add_nc_u32_e32 v25, v23, v68
                                        ; implicit-def: $vgpr23
	s_delay_alu instid0(VALU_DEP_3)
	v_cmpx_ne_u32_e64 v66, v67
	s_xor_b32 s11, exec_lo, s11
; %bb.3690:                             ;   in Loop: Header=BB6_3373 Depth=2
	s_delay_alu instid0(VALU_DEP_2) | instskip(SKIP_2) | instid1(VALU_DEP_2)
	v_cmp_lt_u32_e32 vcc_lo, 0xffffff, v25
	v_sub_nc_u32_e32 v23, v66, v67
	v_cndmask_b32_e64 v66, 0, 1, vcc_lo
	v_add_co_ci_u32_e32 v23, vcc_lo, 0, v23, vcc_lo
	s_delay_alu instid0(VALU_DEP_2)
	v_lshrrev_b32_e32 v25, v66, v25
; %bb.3691:                             ;   in Loop: Header=BB6_3373 Depth=2
	s_and_not1_saveexec_b32 s11, s11
; %bb.3692:                             ;   in Loop: Header=BB6_3373 Depth=2
	s_delay_alu instid0(VALU_DEP_1)
	v_bfe_u32 v23, v25, 23, 1
; %bb.3693:                             ;   in Loop: Header=BB6_3373 Depth=2
	s_or_b32 exec_lo, exec_lo, s11
	v_lshrrev_b32_e32 v25, 20, v25
	s_delay_alu instid0(VALU_DEP_2) | instskip(SKIP_2) | instid1(VALU_DEP_2)
	v_cmp_gt_i32_e32 vcc_lo, 16, v23
	v_lshrrev_b32_e32 v16, 24, v16
	v_min_i32_e32 v66, 15, v23
	v_dual_cndmask_b32 v25, 7, v25 :: v_dual_and_b32 v16, 0x80, v16
	s_delay_alu instid0(VALU_DEP_2) | instskip(NEXT) | instid1(VALU_DEP_2)
	v_lshlrev_b32_e32 v66, 3, v66
	v_or_b32_e32 v23, v23, v25
	s_delay_alu instid0(VALU_DEP_1) | instskip(SKIP_1) | instid1(VALU_DEP_1)
	v_cmp_ne_u32_e32 vcc_lo, 0, v23
	v_and_b32_e32 v67, 7, v25
	v_or3_b32 v16, v66, v16, v67
	s_delay_alu instid0(VALU_DEP_1)
	v_cndmask_b32_e32 v114, 0, v16, vcc_lo
.LBB6_3694:                             ;   in Loop: Header=BB6_3373 Depth=2
	s_or_b32 exec_lo, exec_lo, s26
.LBB6_3695:                             ;   in Loop: Header=BB6_3373 Depth=2
	s_delay_alu instid0(SALU_CYCLE_1)
	s_or_b32 exec_lo, exec_lo, s25
	flat_load_u8 v16, v[10:11] offset:832 slc dlc
	s_mov_b32 s11, 0
	s_mov_b32 s26, exec_lo
                                        ; implicit-def: $sgpr25
	s_waitcnt vmcnt(0) lgkmcnt(0)
	v_cmpx_lt_i16_e32 0x7f, v16
	s_xor_b32 s26, exec_lo, s26
	s_cbranch_execnz .LBB6_4384
; %bb.3696:                             ;   in Loop: Header=BB6_3373 Depth=2
	s_or_saveexec_b32 s26, s26
	v_mov_b32_e32 v23, s25
	s_xor_b32 exec_lo, exec_lo, s26
	s_cbranch_execnz .LBB6_4387
.LBB6_3697:                             ;   in Loop: Header=BB6_3373 Depth=2
	s_or_b32 exec_lo, exec_lo, s26
	s_and_saveexec_b32 s25, s11
	s_cbranch_execz .LBB6_3699
.LBB6_3698:                             ;   in Loop: Header=BB6_3373 Depth=2
	v_and_b32_e32 v23, 0xffff, v16
	s_delay_alu instid0(VALU_DEP_1) | instskip(NEXT) | instid1(VALU_DEP_1)
	v_and_b32_e32 v25, 7, v23
	v_clz_i32_u32_e32 v66, v25
	s_delay_alu instid0(VALU_DEP_1) | instskip(NEXT) | instid1(VALU_DEP_1)
	v_min_u32_e32 v66, 32, v66
	v_subrev_nc_u32_e32 v67, 28, v66
	v_sub_nc_u32_e32 v66, 29, v66
	s_delay_alu instid0(VALU_DEP_2) | instskip(SKIP_1) | instid1(VALU_DEP_2)
	v_lshlrev_b32_e32 v67, v67, v23
	v_bfe_u32 v23, v23, 3, 4
	v_and_b32_e32 v67, 7, v67
	s_delay_alu instid0(VALU_DEP_2) | instskip(SKIP_1) | instid1(VALU_DEP_1)
	v_cmp_eq_u32_e32 vcc_lo, 0, v23
	v_dual_cndmask_b32 v23, v23, v66 :: v_dual_lshlrev_b32 v16, 24, v16
	v_dual_cndmask_b32 v25, v25, v67 :: v_dual_and_b32 v16, 0x80000000, v16
	s_delay_alu instid0(VALU_DEP_2) | instskip(NEXT) | instid1(VALU_DEP_2)
	v_lshl_add_u32 v23, v23, 23, 0x3b800000
	v_lshlrev_b32_e32 v25, 20, v25
	s_delay_alu instid0(VALU_DEP_1)
	v_or3_b32 v23, v16, v23, v25
.LBB6_3699:                             ;   in Loop: Header=BB6_3373 Depth=2
	s_or_b32 exec_lo, exec_lo, s25
	s_delay_alu instid0(VALU_DEP_1) | instskip(SKIP_2) | instid1(VALU_DEP_2)
	v_mul_f32_e32 v16, v17, v23
	v_mov_b32_e32 v70, 0x80
	s_mov_b32 s25, exec_lo
	v_and_b32_e32 v23, 0x7f800000, v16
	s_delay_alu instid0(VALU_DEP_1)
	v_cmpx_ne_u32_e32 0x7f800000, v23
	s_cbranch_execz .LBB6_3707
; %bb.3700:                             ;   in Loop: Header=BB6_3373 Depth=2
	v_mov_b32_e32 v70, 0
	s_mov_b32 s26, exec_lo
	v_cmpx_ne_u32_e32 0, v16
	s_cbranch_execz .LBB6_3706
; %bb.3701:                             ;   in Loop: Header=BB6_3373 Depth=2
	v_bfe_u32 v23, v16, 23, 8
	s_delay_alu instid0(VALU_DEP_1) | instskip(SKIP_1) | instid1(VALU_DEP_2)
	v_sub_nc_u32_e32 v66, 0x78, v23
	v_cmp_gt_u32_e32 vcc_lo, 0x79, v23
	v_dual_cndmask_b32 v66, 0, v66 :: v_dual_and_b32 v25, 0x7fffff, v16
	s_delay_alu instid0(VALU_DEP_1) | instskip(SKIP_2) | instid1(VALU_DEP_4)
	v_or_b32_e32 v67, 0x800000, v25
	v_cmp_eq_u32_e32 vcc_lo, 0, v23
	v_add_nc_u32_e32 v23, 0xffffff89, v23
	v_cndmask_b32_e64 v66, v66, 0x77, vcc_lo
	s_delay_alu instid0(VALU_DEP_2) | instskip(SKIP_1) | instid1(VALU_DEP_3)
	v_cndmask_b32_e64 v23, v23, 0xffffff8a, vcc_lo
	v_cndmask_b32_e32 v25, v67, v25, vcc_lo
	v_lshl_add_u32 v67, 0x100000, v66, -1
	v_lshlrev_b32_e64 v71, v66, 0x80000
	s_delay_alu instid0(VALU_DEP_3) | instskip(SKIP_1) | instid1(VALU_DEP_4)
	v_lshrrev_b32_e32 v68, v66, v25
	v_add_nc_u32_e32 v66, v66, v23
	v_and_b32_e32 v25, v67, v25
	s_delay_alu instid0(VALU_DEP_3) | instskip(NEXT) | instid1(VALU_DEP_2)
	v_bfe_u32 v70, v68, 20, 1
	v_cmp_eq_u32_e64 s11, v25, v71
	s_delay_alu instid0(VALU_DEP_2) | instskip(NEXT) | instid1(VALU_DEP_1)
	v_add_nc_u32_e32 v67, -1, v70
	v_cndmask_b32_e64 v25, 0, v67, s11
	v_lshrrev_b32_e32 v67, 23, v68
	s_mov_b32 s11, exec_lo
	s_delay_alu instid0(VALU_DEP_2) | instskip(NEXT) | instid1(VALU_DEP_2)
	v_add_nc_u32_e32 v25, v25, v68
	v_xor_b32_e32 v67, 1, v67
	s_delay_alu instid0(VALU_DEP_2) | instskip(NEXT) | instid1(VALU_DEP_1)
	v_and_b32_e32 v23, 0xfffff, v25
	v_add_nc_u32_e32 v25, v23, v68
                                        ; implicit-def: $vgpr23
	s_delay_alu instid0(VALU_DEP_3)
	v_cmpx_ne_u32_e64 v66, v67
	s_xor_b32 s11, exec_lo, s11
; %bb.3702:                             ;   in Loop: Header=BB6_3373 Depth=2
	s_delay_alu instid0(VALU_DEP_2) | instskip(SKIP_2) | instid1(VALU_DEP_2)
	v_cmp_lt_u32_e32 vcc_lo, 0xffffff, v25
	v_sub_nc_u32_e32 v23, v66, v67
	v_cndmask_b32_e64 v66, 0, 1, vcc_lo
	v_add_co_ci_u32_e32 v23, vcc_lo, 0, v23, vcc_lo
	s_delay_alu instid0(VALU_DEP_2)
	v_lshrrev_b32_e32 v25, v66, v25
; %bb.3703:                             ;   in Loop: Header=BB6_3373 Depth=2
	s_and_not1_saveexec_b32 s11, s11
; %bb.3704:                             ;   in Loop: Header=BB6_3373 Depth=2
	s_delay_alu instid0(VALU_DEP_1)
	v_bfe_u32 v23, v25, 23, 1
; %bb.3705:                             ;   in Loop: Header=BB6_3373 Depth=2
	s_or_b32 exec_lo, exec_lo, s11
	v_lshrrev_b32_e32 v25, 20, v25
	s_delay_alu instid0(VALU_DEP_2) | instskip(SKIP_2) | instid1(VALU_DEP_2)
	v_cmp_gt_i32_e32 vcc_lo, 16, v23
	v_lshrrev_b32_e32 v16, 24, v16
	v_min_i32_e32 v66, 15, v23
	v_dual_cndmask_b32 v25, 7, v25 :: v_dual_and_b32 v16, 0x80, v16
	s_delay_alu instid0(VALU_DEP_2) | instskip(NEXT) | instid1(VALU_DEP_2)
	v_lshlrev_b32_e32 v66, 3, v66
	v_or_b32_e32 v23, v23, v25
	s_delay_alu instid0(VALU_DEP_1) | instskip(SKIP_1) | instid1(VALU_DEP_1)
	v_cmp_ne_u32_e32 vcc_lo, 0, v23
	v_and_b32_e32 v67, 7, v25
	v_or3_b32 v16, v66, v16, v67
	s_delay_alu instid0(VALU_DEP_1)
	v_cndmask_b32_e32 v70, 0, v16, vcc_lo
.LBB6_3706:                             ;   in Loop: Header=BB6_3373 Depth=2
	s_or_b32 exec_lo, exec_lo, s26
.LBB6_3707:                             ;   in Loop: Header=BB6_3373 Depth=2
	s_delay_alu instid0(SALU_CYCLE_1)
	s_or_b32 exec_lo, exec_lo, s25
	flat_load_u8 v16, v[10:11] offset:864 slc dlc
	s_mov_b32 s11, 0
	s_mov_b32 s26, exec_lo
                                        ; implicit-def: $sgpr25
	s_waitcnt vmcnt(0) lgkmcnt(0)
	v_cmpx_lt_i16_e32 0x7f, v16
	s_xor_b32 s26, exec_lo, s26
	s_cbranch_execnz .LBB6_4388
; %bb.3708:                             ;   in Loop: Header=BB6_3373 Depth=2
	s_or_saveexec_b32 s26, s26
	v_mov_b32_e32 v23, s25
	s_xor_b32 exec_lo, exec_lo, s26
	s_cbranch_execnz .LBB6_4391
.LBB6_3709:                             ;   in Loop: Header=BB6_3373 Depth=2
	s_or_b32 exec_lo, exec_lo, s26
	s_and_saveexec_b32 s25, s11
	s_cbranch_execz .LBB6_3711
.LBB6_3710:                             ;   in Loop: Header=BB6_3373 Depth=2
	v_and_b32_e32 v23, 0xffff, v16
	s_delay_alu instid0(VALU_DEP_1) | instskip(NEXT) | instid1(VALU_DEP_1)
	v_and_b32_e32 v25, 7, v23
	v_clz_i32_u32_e32 v66, v25
	s_delay_alu instid0(VALU_DEP_1) | instskip(NEXT) | instid1(VALU_DEP_1)
	v_min_u32_e32 v66, 32, v66
	v_subrev_nc_u32_e32 v67, 28, v66
	v_sub_nc_u32_e32 v66, 29, v66
	s_delay_alu instid0(VALU_DEP_2) | instskip(SKIP_1) | instid1(VALU_DEP_2)
	v_lshlrev_b32_e32 v67, v67, v23
	v_bfe_u32 v23, v23, 3, 4
	v_and_b32_e32 v67, 7, v67
	s_delay_alu instid0(VALU_DEP_2) | instskip(SKIP_1) | instid1(VALU_DEP_1)
	v_cmp_eq_u32_e32 vcc_lo, 0, v23
	v_dual_cndmask_b32 v23, v23, v66 :: v_dual_lshlrev_b32 v16, 24, v16
	v_dual_cndmask_b32 v25, v25, v67 :: v_dual_and_b32 v16, 0x80000000, v16
	s_delay_alu instid0(VALU_DEP_2) | instskip(NEXT) | instid1(VALU_DEP_2)
	v_lshl_add_u32 v23, v23, 23, 0x3b800000
	v_lshlrev_b32_e32 v25, 20, v25
	s_delay_alu instid0(VALU_DEP_1)
	v_or3_b32 v23, v16, v23, v25
.LBB6_3711:                             ;   in Loop: Header=BB6_3373 Depth=2
	s_or_b32 exec_lo, exec_lo, s25
	s_delay_alu instid0(VALU_DEP_1) | instskip(SKIP_2) | instid1(VALU_DEP_2)
	v_mul_f32_e32 v16, v17, v23
	v_mov_b32_e32 v68, 0x80
	s_mov_b32 s25, exec_lo
	v_and_b32_e32 v23, 0x7f800000, v16
	s_delay_alu instid0(VALU_DEP_1)
	v_cmpx_ne_u32_e32 0x7f800000, v23
	s_cbranch_execz .LBB6_3719
; %bb.3712:                             ;   in Loop: Header=BB6_3373 Depth=2
	v_mov_b32_e32 v68, 0
	s_mov_b32 s26, exec_lo
	v_cmpx_ne_u32_e32 0, v16
	s_cbranch_execz .LBB6_3718
; %bb.3713:                             ;   in Loop: Header=BB6_3373 Depth=2
	v_bfe_u32 v23, v16, 23, 8
	s_delay_alu instid0(VALU_DEP_1) | instskip(SKIP_1) | instid1(VALU_DEP_2)
	v_sub_nc_u32_e32 v66, 0x78, v23
	v_cmp_gt_u32_e32 vcc_lo, 0x79, v23
	v_dual_cndmask_b32 v66, 0, v66 :: v_dual_and_b32 v25, 0x7fffff, v16
	s_delay_alu instid0(VALU_DEP_1) | instskip(SKIP_2) | instid1(VALU_DEP_4)
	v_or_b32_e32 v67, 0x800000, v25
	v_cmp_eq_u32_e32 vcc_lo, 0, v23
	v_add_nc_u32_e32 v23, 0xffffff89, v23
	v_cndmask_b32_e64 v66, v66, 0x77, vcc_lo
	s_delay_alu instid0(VALU_DEP_2) | instskip(SKIP_1) | instid1(VALU_DEP_3)
	v_cndmask_b32_e64 v23, v23, 0xffffff8a, vcc_lo
	v_cndmask_b32_e32 v25, v67, v25, vcc_lo
	v_lshl_add_u32 v67, 0x100000, v66, -1
	v_lshlrev_b32_e64 v118, v66, 0x80000
	s_delay_alu instid0(VALU_DEP_3) | instskip(SKIP_1) | instid1(VALU_DEP_4)
	v_lshrrev_b32_e32 v68, v66, v25
	v_add_nc_u32_e32 v66, v66, v23
	v_and_b32_e32 v25, v67, v25
	s_delay_alu instid0(VALU_DEP_3) | instskip(NEXT) | instid1(VALU_DEP_2)
	v_bfe_u32 v71, v68, 20, 1
	v_cmp_eq_u32_e64 s11, v25, v118
	s_delay_alu instid0(VALU_DEP_2) | instskip(NEXT) | instid1(VALU_DEP_1)
	v_add_nc_u32_e32 v67, -1, v71
	v_cndmask_b32_e64 v25, 0, v67, s11
	v_lshrrev_b32_e32 v67, 23, v68
	s_mov_b32 s11, exec_lo
	s_delay_alu instid0(VALU_DEP_2) | instskip(NEXT) | instid1(VALU_DEP_2)
	v_add_nc_u32_e32 v25, v25, v68
	v_xor_b32_e32 v67, 1, v67
	s_delay_alu instid0(VALU_DEP_2) | instskip(NEXT) | instid1(VALU_DEP_1)
	v_and_b32_e32 v23, 0xfffff, v25
	v_add_nc_u32_e32 v25, v23, v68
                                        ; implicit-def: $vgpr23
	s_delay_alu instid0(VALU_DEP_3)
	v_cmpx_ne_u32_e64 v66, v67
	s_xor_b32 s11, exec_lo, s11
; %bb.3714:                             ;   in Loop: Header=BB6_3373 Depth=2
	s_delay_alu instid0(VALU_DEP_2) | instskip(SKIP_2) | instid1(VALU_DEP_2)
	v_cmp_lt_u32_e32 vcc_lo, 0xffffff, v25
	v_sub_nc_u32_e32 v23, v66, v67
	v_cndmask_b32_e64 v66, 0, 1, vcc_lo
	v_add_co_ci_u32_e32 v23, vcc_lo, 0, v23, vcc_lo
	s_delay_alu instid0(VALU_DEP_2)
	v_lshrrev_b32_e32 v25, v66, v25
; %bb.3715:                             ;   in Loop: Header=BB6_3373 Depth=2
	s_and_not1_saveexec_b32 s11, s11
; %bb.3716:                             ;   in Loop: Header=BB6_3373 Depth=2
	s_delay_alu instid0(VALU_DEP_1)
	v_bfe_u32 v23, v25, 23, 1
; %bb.3717:                             ;   in Loop: Header=BB6_3373 Depth=2
	s_or_b32 exec_lo, exec_lo, s11
	v_lshrrev_b32_e32 v25, 20, v25
	s_delay_alu instid0(VALU_DEP_2) | instskip(SKIP_2) | instid1(VALU_DEP_2)
	v_cmp_gt_i32_e32 vcc_lo, 16, v23
	v_lshrrev_b32_e32 v16, 24, v16
	v_min_i32_e32 v66, 15, v23
	v_dual_cndmask_b32 v25, 7, v25 :: v_dual_and_b32 v16, 0x80, v16
	s_delay_alu instid0(VALU_DEP_2) | instskip(NEXT) | instid1(VALU_DEP_2)
	v_lshlrev_b32_e32 v66, 3, v66
	v_or_b32_e32 v23, v23, v25
	s_delay_alu instid0(VALU_DEP_1) | instskip(SKIP_1) | instid1(VALU_DEP_1)
	v_cmp_ne_u32_e32 vcc_lo, 0, v23
	v_and_b32_e32 v67, 7, v25
	v_or3_b32 v16, v66, v16, v67
	s_delay_alu instid0(VALU_DEP_1)
	v_cndmask_b32_e32 v68, 0, v16, vcc_lo
.LBB6_3718:                             ;   in Loop: Header=BB6_3373 Depth=2
	s_or_b32 exec_lo, exec_lo, s26
.LBB6_3719:                             ;   in Loop: Header=BB6_3373 Depth=2
	s_delay_alu instid0(SALU_CYCLE_1)
	s_or_b32 exec_lo, exec_lo, s25
	flat_load_u8 v16, v[10:11] offset:896 slc dlc
	s_mov_b32 s11, 0
	s_mov_b32 s26, exec_lo
                                        ; implicit-def: $sgpr25
	s_waitcnt vmcnt(0) lgkmcnt(0)
	v_cmpx_lt_i16_e32 0x7f, v16
	s_xor_b32 s26, exec_lo, s26
	s_cbranch_execnz .LBB6_4392
; %bb.3720:                             ;   in Loop: Header=BB6_3373 Depth=2
	s_or_saveexec_b32 s26, s26
	v_mov_b32_e32 v23, s25
	s_xor_b32 exec_lo, exec_lo, s26
	s_cbranch_execnz .LBB6_4395
.LBB6_3721:                             ;   in Loop: Header=BB6_3373 Depth=2
	s_or_b32 exec_lo, exec_lo, s26
	s_and_saveexec_b32 s25, s11
	s_cbranch_execz .LBB6_3723
.LBB6_3722:                             ;   in Loop: Header=BB6_3373 Depth=2
	v_and_b32_e32 v23, 0xffff, v16
	s_delay_alu instid0(VALU_DEP_1) | instskip(NEXT) | instid1(VALU_DEP_1)
	v_and_b32_e32 v25, 7, v23
	v_clz_i32_u32_e32 v66, v25
	s_delay_alu instid0(VALU_DEP_1) | instskip(NEXT) | instid1(VALU_DEP_1)
	v_min_u32_e32 v66, 32, v66
	v_subrev_nc_u32_e32 v67, 28, v66
	v_sub_nc_u32_e32 v66, 29, v66
	s_delay_alu instid0(VALU_DEP_2) | instskip(SKIP_1) | instid1(VALU_DEP_2)
	v_lshlrev_b32_e32 v67, v67, v23
	v_bfe_u32 v23, v23, 3, 4
	v_and_b32_e32 v67, 7, v67
	s_delay_alu instid0(VALU_DEP_2) | instskip(SKIP_1) | instid1(VALU_DEP_1)
	v_cmp_eq_u32_e32 vcc_lo, 0, v23
	v_dual_cndmask_b32 v23, v23, v66 :: v_dual_lshlrev_b32 v16, 24, v16
	v_dual_cndmask_b32 v25, v25, v67 :: v_dual_and_b32 v16, 0x80000000, v16
	s_delay_alu instid0(VALU_DEP_2) | instskip(NEXT) | instid1(VALU_DEP_2)
	v_lshl_add_u32 v23, v23, 23, 0x3b800000
	v_lshlrev_b32_e32 v25, 20, v25
	s_delay_alu instid0(VALU_DEP_1)
	v_or3_b32 v23, v16, v23, v25
.LBB6_3723:                             ;   in Loop: Header=BB6_3373 Depth=2
	s_or_b32 exec_lo, exec_lo, s25
	s_delay_alu instid0(VALU_DEP_1) | instskip(SKIP_1) | instid1(VALU_DEP_1)
	v_dual_mul_f32 v16, v17, v23 :: v_dual_mov_b32 v67, 0x80
	s_mov_b32 s25, exec_lo
	v_and_b32_e32 v23, 0x7f800000, v16
	s_delay_alu instid0(VALU_DEP_1)
	v_cmpx_ne_u32_e32 0x7f800000, v23
	s_cbranch_execz .LBB6_3731
; %bb.3724:                             ;   in Loop: Header=BB6_3373 Depth=2
	v_mov_b32_e32 v67, 0
	s_mov_b32 s26, exec_lo
	v_cmpx_ne_u32_e32 0, v16
	s_cbranch_execz .LBB6_3730
; %bb.3725:                             ;   in Loop: Header=BB6_3373 Depth=2
	v_bfe_u32 v23, v16, 23, 8
	s_delay_alu instid0(VALU_DEP_1) | instskip(SKIP_1) | instid1(VALU_DEP_2)
	v_sub_nc_u32_e32 v66, 0x78, v23
	v_cmp_gt_u32_e32 vcc_lo, 0x79, v23
	v_dual_cndmask_b32 v66, 0, v66 :: v_dual_and_b32 v25, 0x7fffff, v16
	s_delay_alu instid0(VALU_DEP_1) | instskip(SKIP_2) | instid1(VALU_DEP_4)
	v_or_b32_e32 v67, 0x800000, v25
	v_cmp_eq_u32_e32 vcc_lo, 0, v23
	v_add_nc_u32_e32 v23, 0xffffff89, v23
	v_cndmask_b32_e64 v66, v66, 0x77, vcc_lo
	s_delay_alu instid0(VALU_DEP_2) | instskip(SKIP_1) | instid1(VALU_DEP_3)
	v_cndmask_b32_e64 v23, v23, 0xffffff8a, vcc_lo
	v_cndmask_b32_e32 v25, v67, v25, vcc_lo
	v_lshl_add_u32 v67, 0x100000, v66, -1
	v_lshlrev_b32_e64 v132, v66, 0x80000
	s_delay_alu instid0(VALU_DEP_3) | instskip(SKIP_1) | instid1(VALU_DEP_4)
	v_lshrrev_b32_e32 v71, v66, v25
	v_add_nc_u32_e32 v66, v66, v23
	v_and_b32_e32 v25, v67, v25
	s_delay_alu instid0(VALU_DEP_3) | instskip(NEXT) | instid1(VALU_DEP_2)
	v_bfe_u32 v118, v71, 20, 1
	v_cmp_eq_u32_e64 s11, v25, v132
	s_delay_alu instid0(VALU_DEP_2) | instskip(NEXT) | instid1(VALU_DEP_1)
	v_add_nc_u32_e32 v67, -1, v118
	v_cndmask_b32_e64 v25, 0, v67, s11
	v_lshrrev_b32_e32 v67, 23, v71
	s_mov_b32 s11, exec_lo
	s_delay_alu instid0(VALU_DEP_2) | instskip(NEXT) | instid1(VALU_DEP_2)
	v_add_nc_u32_e32 v25, v25, v71
	v_xor_b32_e32 v67, 1, v67
	s_delay_alu instid0(VALU_DEP_2) | instskip(NEXT) | instid1(VALU_DEP_1)
	v_and_b32_e32 v23, 0xfffff, v25
	v_add_nc_u32_e32 v25, v23, v71
                                        ; implicit-def: $vgpr23
	s_delay_alu instid0(VALU_DEP_3)
	v_cmpx_ne_u32_e64 v66, v67
	s_xor_b32 s11, exec_lo, s11
; %bb.3726:                             ;   in Loop: Header=BB6_3373 Depth=2
	s_delay_alu instid0(VALU_DEP_2) | instskip(SKIP_2) | instid1(VALU_DEP_2)
	v_cmp_lt_u32_e32 vcc_lo, 0xffffff, v25
	v_sub_nc_u32_e32 v23, v66, v67
	v_cndmask_b32_e64 v66, 0, 1, vcc_lo
	v_add_co_ci_u32_e32 v23, vcc_lo, 0, v23, vcc_lo
	s_delay_alu instid0(VALU_DEP_2)
	v_lshrrev_b32_e32 v25, v66, v25
; %bb.3727:                             ;   in Loop: Header=BB6_3373 Depth=2
	s_and_not1_saveexec_b32 s11, s11
; %bb.3728:                             ;   in Loop: Header=BB6_3373 Depth=2
	s_delay_alu instid0(VALU_DEP_1)
	v_bfe_u32 v23, v25, 23, 1
; %bb.3729:                             ;   in Loop: Header=BB6_3373 Depth=2
	s_or_b32 exec_lo, exec_lo, s11
	v_lshrrev_b32_e32 v25, 20, v25
	s_delay_alu instid0(VALU_DEP_2) | instskip(SKIP_2) | instid1(VALU_DEP_2)
	v_cmp_gt_i32_e32 vcc_lo, 16, v23
	v_lshrrev_b32_e32 v16, 24, v16
	v_min_i32_e32 v66, 15, v23
	v_dual_cndmask_b32 v25, 7, v25 :: v_dual_and_b32 v16, 0x80, v16
	s_delay_alu instid0(VALU_DEP_1) | instskip(SKIP_1) | instid1(VALU_DEP_2)
	v_or_b32_e32 v23, v23, v25
	v_and_b32_e32 v67, 7, v25
	v_cmp_ne_u32_e32 vcc_lo, 0, v23
	v_lshlrev_b32_e32 v66, 3, v66
	s_delay_alu instid0(VALU_DEP_1) | instskip(NEXT) | instid1(VALU_DEP_1)
	v_or3_b32 v16, v66, v16, v67
	v_cndmask_b32_e32 v67, 0, v16, vcc_lo
.LBB6_3730:                             ;   in Loop: Header=BB6_3373 Depth=2
	s_or_b32 exec_lo, exec_lo, s26
.LBB6_3731:                             ;   in Loop: Header=BB6_3373 Depth=2
	s_delay_alu instid0(SALU_CYCLE_1)
	s_or_b32 exec_lo, exec_lo, s25
	flat_load_u8 v16, v[10:11] offset:928 slc dlc
	s_mov_b32 s11, 0
	s_mov_b32 s26, exec_lo
                                        ; implicit-def: $sgpr25
	s_waitcnt vmcnt(0) lgkmcnt(0)
	v_cmpx_lt_i16_e32 0x7f, v16
	s_xor_b32 s26, exec_lo, s26
	s_cbranch_execnz .LBB6_4396
; %bb.3732:                             ;   in Loop: Header=BB6_3373 Depth=2
	s_or_saveexec_b32 s26, s26
	v_mov_b32_e32 v23, s25
	s_xor_b32 exec_lo, exec_lo, s26
	s_cbranch_execnz .LBB6_4399
.LBB6_3733:                             ;   in Loop: Header=BB6_3373 Depth=2
	s_or_b32 exec_lo, exec_lo, s26
	s_and_saveexec_b32 s25, s11
	s_cbranch_execz .LBB6_3735
.LBB6_3734:                             ;   in Loop: Header=BB6_3373 Depth=2
	v_and_b32_e32 v23, 0xffff, v16
	s_delay_alu instid0(VALU_DEP_1) | instskip(NEXT) | instid1(VALU_DEP_1)
	v_and_b32_e32 v25, 7, v23
	v_clz_i32_u32_e32 v66, v25
	s_delay_alu instid0(VALU_DEP_1) | instskip(NEXT) | instid1(VALU_DEP_1)
	v_min_u32_e32 v66, 32, v66
	v_subrev_nc_u32_e32 v71, 28, v66
	v_sub_nc_u32_e32 v66, 29, v66
	s_delay_alu instid0(VALU_DEP_2) | instskip(SKIP_1) | instid1(VALU_DEP_2)
	v_lshlrev_b32_e32 v71, v71, v23
	v_bfe_u32 v23, v23, 3, 4
	v_and_b32_e32 v71, 7, v71
	s_delay_alu instid0(VALU_DEP_2) | instskip(SKIP_1) | instid1(VALU_DEP_1)
	v_cmp_eq_u32_e32 vcc_lo, 0, v23
	v_dual_cndmask_b32 v23, v23, v66 :: v_dual_lshlrev_b32 v16, 24, v16
	v_dual_cndmask_b32 v25, v25, v71 :: v_dual_and_b32 v16, 0x80000000, v16
	s_delay_alu instid0(VALU_DEP_2) | instskip(NEXT) | instid1(VALU_DEP_2)
	v_lshl_add_u32 v23, v23, 23, 0x3b800000
	v_lshlrev_b32_e32 v25, 20, v25
	s_delay_alu instid0(VALU_DEP_1)
	v_or3_b32 v23, v16, v23, v25
.LBB6_3735:                             ;   in Loop: Header=BB6_3373 Depth=2
	s_or_b32 exec_lo, exec_lo, s25
	s_delay_alu instid0(VALU_DEP_1) | instskip(SKIP_1) | instid1(VALU_DEP_1)
	v_dual_mul_f32 v16, v17, v23 :: v_dual_mov_b32 v25, 0x80
	s_mov_b32 s25, exec_lo
	v_and_b32_e32 v23, 0x7f800000, v16
	s_delay_alu instid0(VALU_DEP_1)
	v_cmpx_ne_u32_e32 0x7f800000, v23
	s_cbranch_execz .LBB6_3743
; %bb.3736:                             ;   in Loop: Header=BB6_3373 Depth=2
	v_mov_b32_e32 v25, 0
	s_mov_b32 s26, exec_lo
	v_cmpx_ne_u32_e32 0, v16
	s_cbranch_execz .LBB6_3742
; %bb.3737:                             ;   in Loop: Header=BB6_3373 Depth=2
	v_bfe_u32 v23, v16, 23, 8
	s_delay_alu instid0(VALU_DEP_1) | instskip(SKIP_1) | instid1(VALU_DEP_2)
	v_sub_nc_u32_e32 v66, 0x78, v23
	v_cmp_gt_u32_e32 vcc_lo, 0x79, v23
	v_dual_cndmask_b32 v66, 0, v66 :: v_dual_and_b32 v25, 0x7fffff, v16
	s_delay_alu instid0(VALU_DEP_1) | instskip(SKIP_2) | instid1(VALU_DEP_4)
	v_or_b32_e32 v71, 0x800000, v25
	v_cmp_eq_u32_e32 vcc_lo, 0, v23
	v_add_nc_u32_e32 v23, 0xffffff89, v23
	v_cndmask_b32_e64 v66, v66, 0x77, vcc_lo
	s_delay_alu instid0(VALU_DEP_2) | instskip(SKIP_1) | instid1(VALU_DEP_3)
	v_cndmask_b32_e64 v23, v23, 0xffffff8a, vcc_lo
	v_cndmask_b32_e32 v25, v71, v25, vcc_lo
	v_lshl_add_u32 v71, 0x100000, v66, -1
	v_lshlrev_b32_e64 v145, v66, 0x80000
	s_delay_alu instid0(VALU_DEP_3) | instskip(SKIP_1) | instid1(VALU_DEP_4)
	v_lshrrev_b32_e32 v118, v66, v25
	v_add_nc_u32_e32 v66, v66, v23
	v_and_b32_e32 v25, v71, v25
	s_delay_alu instid0(VALU_DEP_3) | instskip(NEXT) | instid1(VALU_DEP_2)
	v_bfe_u32 v132, v118, 20, 1
	v_cmp_eq_u32_e64 s11, v25, v145
	s_delay_alu instid0(VALU_DEP_2) | instskip(NEXT) | instid1(VALU_DEP_1)
	v_add_nc_u32_e32 v71, -1, v132
	v_cndmask_b32_e64 v25, 0, v71, s11
	v_lshrrev_b32_e32 v71, 23, v118
	s_mov_b32 s11, exec_lo
	s_delay_alu instid0(VALU_DEP_2) | instskip(NEXT) | instid1(VALU_DEP_2)
	v_add_nc_u32_e32 v25, v25, v118
	v_xor_b32_e32 v71, 1, v71
	s_delay_alu instid0(VALU_DEP_2) | instskip(NEXT) | instid1(VALU_DEP_1)
	v_and_b32_e32 v23, 0xfffff, v25
	v_add_nc_u32_e32 v25, v23, v118
                                        ; implicit-def: $vgpr23
	s_delay_alu instid0(VALU_DEP_3)
	v_cmpx_ne_u32_e64 v66, v71
	s_xor_b32 s11, exec_lo, s11
; %bb.3738:                             ;   in Loop: Header=BB6_3373 Depth=2
	s_delay_alu instid0(VALU_DEP_2) | instskip(SKIP_2) | instid1(VALU_DEP_2)
	v_cmp_lt_u32_e32 vcc_lo, 0xffffff, v25
	v_sub_nc_u32_e32 v23, v66, v71
	v_cndmask_b32_e64 v66, 0, 1, vcc_lo
	v_add_co_ci_u32_e32 v23, vcc_lo, 0, v23, vcc_lo
	s_delay_alu instid0(VALU_DEP_2)
	v_lshrrev_b32_e32 v25, v66, v25
; %bb.3739:                             ;   in Loop: Header=BB6_3373 Depth=2
	s_and_not1_saveexec_b32 s11, s11
; %bb.3740:                             ;   in Loop: Header=BB6_3373 Depth=2
	s_delay_alu instid0(VALU_DEP_1)
	v_bfe_u32 v23, v25, 23, 1
; %bb.3741:                             ;   in Loop: Header=BB6_3373 Depth=2
	s_or_b32 exec_lo, exec_lo, s11
	v_lshrrev_b32_e32 v25, 20, v25
	s_delay_alu instid0(VALU_DEP_2) | instskip(SKIP_2) | instid1(VALU_DEP_2)
	v_cmp_gt_i32_e32 vcc_lo, 16, v23
	v_lshrrev_b32_e32 v16, 24, v16
	v_min_i32_e32 v66, 15, v23
	v_dual_cndmask_b32 v25, 7, v25 :: v_dual_and_b32 v16, 0x80, v16
	s_delay_alu instid0(VALU_DEP_1) | instskip(SKIP_1) | instid1(VALU_DEP_2)
	v_or_b32_e32 v23, v23, v25
	v_and_b32_e32 v71, 7, v25
	v_cmp_ne_u32_e32 vcc_lo, 0, v23
	v_lshlrev_b32_e32 v66, 3, v66
	s_delay_alu instid0(VALU_DEP_1) | instskip(NEXT) | instid1(VALU_DEP_1)
	v_or3_b32 v16, v66, v16, v71
	v_cndmask_b32_e32 v25, 0, v16, vcc_lo
.LBB6_3742:                             ;   in Loop: Header=BB6_3373 Depth=2
	s_or_b32 exec_lo, exec_lo, s26
.LBB6_3743:                             ;   in Loop: Header=BB6_3373 Depth=2
	s_delay_alu instid0(SALU_CYCLE_1)
	s_or_b32 exec_lo, exec_lo, s25
	flat_load_u8 v16, v[10:11] offset:960 slc dlc
	s_mov_b32 s11, 0
	s_mov_b32 s26, exec_lo
                                        ; implicit-def: $sgpr25
	s_waitcnt vmcnt(0) lgkmcnt(0)
	v_cmpx_lt_i16_e32 0x7f, v16
	s_xor_b32 s26, exec_lo, s26
	s_cbranch_execnz .LBB6_4400
; %bb.3744:                             ;   in Loop: Header=BB6_3373 Depth=2
	s_or_saveexec_b32 s26, s26
	v_mov_b32_e32 v23, s25
	s_xor_b32 exec_lo, exec_lo, s26
	s_cbranch_execnz .LBB6_4403
.LBB6_3745:                             ;   in Loop: Header=BB6_3373 Depth=2
	s_or_b32 exec_lo, exec_lo, s26
	s_and_saveexec_b32 s25, s11
	s_cbranch_execz .LBB6_3747
.LBB6_3746:                             ;   in Loop: Header=BB6_3373 Depth=2
	v_and_b32_e32 v23, 0xffff, v16
	v_lshlrev_b32_e32 v16, 24, v16
	s_delay_alu instid0(VALU_DEP_2) | instskip(NEXT) | instid1(VALU_DEP_2)
	v_and_b32_e32 v66, 7, v23
	v_and_b32_e32 v16, 0x80000000, v16
	s_delay_alu instid0(VALU_DEP_2) | instskip(NEXT) | instid1(VALU_DEP_1)
	v_clz_i32_u32_e32 v71, v66
	v_min_u32_e32 v71, 32, v71
	s_delay_alu instid0(VALU_DEP_1) | instskip(SKIP_1) | instid1(VALU_DEP_2)
	v_subrev_nc_u32_e32 v118, 28, v71
	v_sub_nc_u32_e32 v71, 29, v71
	v_lshlrev_b32_e32 v118, v118, v23
	v_bfe_u32 v23, v23, 3, 4
	s_delay_alu instid0(VALU_DEP_1) | instskip(NEXT) | instid1(VALU_DEP_3)
	v_cmp_eq_u32_e32 vcc_lo, 0, v23
	v_dual_cndmask_b32 v23, v23, v71 :: v_dual_and_b32 v118, 7, v118
	s_delay_alu instid0(VALU_DEP_1) | instskip(NEXT) | instid1(VALU_DEP_2)
	v_cndmask_b32_e32 v66, v66, v118, vcc_lo
	v_lshl_add_u32 v23, v23, 23, 0x3b800000
	s_delay_alu instid0(VALU_DEP_2) | instskip(NEXT) | instid1(VALU_DEP_1)
	v_lshlrev_b32_e32 v66, 20, v66
	v_or3_b32 v23, v16, v23, v66
.LBB6_3747:                             ;   in Loop: Header=BB6_3373 Depth=2
	s_or_b32 exec_lo, exec_lo, s25
	s_delay_alu instid0(VALU_DEP_1) | instskip(NEXT) | instid1(VALU_DEP_1)
	v_mul_f32_e32 v16, v17, v23
	v_and_b32_e32 v23, 0x7f800000, v16
	s_delay_alu instid0(VALU_DEP_1)
	v_cmp_ne_u32_e32 vcc_lo, 0x7f800000, v23
	v_mov_b32_e32 v23, 0x80
	s_and_saveexec_b32 s25, vcc_lo
	s_cbranch_execz .LBB6_3755
; %bb.3748:                             ;   in Loop: Header=BB6_3373 Depth=2
	v_mov_b32_e32 v23, 0
	s_mov_b32 s26, exec_lo
	v_cmpx_ne_u32_e32 0, v16
	s_cbranch_execz .LBB6_3754
; %bb.3749:                             ;   in Loop: Header=BB6_3373 Depth=2
	v_bfe_u32 v23, v16, 23, 8
	s_delay_alu instid0(VALU_DEP_1) | instskip(SKIP_1) | instid1(VALU_DEP_2)
	v_sub_nc_u32_e32 v71, 0x78, v23
	v_cmp_gt_u32_e32 vcc_lo, 0x79, v23
	v_dual_cndmask_b32 v71, 0, v71 :: v_dual_and_b32 v66, 0x7fffff, v16
	s_delay_alu instid0(VALU_DEP_1) | instskip(SKIP_2) | instid1(VALU_DEP_4)
	v_or_b32_e32 v118, 0x800000, v66
	v_cmp_eq_u32_e32 vcc_lo, 0, v23
	v_add_nc_u32_e32 v23, 0xffffff89, v23
	v_cndmask_b32_e64 v71, v71, 0x77, vcc_lo
	s_delay_alu instid0(VALU_DEP_4) | instskip(NEXT) | instid1(VALU_DEP_3)
	v_cndmask_b32_e32 v66, v118, v66, vcc_lo
	v_cndmask_b32_e64 v23, v23, 0xffffff8a, vcc_lo
	s_delay_alu instid0(VALU_DEP_3) | instskip(NEXT) | instid1(VALU_DEP_3)
	v_lshl_add_u32 v118, 0x100000, v71, -1
	v_lshrrev_b32_e32 v132, v71, v66
	v_lshlrev_b32_e64 v150, v71, 0x80000
	s_delay_alu instid0(VALU_DEP_4) | instskip(NEXT) | instid1(VALU_DEP_4)
	v_add_nc_u32_e32 v71, v71, v23
	v_and_b32_e32 v66, v118, v66
	s_delay_alu instid0(VALU_DEP_4) | instskip(NEXT) | instid1(VALU_DEP_2)
	v_bfe_u32 v145, v132, 20, 1
	v_cmp_eq_u32_e64 s11, v66, v150
	s_delay_alu instid0(VALU_DEP_2) | instskip(NEXT) | instid1(VALU_DEP_1)
	v_add_nc_u32_e32 v118, -1, v145
	v_cndmask_b32_e64 v66, 0, v118, s11
	v_lshrrev_b32_e32 v118, 23, v132
	s_mov_b32 s11, exec_lo
	s_delay_alu instid0(VALU_DEP_2) | instskip(NEXT) | instid1(VALU_DEP_2)
	v_add_nc_u32_e32 v66, v66, v132
	v_xor_b32_e32 v118, 1, v118
	s_delay_alu instid0(VALU_DEP_2) | instskip(NEXT) | instid1(VALU_DEP_1)
	v_and_b32_e32 v23, 0xfffff, v66
	v_add_nc_u32_e32 v66, v23, v132
                                        ; implicit-def: $vgpr23
	s_delay_alu instid0(VALU_DEP_3)
	v_cmpx_ne_u32_e64 v71, v118
	s_xor_b32 s11, exec_lo, s11
; %bb.3750:                             ;   in Loop: Header=BB6_3373 Depth=2
	s_delay_alu instid0(VALU_DEP_2) | instskip(SKIP_2) | instid1(VALU_DEP_2)
	v_cmp_lt_u32_e32 vcc_lo, 0xffffff, v66
	v_sub_nc_u32_e32 v23, v71, v118
	v_cndmask_b32_e64 v71, 0, 1, vcc_lo
	v_add_co_ci_u32_e32 v23, vcc_lo, 0, v23, vcc_lo
	s_delay_alu instid0(VALU_DEP_2)
	v_lshrrev_b32_e32 v66, v71, v66
; %bb.3751:                             ;   in Loop: Header=BB6_3373 Depth=2
	s_and_not1_saveexec_b32 s11, s11
; %bb.3752:                             ;   in Loop: Header=BB6_3373 Depth=2
	s_delay_alu instid0(VALU_DEP_1)
	v_bfe_u32 v23, v66, 23, 1
; %bb.3753:                             ;   in Loop: Header=BB6_3373 Depth=2
	s_or_b32 exec_lo, exec_lo, s11
	v_lshrrev_b32_e32 v66, 20, v66
	s_delay_alu instid0(VALU_DEP_2) | instskip(SKIP_2) | instid1(VALU_DEP_2)
	v_cmp_gt_i32_e32 vcc_lo, 16, v23
	v_min_i32_e32 v71, 15, v23
	v_lshrrev_b32_e32 v16, 24, v16
	v_dual_cndmask_b32 v66, 7, v66 :: v_dual_lshlrev_b32 v71, 3, v71
	s_delay_alu instid0(VALU_DEP_2) | instskip(NEXT) | instid1(VALU_DEP_2)
	v_and_b32_e32 v16, 0x80, v16
	v_or_b32_e32 v23, v23, v66
	s_delay_alu instid0(VALU_DEP_1) | instskip(SKIP_1) | instid1(VALU_DEP_1)
	v_cmp_ne_u32_e32 vcc_lo, 0, v23
	v_and_b32_e32 v118, 7, v66
	v_or3_b32 v16, v71, v16, v118
	s_delay_alu instid0(VALU_DEP_1)
	v_cndmask_b32_e32 v23, 0, v16, vcc_lo
.LBB6_3754:                             ;   in Loop: Header=BB6_3373 Depth=2
	s_or_b32 exec_lo, exec_lo, s26
.LBB6_3755:                             ;   in Loop: Header=BB6_3373 Depth=2
	s_delay_alu instid0(SALU_CYCLE_1)
	s_or_b32 exec_lo, exec_lo, s25
	flat_load_u8 v16, v[10:11] offset:992 slc dlc
	s_mov_b32 s11, 0
	s_mov_b32 s26, exec_lo
                                        ; implicit-def: $sgpr25
	s_waitcnt vmcnt(0) lgkmcnt(0)
	v_cmpx_lt_i16_e32 0x7f, v16
	s_xor_b32 s26, exec_lo, s26
	s_cbranch_execnz .LBB6_4404
; %bb.3756:                             ;   in Loop: Header=BB6_3373 Depth=2
	s_or_saveexec_b32 s26, s26
	v_mov_b32_e32 v66, s25
	s_xor_b32 exec_lo, exec_lo, s26
	s_cbranch_execnz .LBB6_4407
.LBB6_3757:                             ;   in Loop: Header=BB6_3373 Depth=2
	s_or_b32 exec_lo, exec_lo, s26
	s_and_saveexec_b32 s25, s11
	s_cbranch_execz .LBB6_3759
.LBB6_3758:                             ;   in Loop: Header=BB6_3373 Depth=2
	v_and_b32_e32 v66, 0xffff, v16
	v_lshlrev_b32_e32 v16, 24, v16
	s_delay_alu instid0(VALU_DEP_2) | instskip(NEXT) | instid1(VALU_DEP_2)
	v_and_b32_e32 v71, 7, v66
	v_and_b32_e32 v16, 0x80000000, v16
	s_delay_alu instid0(VALU_DEP_2) | instskip(NEXT) | instid1(VALU_DEP_1)
	v_clz_i32_u32_e32 v118, v71
	v_min_u32_e32 v118, 32, v118
	s_delay_alu instid0(VALU_DEP_1) | instskip(SKIP_1) | instid1(VALU_DEP_2)
	v_subrev_nc_u32_e32 v132, 28, v118
	v_sub_nc_u32_e32 v118, 29, v118
	v_lshlrev_b32_e32 v132, v132, v66
	v_bfe_u32 v66, v66, 3, 4
	s_delay_alu instid0(VALU_DEP_2) | instskip(NEXT) | instid1(VALU_DEP_2)
	v_and_b32_e32 v132, 7, v132
	v_cmp_eq_u32_e32 vcc_lo, 0, v66
	s_delay_alu instid0(VALU_DEP_2) | instskip(NEXT) | instid1(VALU_DEP_1)
	v_dual_cndmask_b32 v66, v66, v118 :: v_dual_cndmask_b32 v71, v71, v132
	v_lshl_add_u32 v66, v66, 23, 0x3b800000
	s_delay_alu instid0(VALU_DEP_2) | instskip(NEXT) | instid1(VALU_DEP_1)
	v_lshlrev_b32_e32 v71, 20, v71
	v_or3_b32 v66, v16, v66, v71
.LBB6_3759:                             ;   in Loop: Header=BB6_3373 Depth=2
	s_or_b32 exec_lo, exec_lo, s25
	s_delay_alu instid0(VALU_DEP_1) | instskip(NEXT) | instid1(VALU_DEP_1)
	v_mul_f32_e32 v16, v17, v66
	v_and_b32_e32 v17, 0x7f800000, v16
	s_delay_alu instid0(VALU_DEP_1)
	v_cmp_ne_u32_e32 vcc_lo, 0x7f800000, v17
	v_mov_b32_e32 v17, 0x80
	s_and_saveexec_b32 s25, vcc_lo
	s_cbranch_execz .LBB6_3767
; %bb.3760:                             ;   in Loop: Header=BB6_3373 Depth=2
	v_mov_b32_e32 v17, 0
	s_mov_b32 s26, exec_lo
	v_cmpx_ne_u32_e32 0, v16
	s_cbranch_execz .LBB6_3766
; %bb.3761:                             ;   in Loop: Header=BB6_3373 Depth=2
	v_bfe_u32 v17, v16, 23, 8
	s_delay_alu instid0(VALU_DEP_1) | instskip(SKIP_1) | instid1(VALU_DEP_2)
	v_sub_nc_u32_e32 v71, 0x78, v17
	v_cmp_gt_u32_e32 vcc_lo, 0x79, v17
	v_dual_cndmask_b32 v71, 0, v71 :: v_dual_and_b32 v66, 0x7fffff, v16
	s_delay_alu instid0(VALU_DEP_1) | instskip(SKIP_2) | instid1(VALU_DEP_4)
	v_or_b32_e32 v118, 0x800000, v66
	v_cmp_eq_u32_e32 vcc_lo, 0, v17
	v_add_nc_u32_e32 v17, 0xffffff89, v17
	v_cndmask_b32_e64 v71, v71, 0x77, vcc_lo
	s_delay_alu instid0(VALU_DEP_4) | instskip(NEXT) | instid1(VALU_DEP_3)
	v_cndmask_b32_e32 v66, v118, v66, vcc_lo
	v_cndmask_b32_e64 v17, v17, 0xffffff8a, vcc_lo
	s_delay_alu instid0(VALU_DEP_3) | instskip(NEXT) | instid1(VALU_DEP_3)
	v_lshl_add_u32 v118, 0x100000, v71, -1
	v_lshrrev_b32_e32 v132, v71, v66
	v_lshlrev_b32_e64 v150, v71, 0x80000
	s_delay_alu instid0(VALU_DEP_4) | instskip(NEXT) | instid1(VALU_DEP_4)
	v_add_nc_u32_e32 v71, v71, v17
	v_and_b32_e32 v66, v118, v66
	s_delay_alu instid0(VALU_DEP_4) | instskip(NEXT) | instid1(VALU_DEP_2)
	v_bfe_u32 v145, v132, 20, 1
	v_cmp_eq_u32_e64 s11, v66, v150
	s_delay_alu instid0(VALU_DEP_2) | instskip(NEXT) | instid1(VALU_DEP_1)
	v_add_nc_u32_e32 v118, -1, v145
	v_cndmask_b32_e64 v66, 0, v118, s11
	v_lshrrev_b32_e32 v118, 23, v132
	s_mov_b32 s11, exec_lo
	s_delay_alu instid0(VALU_DEP_2) | instskip(NEXT) | instid1(VALU_DEP_2)
	v_add_nc_u32_e32 v66, v66, v132
	v_xor_b32_e32 v118, 1, v118
	s_delay_alu instid0(VALU_DEP_2) | instskip(NEXT) | instid1(VALU_DEP_1)
	v_and_b32_e32 v17, 0xfffff, v66
	v_add_nc_u32_e32 v66, v17, v132
                                        ; implicit-def: $vgpr17
	s_delay_alu instid0(VALU_DEP_3)
	v_cmpx_ne_u32_e64 v71, v118
	s_xor_b32 s11, exec_lo, s11
; %bb.3762:                             ;   in Loop: Header=BB6_3373 Depth=2
	s_delay_alu instid0(VALU_DEP_2) | instskip(SKIP_2) | instid1(VALU_DEP_2)
	v_cmp_lt_u32_e32 vcc_lo, 0xffffff, v66
	v_sub_nc_u32_e32 v17, v71, v118
	v_cndmask_b32_e64 v71, 0, 1, vcc_lo
	v_add_co_ci_u32_e32 v17, vcc_lo, 0, v17, vcc_lo
	s_delay_alu instid0(VALU_DEP_2)
	v_lshrrev_b32_e32 v66, v71, v66
; %bb.3763:                             ;   in Loop: Header=BB6_3373 Depth=2
	s_and_not1_saveexec_b32 s11, s11
; %bb.3764:                             ;   in Loop: Header=BB6_3373 Depth=2
	s_delay_alu instid0(VALU_DEP_1)
	v_bfe_u32 v17, v66, 23, 1
; %bb.3765:                             ;   in Loop: Header=BB6_3373 Depth=2
	s_or_b32 exec_lo, exec_lo, s11
	v_lshrrev_b32_e32 v66, 20, v66
	s_delay_alu instid0(VALU_DEP_2) | instskip(SKIP_2) | instid1(VALU_DEP_2)
	v_cmp_gt_i32_e32 vcc_lo, 16, v17
	v_min_i32_e32 v71, 15, v17
	v_lshrrev_b32_e32 v16, 24, v16
	v_dual_cndmask_b32 v66, 7, v66 :: v_dual_lshlrev_b32 v71, 3, v71
	s_delay_alu instid0(VALU_DEP_2) | instskip(NEXT) | instid1(VALU_DEP_2)
	v_and_b32_e32 v16, 0x80, v16
	v_or_b32_e32 v17, v17, v66
	s_delay_alu instid0(VALU_DEP_1) | instskip(SKIP_1) | instid1(VALU_DEP_1)
	v_cmp_ne_u32_e32 vcc_lo, 0, v17
	v_and_b32_e32 v118, 7, v66
	v_or3_b32 v16, v71, v16, v118
	s_delay_alu instid0(VALU_DEP_1)
	v_cndmask_b32_e32 v17, 0, v16, vcc_lo
.LBB6_3766:                             ;   in Loop: Header=BB6_3373 Depth=2
	s_or_b32 exec_lo, exec_lo, s26
.LBB6_3767:                             ;   in Loop: Header=BB6_3373 Depth=2
	s_delay_alu instid0(SALU_CYCLE_1)
	s_or_b32 exec_lo, exec_lo, s25
	s_clause 0x1f
	flat_load_u8 v62, v[12:13] slc dlc
	flat_load_u8 v61, v[12:13] offset:32 slc dlc
	flat_load_u8 v60, v[12:13] offset:64 slc dlc
	;; [unrolled: 1-line block ×31, first 2 shown]
	v_and_b32_e32 v72, 0xff, v24
	s_mov_b32 s11, 0
	s_mov_b32 s26, exec_lo
                                        ; implicit-def: $sgpr25
	s_delay_alu instid0(VALU_DEP_1)
	v_cmpx_lt_i16_e32 0x7f, v72
	s_xor_b32 s26, exec_lo, s26
	s_cbranch_execnz .LBB6_4408
; %bb.3768:                             ;   in Loop: Header=BB6_3373 Depth=2
	s_or_saveexec_b32 s26, s26
	v_mov_b32_e32 v63, s25
	s_xor_b32 exec_lo, exec_lo, s26
	s_cbranch_execnz .LBB6_4411
.LBB6_3769:                             ;   in Loop: Header=BB6_3373 Depth=2
	s_or_b32 exec_lo, exec_lo, s26
	s_and_saveexec_b32 s25, s11
	s_cbranch_execz .LBB6_3771
.LBB6_3770:                             ;   in Loop: Header=BB6_3373 Depth=2
	v_and_b32_e32 v63, 7, v24
	v_lshrrev_b16 v74, 3, v24
	s_delay_alu instid0(VALU_DEP_2) | instskip(NEXT) | instid1(VALU_DEP_1)
	v_clz_i32_u32_e32 v72, v63
	v_min_u32_e32 v72, 32, v72
	s_delay_alu instid0(VALU_DEP_1) | instskip(SKIP_1) | instid1(VALU_DEP_2)
	v_subrev_nc_u32_e32 v73, 28, v72
	v_sub_nc_u32_e32 v72, 29, v72
	v_lshlrev_b32_e32 v73, v73, v24
	v_lshlrev_b32_e32 v24, 24, v24
	s_delay_alu instid0(VALU_DEP_2) | instskip(SKIP_1) | instid1(VALU_DEP_3)
	v_and_b32_e32 v73, 7, v73
	v_and_b32_e32 v74, 15, v74
	;; [unrolled: 1-line block ×3, first 2 shown]
	s_delay_alu instid0(VALU_DEP_2) | instskip(NEXT) | instid1(VALU_DEP_4)
	v_cmp_eq_u32_e32 vcc_lo, 0, v74
	v_dual_cndmask_b32 v63, v63, v73 :: v_dual_cndmask_b32 v72, v74, v72
	s_delay_alu instid0(VALU_DEP_1) | instskip(NEXT) | instid1(VALU_DEP_2)
	v_lshlrev_b32_e32 v63, 20, v63
	v_lshl_add_u32 v72, v72, 23, 0x3b800000
	s_delay_alu instid0(VALU_DEP_1)
	v_or3_b32 v63, v24, v72, v63
.LBB6_3771:                             ;   in Loop: Header=BB6_3373 Depth=2
	s_or_b32 exec_lo, exec_lo, s25
	s_waitcnt vmcnt(31) lgkmcnt(31)
	v_and_b32_e32 v72, 0xff, v62
	s_mov_b32 s11, 0
	s_mov_b32 s26, exec_lo
                                        ; implicit-def: $sgpr25
	s_delay_alu instid0(VALU_DEP_1)
	v_cmpx_lt_i16_e32 0x7f, v72
	s_xor_b32 s26, exec_lo, s26
	s_cbranch_execnz .LBB6_4412
; %bb.3772:                             ;   in Loop: Header=BB6_3373 Depth=2
	s_or_saveexec_b32 s26, s26
	v_mov_b32_e32 v24, s25
	s_xor_b32 exec_lo, exec_lo, s26
	s_cbranch_execnz .LBB6_4415
.LBB6_3773:                             ;   in Loop: Header=BB6_3373 Depth=2
	s_or_b32 exec_lo, exec_lo, s26
	s_and_saveexec_b32 s25, s11
	s_cbranch_execz .LBB6_3775
.LBB6_3774:                             ;   in Loop: Header=BB6_3373 Depth=2
	v_and_b32_e32 v24, 7, v62
	v_lshrrev_b16 v74, 3, v62
	s_delay_alu instid0(VALU_DEP_2) | instskip(NEXT) | instid1(VALU_DEP_2)
	v_clz_i32_u32_e32 v72, v24
	v_and_b32_e32 v74, 15, v74
	s_delay_alu instid0(VALU_DEP_2) | instskip(NEXT) | instid1(VALU_DEP_2)
	v_min_u32_e32 v72, 32, v72
	v_cmp_eq_u32_e32 vcc_lo, 0, v74
	s_delay_alu instid0(VALU_DEP_2) | instskip(SKIP_1) | instid1(VALU_DEP_1)
	v_subrev_nc_u32_e32 v73, 28, v72
	v_sub_nc_u32_e32 v72, 29, v72
	v_dual_cndmask_b32 v72, v74, v72 :: v_dual_lshlrev_b32 v73, v73, v62
	v_lshlrev_b32_e32 v62, 24, v62
	s_delay_alu instid0(VALU_DEP_2) | instskip(NEXT) | instid1(VALU_DEP_3)
	v_and_b32_e32 v73, 7, v73
	v_lshl_add_u32 v72, v72, 23, 0x3b800000
	s_delay_alu instid0(VALU_DEP_3) | instskip(NEXT) | instid1(VALU_DEP_3)
	v_and_b32_e32 v62, 0x80000000, v62
	v_cndmask_b32_e32 v24, v24, v73, vcc_lo
	s_delay_alu instid0(VALU_DEP_1) | instskip(NEXT) | instid1(VALU_DEP_1)
	v_lshlrev_b32_e32 v24, 20, v24
	v_or3_b32 v24, v62, v72, v24
.LBB6_3775:                             ;   in Loop: Header=BB6_3373 Depth=2
	s_or_b32 exec_lo, exec_lo, s25
	s_delay_alu instid0(VALU_DEP_1) | instskip(NEXT) | instid1(VALU_DEP_1)
	v_add_f32_e32 v62, v63, v24
	v_and_b32_e32 v24, 0x7f800000, v62
	s_delay_alu instid0(VALU_DEP_1)
	v_cmp_ne_u32_e32 vcc_lo, 0x7f800000, v24
	v_mov_b32_e32 v24, 0x80
	s_and_saveexec_b32 s25, vcc_lo
	s_cbranch_execz .LBB6_3783
; %bb.3776:                             ;   in Loop: Header=BB6_3373 Depth=2
	v_mov_b32_e32 v24, 0
	s_mov_b32 s26, exec_lo
	v_cmpx_ne_u32_e32 0, v62
	s_cbranch_execz .LBB6_3782
; %bb.3777:                             ;   in Loop: Header=BB6_3373 Depth=2
	v_bfe_u32 v24, v62, 23, 8
	s_delay_alu instid0(VALU_DEP_1) | instskip(SKIP_1) | instid1(VALU_DEP_2)
	v_sub_nc_u32_e32 v72, 0x78, v24
	v_cmp_gt_u32_e32 vcc_lo, 0x79, v24
	v_dual_cndmask_b32 v72, 0, v72 :: v_dual_and_b32 v63, 0x7fffff, v62
	s_delay_alu instid0(VALU_DEP_1) | instskip(SKIP_2) | instid1(VALU_DEP_4)
	v_or_b32_e32 v73, 0x800000, v63
	v_cmp_eq_u32_e32 vcc_lo, 0, v24
	v_add_nc_u32_e32 v24, 0xffffff89, v24
	v_cndmask_b32_e64 v72, v72, 0x77, vcc_lo
	s_delay_alu instid0(VALU_DEP_4) | instskip(NEXT) | instid1(VALU_DEP_3)
	v_cndmask_b32_e32 v63, v73, v63, vcc_lo
	v_cndmask_b32_e64 v24, v24, 0xffffff8a, vcc_lo
	s_delay_alu instid0(VALU_DEP_3) | instskip(NEXT) | instid1(VALU_DEP_3)
	v_lshl_add_u32 v73, 0x100000, v72, -1
	v_lshrrev_b32_e32 v74, v72, v63
	v_lshlrev_b32_e64 v76, v72, 0x80000
	s_delay_alu instid0(VALU_DEP_4) | instskip(NEXT) | instid1(VALU_DEP_4)
	v_add_nc_u32_e32 v72, v72, v24
	v_and_b32_e32 v63, v73, v63
	s_delay_alu instid0(VALU_DEP_4) | instskip(NEXT) | instid1(VALU_DEP_2)
	v_bfe_u32 v75, v74, 20, 1
	v_cmp_eq_u32_e64 s11, v63, v76
	s_delay_alu instid0(VALU_DEP_2) | instskip(NEXT) | instid1(VALU_DEP_1)
	v_add_nc_u32_e32 v73, -1, v75
	v_cndmask_b32_e64 v63, 0, v73, s11
	v_lshrrev_b32_e32 v73, 23, v74
	s_mov_b32 s11, exec_lo
	s_delay_alu instid0(VALU_DEP_2) | instskip(NEXT) | instid1(VALU_DEP_2)
	v_add_nc_u32_e32 v63, v63, v74
	v_xor_b32_e32 v73, 1, v73
	s_delay_alu instid0(VALU_DEP_2) | instskip(NEXT) | instid1(VALU_DEP_1)
	v_and_b32_e32 v24, 0xfffff, v63
	v_add_nc_u32_e32 v63, v24, v74
                                        ; implicit-def: $vgpr24
	s_delay_alu instid0(VALU_DEP_3)
	v_cmpx_ne_u32_e64 v72, v73
	s_xor_b32 s11, exec_lo, s11
; %bb.3778:                             ;   in Loop: Header=BB6_3373 Depth=2
	s_delay_alu instid0(VALU_DEP_2) | instskip(SKIP_2) | instid1(VALU_DEP_2)
	v_cmp_lt_u32_e32 vcc_lo, 0xffffff, v63
	v_sub_nc_u32_e32 v24, v72, v73
	v_cndmask_b32_e64 v72, 0, 1, vcc_lo
	v_add_co_ci_u32_e32 v24, vcc_lo, 0, v24, vcc_lo
	s_delay_alu instid0(VALU_DEP_2)
	v_lshrrev_b32_e32 v63, v72, v63
; %bb.3779:                             ;   in Loop: Header=BB6_3373 Depth=2
	s_and_not1_saveexec_b32 s11, s11
; %bb.3780:                             ;   in Loop: Header=BB6_3373 Depth=2
	s_delay_alu instid0(VALU_DEP_1)
	v_bfe_u32 v24, v63, 23, 1
; %bb.3781:                             ;   in Loop: Header=BB6_3373 Depth=2
	s_or_b32 exec_lo, exec_lo, s11
	v_lshrrev_b32_e32 v63, 20, v63
	s_delay_alu instid0(VALU_DEP_2) | instskip(SKIP_2) | instid1(VALU_DEP_2)
	v_cmp_gt_i32_e32 vcc_lo, 16, v24
	v_lshrrev_b32_e32 v62, 24, v62
	v_min_i32_e32 v72, 15, v24
	v_dual_cndmask_b32 v63, 7, v63 :: v_dual_and_b32 v62, 0x80, v62
	s_delay_alu instid0(VALU_DEP_2) | instskip(NEXT) | instid1(VALU_DEP_2)
	v_lshlrev_b32_e32 v72, 3, v72
	v_or_b32_e32 v24, v24, v63
	s_delay_alu instid0(VALU_DEP_1) | instskip(SKIP_1) | instid1(VALU_DEP_1)
	v_cmp_ne_u32_e32 vcc_lo, 0, v24
	v_and_b32_e32 v73, 7, v63
	v_or3_b32 v62, v72, v62, v73
	s_delay_alu instid0(VALU_DEP_1)
	v_cndmask_b32_e32 v24, 0, v62, vcc_lo
.LBB6_3782:                             ;   in Loop: Header=BB6_3373 Depth=2
	s_or_b32 exec_lo, exec_lo, s26
.LBB6_3783:                             ;   in Loop: Header=BB6_3373 Depth=2
	s_delay_alu instid0(SALU_CYCLE_1) | instskip(SKIP_3) | instid1(VALU_DEP_1)
	s_or_b32 exec_lo, exec_lo, s25
	v_and_b32_e32 v63, 0xff, v69
	s_mov_b32 s11, 0
	s_mov_b32 s26, exec_lo
                                        ; implicit-def: $sgpr25
	v_cmpx_lt_i16_e32 0x7f, v63
	s_xor_b32 s26, exec_lo, s26
	s_cbranch_execnz .LBB6_4416
; %bb.3784:                             ;   in Loop: Header=BB6_3373 Depth=2
	s_or_saveexec_b32 s26, s26
	v_mov_b32_e32 v62, s25
	s_xor_b32 exec_lo, exec_lo, s26
	s_cbranch_execnz .LBB6_4419
.LBB6_3785:                             ;   in Loop: Header=BB6_3373 Depth=2
	s_or_b32 exec_lo, exec_lo, s26
	s_and_saveexec_b32 s25, s11
	s_cbranch_execz .LBB6_3787
.LBB6_3786:                             ;   in Loop: Header=BB6_3373 Depth=2
	v_lshrrev_b16 v73, 3, v69
	s_delay_alu instid0(VALU_DEP_1) | instskip(NEXT) | instid1(VALU_DEP_1)
	v_and_b32_e32 v73, 15, v73
	v_cmp_eq_u32_e32 vcc_lo, 0, v73
	v_and_b32_e32 v62, 7, v69
	s_delay_alu instid0(VALU_DEP_1) | instskip(NEXT) | instid1(VALU_DEP_1)
	v_clz_i32_u32_e32 v63, v62
	v_min_u32_e32 v63, 32, v63
	s_delay_alu instid0(VALU_DEP_1) | instskip(SKIP_1) | instid1(VALU_DEP_1)
	v_subrev_nc_u32_e32 v72, 28, v63
	v_sub_nc_u32_e32 v63, 29, v63
	v_dual_cndmask_b32 v63, v73, v63 :: v_dual_lshlrev_b32 v72, v72, v69
	v_lshlrev_b32_e32 v69, 24, v69
	s_delay_alu instid0(VALU_DEP_2) | instskip(NEXT) | instid1(VALU_DEP_3)
	v_and_b32_e32 v72, 7, v72
	v_lshl_add_u32 v63, v63, 23, 0x3b800000
	s_delay_alu instid0(VALU_DEP_2) | instskip(NEXT) | instid1(VALU_DEP_1)
	v_dual_cndmask_b32 v62, v62, v72 :: v_dual_and_b32 v69, 0x80000000, v69
	v_lshlrev_b32_e32 v62, 20, v62
	s_delay_alu instid0(VALU_DEP_1)
	v_or3_b32 v62, v69, v63, v62
.LBB6_3787:                             ;   in Loop: Header=BB6_3373 Depth=2
	s_or_b32 exec_lo, exec_lo, s25
	s_waitcnt vmcnt(30) lgkmcnt(30)
	v_and_b32_e32 v63, 0xff, v61
	s_mov_b32 s11, 0
	s_mov_b32 s26, exec_lo
                                        ; implicit-def: $sgpr25
	s_delay_alu instid0(VALU_DEP_1)
	v_cmpx_lt_i16_e32 0x7f, v63
	s_xor_b32 s26, exec_lo, s26
	s_cbranch_execnz .LBB6_4420
; %bb.3788:                             ;   in Loop: Header=BB6_3373 Depth=2
	s_or_saveexec_b32 s26, s26
	v_mov_b32_e32 v69, s25
	s_xor_b32 exec_lo, exec_lo, s26
	s_cbranch_execnz .LBB6_4423
.LBB6_3789:                             ;   in Loop: Header=BB6_3373 Depth=2
	s_or_b32 exec_lo, exec_lo, s26
	s_and_saveexec_b32 s25, s11
	s_cbranch_execz .LBB6_3791
.LBB6_3790:                             ;   in Loop: Header=BB6_3373 Depth=2
	v_and_b32_e32 v69, 7, v61
	v_lshrrev_b16 v73, 3, v61
	s_delay_alu instid0(VALU_DEP_2) | instskip(NEXT) | instid1(VALU_DEP_2)
	v_clz_i32_u32_e32 v63, v69
	v_and_b32_e32 v73, 15, v73
	s_delay_alu instid0(VALU_DEP_2) | instskip(NEXT) | instid1(VALU_DEP_2)
	v_min_u32_e32 v63, 32, v63
	v_cmp_eq_u32_e32 vcc_lo, 0, v73
	s_delay_alu instid0(VALU_DEP_2) | instskip(SKIP_1) | instid1(VALU_DEP_1)
	v_subrev_nc_u32_e32 v72, 28, v63
	v_sub_nc_u32_e32 v63, 29, v63
	v_dual_cndmask_b32 v63, v73, v63 :: v_dual_lshlrev_b32 v72, v72, v61
	v_lshlrev_b32_e32 v61, 24, v61
	s_delay_alu instid0(VALU_DEP_2) | instskip(NEXT) | instid1(VALU_DEP_3)
	v_and_b32_e32 v72, 7, v72
	v_lshl_add_u32 v63, v63, 23, 0x3b800000
	s_delay_alu instid0(VALU_DEP_3) | instskip(NEXT) | instid1(VALU_DEP_3)
	v_and_b32_e32 v61, 0x80000000, v61
	v_cndmask_b32_e32 v69, v69, v72, vcc_lo
	s_delay_alu instid0(VALU_DEP_1) | instskip(NEXT) | instid1(VALU_DEP_1)
	v_lshlrev_b32_e32 v69, 20, v69
	v_or3_b32 v69, v61, v63, v69
.LBB6_3791:                             ;   in Loop: Header=BB6_3373 Depth=2
	s_or_b32 exec_lo, exec_lo, s25
	s_delay_alu instid0(VALU_DEP_1) | instskip(NEXT) | instid1(VALU_DEP_1)
	v_add_f32_e32 v61, v62, v69
	v_and_b32_e32 v69, 0x7f800000, v61
	s_delay_alu instid0(VALU_DEP_1)
	v_cmp_ne_u32_e32 vcc_lo, 0x7f800000, v69
	v_mov_b32_e32 v69, 0x80
	s_and_saveexec_b32 s25, vcc_lo
	s_cbranch_execz .LBB6_3799
; %bb.3792:                             ;   in Loop: Header=BB6_3373 Depth=2
	v_mov_b32_e32 v69, 0
	s_mov_b32 s26, exec_lo
	v_cmpx_ne_u32_e32 0, v61
	s_cbranch_execz .LBB6_3798
; %bb.3793:                             ;   in Loop: Header=BB6_3373 Depth=2
	v_bfe_u32 v69, v61, 23, 8
	s_delay_alu instid0(VALU_DEP_1) | instskip(SKIP_1) | instid1(VALU_DEP_2)
	v_sub_nc_u32_e32 v63, 0x78, v69
	v_cmp_gt_u32_e32 vcc_lo, 0x79, v69
	v_dual_cndmask_b32 v63, 0, v63 :: v_dual_and_b32 v62, 0x7fffff, v61
	s_delay_alu instid0(VALU_DEP_1) | instskip(SKIP_2) | instid1(VALU_DEP_4)
	v_or_b32_e32 v72, 0x800000, v62
	v_cmp_eq_u32_e32 vcc_lo, 0, v69
	v_add_nc_u32_e32 v69, 0xffffff89, v69
	v_cndmask_b32_e64 v63, v63, 0x77, vcc_lo
	s_delay_alu instid0(VALU_DEP_4) | instskip(NEXT) | instid1(VALU_DEP_3)
	v_cndmask_b32_e32 v62, v72, v62, vcc_lo
	v_cndmask_b32_e64 v69, v69, 0xffffff8a, vcc_lo
	s_delay_alu instid0(VALU_DEP_3) | instskip(NEXT) | instid1(VALU_DEP_3)
	v_lshl_add_u32 v72, 0x100000, v63, -1
	v_lshrrev_b32_e32 v73, v63, v62
	v_lshlrev_b32_e64 v75, v63, 0x80000
	s_delay_alu instid0(VALU_DEP_4) | instskip(NEXT) | instid1(VALU_DEP_4)
	v_add_nc_u32_e32 v63, v63, v69
	v_and_b32_e32 v62, v72, v62
	s_delay_alu instid0(VALU_DEP_4) | instskip(NEXT) | instid1(VALU_DEP_2)
	v_bfe_u32 v74, v73, 20, 1
	v_cmp_eq_u32_e64 s11, v62, v75
	s_delay_alu instid0(VALU_DEP_2) | instskip(NEXT) | instid1(VALU_DEP_1)
	v_add_nc_u32_e32 v72, -1, v74
	v_cndmask_b32_e64 v62, 0, v72, s11
	v_lshrrev_b32_e32 v72, 23, v73
	s_mov_b32 s11, exec_lo
	s_delay_alu instid0(VALU_DEP_2) | instskip(NEXT) | instid1(VALU_DEP_2)
	v_add_nc_u32_e32 v62, v62, v73
	v_xor_b32_e32 v72, 1, v72
	s_delay_alu instid0(VALU_DEP_2) | instskip(NEXT) | instid1(VALU_DEP_1)
	v_and_b32_e32 v69, 0xfffff, v62
	v_add_nc_u32_e32 v62, v69, v73
                                        ; implicit-def: $vgpr69
	s_delay_alu instid0(VALU_DEP_3)
	v_cmpx_ne_u32_e64 v63, v72
	s_xor_b32 s11, exec_lo, s11
; %bb.3794:                             ;   in Loop: Header=BB6_3373 Depth=2
	s_delay_alu instid0(VALU_DEP_2) | instskip(SKIP_2) | instid1(VALU_DEP_2)
	v_cmp_lt_u32_e32 vcc_lo, 0xffffff, v62
	v_sub_nc_u32_e32 v69, v63, v72
	v_cndmask_b32_e64 v63, 0, 1, vcc_lo
	v_add_co_ci_u32_e32 v69, vcc_lo, 0, v69, vcc_lo
	s_delay_alu instid0(VALU_DEP_2)
	v_lshrrev_b32_e32 v62, v63, v62
; %bb.3795:                             ;   in Loop: Header=BB6_3373 Depth=2
	s_and_not1_saveexec_b32 s11, s11
; %bb.3796:                             ;   in Loop: Header=BB6_3373 Depth=2
	s_delay_alu instid0(VALU_DEP_1)
	v_bfe_u32 v69, v62, 23, 1
; %bb.3797:                             ;   in Loop: Header=BB6_3373 Depth=2
	s_or_b32 exec_lo, exec_lo, s11
	v_lshrrev_b32_e32 v62, 20, v62
	s_delay_alu instid0(VALU_DEP_2) | instskip(SKIP_2) | instid1(VALU_DEP_2)
	v_cmp_gt_i32_e32 vcc_lo, 16, v69
	v_lshrrev_b32_e32 v61, 24, v61
	v_min_i32_e32 v63, 15, v69
	v_dual_cndmask_b32 v62, 7, v62 :: v_dual_and_b32 v61, 0x80, v61
	s_delay_alu instid0(VALU_DEP_2) | instskip(NEXT) | instid1(VALU_DEP_2)
	v_lshlrev_b32_e32 v63, 3, v63
	v_or_b32_e32 v69, v69, v62
	s_delay_alu instid0(VALU_DEP_1) | instskip(SKIP_1) | instid1(VALU_DEP_1)
	v_cmp_ne_u32_e32 vcc_lo, 0, v69
	v_and_b32_e32 v72, 7, v62
	v_or3_b32 v61, v63, v61, v72
	s_delay_alu instid0(VALU_DEP_1)
	v_cndmask_b32_e32 v69, 0, v61, vcc_lo
.LBB6_3798:                             ;   in Loop: Header=BB6_3373 Depth=2
	s_or_b32 exec_lo, exec_lo, s26
.LBB6_3799:                             ;   in Loop: Header=BB6_3373 Depth=2
	s_delay_alu instid0(SALU_CYCLE_1) | instskip(SKIP_3) | instid1(VALU_DEP_1)
	s_or_b32 exec_lo, exec_lo, s25
	v_and_b32_e32 v62, 0xff, v116
	s_mov_b32 s11, 0
	s_mov_b32 s26, exec_lo
                                        ; implicit-def: $sgpr25
	v_cmpx_lt_i16_e32 0x7f, v62
	s_xor_b32 s26, exec_lo, s26
	s_cbranch_execnz .LBB6_4424
; %bb.3800:                             ;   in Loop: Header=BB6_3373 Depth=2
	s_or_saveexec_b32 s26, s26
	v_mov_b32_e32 v61, s25
	s_xor_b32 exec_lo, exec_lo, s26
	s_cbranch_execnz .LBB6_4427
.LBB6_3801:                             ;   in Loop: Header=BB6_3373 Depth=2
	s_or_b32 exec_lo, exec_lo, s26
	s_and_saveexec_b32 s25, s11
	s_cbranch_execz .LBB6_3803
.LBB6_3802:                             ;   in Loop: Header=BB6_3373 Depth=2
	v_lshrrev_b16 v72, 3, v116
	s_delay_alu instid0(VALU_DEP_1) | instskip(NEXT) | instid1(VALU_DEP_1)
	v_and_b32_e32 v72, 15, v72
	v_cmp_eq_u32_e32 vcc_lo, 0, v72
	v_and_b32_e32 v61, 7, v116
	s_delay_alu instid0(VALU_DEP_1) | instskip(NEXT) | instid1(VALU_DEP_1)
	v_clz_i32_u32_e32 v62, v61
	v_min_u32_e32 v62, 32, v62
	s_delay_alu instid0(VALU_DEP_1) | instskip(SKIP_1) | instid1(VALU_DEP_1)
	v_subrev_nc_u32_e32 v63, 28, v62
	v_sub_nc_u32_e32 v62, 29, v62
	v_dual_cndmask_b32 v62, v72, v62 :: v_dual_lshlrev_b32 v63, v63, v116
	v_lshlrev_b32_e32 v116, 24, v116
	s_delay_alu instid0(VALU_DEP_2) | instskip(NEXT) | instid1(VALU_DEP_3)
	v_and_b32_e32 v63, 7, v63
	v_lshl_add_u32 v62, v62, 23, 0x3b800000
	s_delay_alu instid0(VALU_DEP_2) | instskip(NEXT) | instid1(VALU_DEP_1)
	v_dual_cndmask_b32 v61, v61, v63 :: v_dual_and_b32 v116, 0x80000000, v116
	v_lshlrev_b32_e32 v61, 20, v61
	s_delay_alu instid0(VALU_DEP_1)
	v_or3_b32 v61, v116, v62, v61
.LBB6_3803:                             ;   in Loop: Header=BB6_3373 Depth=2
	s_or_b32 exec_lo, exec_lo, s25
	s_waitcnt vmcnt(29) lgkmcnt(29)
	v_and_b32_e32 v62, 0xff, v60
	s_mov_b32 s11, 0
	s_mov_b32 s26, exec_lo
                                        ; implicit-def: $sgpr25
	s_delay_alu instid0(VALU_DEP_1)
	v_cmpx_lt_i16_e32 0x7f, v62
	s_xor_b32 s26, exec_lo, s26
	s_cbranch_execnz .LBB6_4428
; %bb.3804:                             ;   in Loop: Header=BB6_3373 Depth=2
	s_or_saveexec_b32 s26, s26
	v_mov_b32_e32 v116, s25
	s_xor_b32 exec_lo, exec_lo, s26
	s_cbranch_execnz .LBB6_4431
.LBB6_3805:                             ;   in Loop: Header=BB6_3373 Depth=2
	s_or_b32 exec_lo, exec_lo, s26
	s_and_saveexec_b32 s25, s11
	s_cbranch_execz .LBB6_3807
.LBB6_3806:                             ;   in Loop: Header=BB6_3373 Depth=2
	v_and_b32_e32 v116, 7, v60
	v_lshrrev_b16 v72, 3, v60
	s_delay_alu instid0(VALU_DEP_2) | instskip(NEXT) | instid1(VALU_DEP_2)
	v_clz_i32_u32_e32 v62, v116
	v_and_b32_e32 v72, 15, v72
	s_delay_alu instid0(VALU_DEP_2) | instskip(NEXT) | instid1(VALU_DEP_2)
	v_min_u32_e32 v62, 32, v62
	v_cmp_eq_u32_e32 vcc_lo, 0, v72
	s_delay_alu instid0(VALU_DEP_2) | instskip(SKIP_1) | instid1(VALU_DEP_1)
	v_subrev_nc_u32_e32 v63, 28, v62
	v_sub_nc_u32_e32 v62, 29, v62
	v_dual_cndmask_b32 v62, v72, v62 :: v_dual_lshlrev_b32 v63, v63, v60
	v_lshlrev_b32_e32 v60, 24, v60
	s_delay_alu instid0(VALU_DEP_2) | instskip(NEXT) | instid1(VALU_DEP_3)
	v_and_b32_e32 v63, 7, v63
	v_lshl_add_u32 v62, v62, 23, 0x3b800000
	s_delay_alu instid0(VALU_DEP_3) | instskip(NEXT) | instid1(VALU_DEP_3)
	v_and_b32_e32 v60, 0x80000000, v60
	v_cndmask_b32_e32 v116, v116, v63, vcc_lo
	s_delay_alu instid0(VALU_DEP_1) | instskip(NEXT) | instid1(VALU_DEP_1)
	v_lshlrev_b32_e32 v116, 20, v116
	v_or3_b32 v116, v60, v62, v116
.LBB6_3807:                             ;   in Loop: Header=BB6_3373 Depth=2
	s_or_b32 exec_lo, exec_lo, s25
	s_delay_alu instid0(VALU_DEP_1) | instskip(NEXT) | instid1(VALU_DEP_1)
	v_add_f32_e32 v60, v61, v116
	v_and_b32_e32 v116, 0x7f800000, v60
	s_delay_alu instid0(VALU_DEP_1)
	v_cmp_ne_u32_e32 vcc_lo, 0x7f800000, v116
	v_mov_b32_e32 v116, 0x80
	s_and_saveexec_b32 s25, vcc_lo
	s_cbranch_execz .LBB6_3815
; %bb.3808:                             ;   in Loop: Header=BB6_3373 Depth=2
	v_mov_b32_e32 v116, 0
	s_mov_b32 s26, exec_lo
	v_cmpx_ne_u32_e32 0, v60
	s_cbranch_execz .LBB6_3814
; %bb.3809:                             ;   in Loop: Header=BB6_3373 Depth=2
	v_bfe_u32 v116, v60, 23, 8
	s_delay_alu instid0(VALU_DEP_1) | instskip(SKIP_1) | instid1(VALU_DEP_2)
	v_sub_nc_u32_e32 v62, 0x78, v116
	v_cmp_gt_u32_e32 vcc_lo, 0x79, v116
	v_dual_cndmask_b32 v62, 0, v62 :: v_dual_and_b32 v61, 0x7fffff, v60
	s_delay_alu instid0(VALU_DEP_1) | instskip(SKIP_2) | instid1(VALU_DEP_4)
	v_or_b32_e32 v63, 0x800000, v61
	v_cmp_eq_u32_e32 vcc_lo, 0, v116
	v_add_nc_u32_e32 v116, 0xffffff89, v116
	v_cndmask_b32_e64 v62, v62, 0x77, vcc_lo
	s_delay_alu instid0(VALU_DEP_4) | instskip(NEXT) | instid1(VALU_DEP_3)
	v_cndmask_b32_e32 v61, v63, v61, vcc_lo
	v_cndmask_b32_e64 v116, v116, 0xffffff8a, vcc_lo
	s_delay_alu instid0(VALU_DEP_3) | instskip(NEXT) | instid1(VALU_DEP_3)
	v_lshl_add_u32 v63, 0x100000, v62, -1
	v_lshrrev_b32_e32 v72, v62, v61
	v_lshlrev_b32_e64 v74, v62, 0x80000
	s_delay_alu instid0(VALU_DEP_4) | instskip(NEXT) | instid1(VALU_DEP_4)
	v_add_nc_u32_e32 v62, v62, v116
	v_and_b32_e32 v61, v63, v61
	s_delay_alu instid0(VALU_DEP_4) | instskip(NEXT) | instid1(VALU_DEP_2)
	v_bfe_u32 v73, v72, 20, 1
	v_cmp_eq_u32_e64 s11, v61, v74
	s_delay_alu instid0(VALU_DEP_2) | instskip(NEXT) | instid1(VALU_DEP_1)
	v_add_nc_u32_e32 v63, -1, v73
	v_cndmask_b32_e64 v61, 0, v63, s11
	v_lshrrev_b32_e32 v63, 23, v72
	s_mov_b32 s11, exec_lo
	s_delay_alu instid0(VALU_DEP_2) | instskip(NEXT) | instid1(VALU_DEP_2)
	v_add_nc_u32_e32 v61, v61, v72
	v_xor_b32_e32 v63, 1, v63
	s_delay_alu instid0(VALU_DEP_2) | instskip(NEXT) | instid1(VALU_DEP_1)
	v_and_b32_e32 v116, 0xfffff, v61
	v_add_nc_u32_e32 v61, v116, v72
                                        ; implicit-def: $vgpr116
	s_delay_alu instid0(VALU_DEP_3)
	v_cmpx_ne_u32_e64 v62, v63
	s_xor_b32 s11, exec_lo, s11
; %bb.3810:                             ;   in Loop: Header=BB6_3373 Depth=2
	s_delay_alu instid0(VALU_DEP_2) | instskip(SKIP_2) | instid1(VALU_DEP_2)
	v_cmp_lt_u32_e32 vcc_lo, 0xffffff, v61
	v_sub_nc_u32_e32 v116, v62, v63
	v_cndmask_b32_e64 v62, 0, 1, vcc_lo
	v_add_co_ci_u32_e32 v116, vcc_lo, 0, v116, vcc_lo
	s_delay_alu instid0(VALU_DEP_2)
	v_lshrrev_b32_e32 v61, v62, v61
; %bb.3811:                             ;   in Loop: Header=BB6_3373 Depth=2
	s_and_not1_saveexec_b32 s11, s11
; %bb.3812:                             ;   in Loop: Header=BB6_3373 Depth=2
	s_delay_alu instid0(VALU_DEP_1)
	v_bfe_u32 v116, v61, 23, 1
; %bb.3813:                             ;   in Loop: Header=BB6_3373 Depth=2
	s_or_b32 exec_lo, exec_lo, s11
	v_lshrrev_b32_e32 v61, 20, v61
	s_delay_alu instid0(VALU_DEP_2) | instskip(SKIP_2) | instid1(VALU_DEP_2)
	v_cmp_gt_i32_e32 vcc_lo, 16, v116
	v_lshrrev_b32_e32 v60, 24, v60
	v_min_i32_e32 v62, 15, v116
	v_dual_cndmask_b32 v61, 7, v61 :: v_dual_and_b32 v60, 0x80, v60
	s_delay_alu instid0(VALU_DEP_2) | instskip(NEXT) | instid1(VALU_DEP_2)
	v_lshlrev_b32_e32 v62, 3, v62
	v_or_b32_e32 v116, v116, v61
	s_delay_alu instid0(VALU_DEP_1) | instskip(SKIP_1) | instid1(VALU_DEP_1)
	v_cmp_ne_u32_e32 vcc_lo, 0, v116
	v_and_b32_e32 v63, 7, v61
	v_or3_b32 v60, v62, v60, v63
	s_delay_alu instid0(VALU_DEP_1)
	v_cndmask_b32_e32 v116, 0, v60, vcc_lo
.LBB6_3814:                             ;   in Loop: Header=BB6_3373 Depth=2
	s_or_b32 exec_lo, exec_lo, s26
.LBB6_3815:                             ;   in Loop: Header=BB6_3373 Depth=2
	s_delay_alu instid0(SALU_CYCLE_1) | instskip(SKIP_3) | instid1(VALU_DEP_1)
	s_or_b32 exec_lo, exec_lo, s25
	v_and_b32_e32 v61, 0xff, v129
	s_mov_b32 s11, 0
	s_mov_b32 s26, exec_lo
                                        ; implicit-def: $sgpr25
	v_cmpx_lt_i16_e32 0x7f, v61
	s_xor_b32 s26, exec_lo, s26
	s_cbranch_execnz .LBB6_4432
; %bb.3816:                             ;   in Loop: Header=BB6_3373 Depth=2
	s_or_saveexec_b32 s26, s26
	v_mov_b32_e32 v60, s25
	s_xor_b32 exec_lo, exec_lo, s26
	s_cbranch_execnz .LBB6_4435
.LBB6_3817:                             ;   in Loop: Header=BB6_3373 Depth=2
	s_or_b32 exec_lo, exec_lo, s26
	s_and_saveexec_b32 s25, s11
	s_cbranch_execz .LBB6_3819
.LBB6_3818:                             ;   in Loop: Header=BB6_3373 Depth=2
	v_and_b32_e32 v60, 7, v129
	v_lshrrev_b16 v63, 3, v129
	s_delay_alu instid0(VALU_DEP_2) | instskip(NEXT) | instid1(VALU_DEP_1)
	v_clz_i32_u32_e32 v61, v60
	v_min_u32_e32 v61, 32, v61
	s_delay_alu instid0(VALU_DEP_1) | instskip(SKIP_1) | instid1(VALU_DEP_2)
	v_subrev_nc_u32_e32 v62, 28, v61
	v_sub_nc_u32_e32 v61, 29, v61
	v_lshlrev_b32_e32 v62, v62, v129
	v_lshlrev_b32_e32 v129, 24, v129
	s_delay_alu instid0(VALU_DEP_2) | instskip(SKIP_1) | instid1(VALU_DEP_3)
	v_and_b32_e32 v62, 7, v62
	v_and_b32_e32 v63, 15, v63
	;; [unrolled: 1-line block ×3, first 2 shown]
	s_delay_alu instid0(VALU_DEP_2) | instskip(NEXT) | instid1(VALU_DEP_4)
	v_cmp_eq_u32_e32 vcc_lo, 0, v63
	v_dual_cndmask_b32 v60, v60, v62 :: v_dual_cndmask_b32 v61, v63, v61
	s_delay_alu instid0(VALU_DEP_1) | instskip(NEXT) | instid1(VALU_DEP_2)
	v_lshlrev_b32_e32 v60, 20, v60
	v_lshl_add_u32 v61, v61, 23, 0x3b800000
	s_delay_alu instid0(VALU_DEP_1)
	v_or3_b32 v60, v129, v61, v60
.LBB6_3819:                             ;   in Loop: Header=BB6_3373 Depth=2
	s_or_b32 exec_lo, exec_lo, s25
	s_waitcnt vmcnt(28) lgkmcnt(28)
	v_and_b32_e32 v61, 0xff, v59
	s_mov_b32 s11, 0
	s_mov_b32 s26, exec_lo
                                        ; implicit-def: $sgpr25
	s_delay_alu instid0(VALU_DEP_1)
	v_cmpx_lt_i16_e32 0x7f, v61
	s_xor_b32 s26, exec_lo, s26
	s_cbranch_execnz .LBB6_4436
; %bb.3820:                             ;   in Loop: Header=BB6_3373 Depth=2
	s_or_saveexec_b32 s26, s26
	v_mov_b32_e32 v129, s25
	s_xor_b32 exec_lo, exec_lo, s26
	s_cbranch_execnz .LBB6_4439
.LBB6_3821:                             ;   in Loop: Header=BB6_3373 Depth=2
	s_or_b32 exec_lo, exec_lo, s26
	s_and_saveexec_b32 s25, s11
	s_cbranch_execz .LBB6_3823
.LBB6_3822:                             ;   in Loop: Header=BB6_3373 Depth=2
	v_and_b32_e32 v129, 7, v59
	v_lshrrev_b16 v63, 3, v59
	s_delay_alu instid0(VALU_DEP_2) | instskip(NEXT) | instid1(VALU_DEP_2)
	v_clz_i32_u32_e32 v61, v129
	v_and_b32_e32 v63, 15, v63
	s_delay_alu instid0(VALU_DEP_2) | instskip(NEXT) | instid1(VALU_DEP_2)
	v_min_u32_e32 v61, 32, v61
	v_cmp_eq_u32_e32 vcc_lo, 0, v63
	s_delay_alu instid0(VALU_DEP_2) | instskip(SKIP_1) | instid1(VALU_DEP_1)
	v_subrev_nc_u32_e32 v62, 28, v61
	v_sub_nc_u32_e32 v61, 29, v61
	v_dual_cndmask_b32 v61, v63, v61 :: v_dual_lshlrev_b32 v62, v62, v59
	v_lshlrev_b32_e32 v59, 24, v59
	s_delay_alu instid0(VALU_DEP_2) | instskip(NEXT) | instid1(VALU_DEP_3)
	v_and_b32_e32 v62, 7, v62
	v_lshl_add_u32 v61, v61, 23, 0x3b800000
	s_delay_alu instid0(VALU_DEP_3) | instskip(NEXT) | instid1(VALU_DEP_3)
	v_and_b32_e32 v59, 0x80000000, v59
	v_cndmask_b32_e32 v129, v129, v62, vcc_lo
	s_delay_alu instid0(VALU_DEP_1) | instskip(NEXT) | instid1(VALU_DEP_1)
	v_lshlrev_b32_e32 v129, 20, v129
	v_or3_b32 v129, v59, v61, v129
.LBB6_3823:                             ;   in Loop: Header=BB6_3373 Depth=2
	s_or_b32 exec_lo, exec_lo, s25
	s_delay_alu instid0(VALU_DEP_1) | instskip(NEXT) | instid1(VALU_DEP_1)
	v_add_f32_e32 v59, v60, v129
	v_and_b32_e32 v129, 0x7f800000, v59
	s_delay_alu instid0(VALU_DEP_1)
	v_cmp_ne_u32_e32 vcc_lo, 0x7f800000, v129
	v_mov_b32_e32 v129, 0x80
	s_and_saveexec_b32 s25, vcc_lo
	s_cbranch_execz .LBB6_3831
; %bb.3824:                             ;   in Loop: Header=BB6_3373 Depth=2
	v_mov_b32_e32 v129, 0
	s_mov_b32 s26, exec_lo
	v_cmpx_ne_u32_e32 0, v59
	s_cbranch_execz .LBB6_3830
; %bb.3825:                             ;   in Loop: Header=BB6_3373 Depth=2
	v_bfe_u32 v129, v59, 23, 8
	s_delay_alu instid0(VALU_DEP_1) | instskip(SKIP_1) | instid1(VALU_DEP_2)
	v_sub_nc_u32_e32 v61, 0x78, v129
	v_cmp_gt_u32_e32 vcc_lo, 0x79, v129
	v_dual_cndmask_b32 v61, 0, v61 :: v_dual_and_b32 v60, 0x7fffff, v59
	s_delay_alu instid0(VALU_DEP_1) | instskip(SKIP_2) | instid1(VALU_DEP_4)
	v_or_b32_e32 v62, 0x800000, v60
	v_cmp_eq_u32_e32 vcc_lo, 0, v129
	v_add_nc_u32_e32 v129, 0xffffff89, v129
	v_cndmask_b32_e64 v61, v61, 0x77, vcc_lo
	s_delay_alu instid0(VALU_DEP_4) | instskip(NEXT) | instid1(VALU_DEP_3)
	v_cndmask_b32_e32 v60, v62, v60, vcc_lo
	v_cndmask_b32_e64 v129, v129, 0xffffff8a, vcc_lo
	s_delay_alu instid0(VALU_DEP_3) | instskip(NEXT) | instid1(VALU_DEP_3)
	v_lshl_add_u32 v62, 0x100000, v61, -1
	v_lshrrev_b32_e32 v63, v61, v60
	v_lshlrev_b32_e64 v73, v61, 0x80000
	s_delay_alu instid0(VALU_DEP_4) | instskip(NEXT) | instid1(VALU_DEP_4)
	v_add_nc_u32_e32 v61, v61, v129
	v_and_b32_e32 v60, v62, v60
	s_delay_alu instid0(VALU_DEP_4) | instskip(NEXT) | instid1(VALU_DEP_2)
	v_bfe_u32 v72, v63, 20, 1
	v_cmp_eq_u32_e64 s11, v60, v73
	s_delay_alu instid0(VALU_DEP_2) | instskip(NEXT) | instid1(VALU_DEP_1)
	v_add_nc_u32_e32 v62, -1, v72
	v_cndmask_b32_e64 v60, 0, v62, s11
	v_lshrrev_b32_e32 v62, 23, v63
	s_mov_b32 s11, exec_lo
	s_delay_alu instid0(VALU_DEP_2) | instskip(NEXT) | instid1(VALU_DEP_2)
	v_add_nc_u32_e32 v60, v60, v63
	v_xor_b32_e32 v62, 1, v62
	s_delay_alu instid0(VALU_DEP_2) | instskip(NEXT) | instid1(VALU_DEP_1)
	v_and_b32_e32 v129, 0xfffff, v60
	v_add_nc_u32_e32 v60, v129, v63
                                        ; implicit-def: $vgpr129
	s_delay_alu instid0(VALU_DEP_3)
	v_cmpx_ne_u32_e64 v61, v62
	s_xor_b32 s11, exec_lo, s11
; %bb.3826:                             ;   in Loop: Header=BB6_3373 Depth=2
	s_delay_alu instid0(VALU_DEP_2) | instskip(SKIP_2) | instid1(VALU_DEP_2)
	v_cmp_lt_u32_e32 vcc_lo, 0xffffff, v60
	v_sub_nc_u32_e32 v129, v61, v62
	v_cndmask_b32_e64 v61, 0, 1, vcc_lo
	v_add_co_ci_u32_e32 v129, vcc_lo, 0, v129, vcc_lo
	s_delay_alu instid0(VALU_DEP_2)
	v_lshrrev_b32_e32 v60, v61, v60
; %bb.3827:                             ;   in Loop: Header=BB6_3373 Depth=2
	s_and_not1_saveexec_b32 s11, s11
; %bb.3828:                             ;   in Loop: Header=BB6_3373 Depth=2
	s_delay_alu instid0(VALU_DEP_1)
	v_bfe_u32 v129, v60, 23, 1
; %bb.3829:                             ;   in Loop: Header=BB6_3373 Depth=2
	s_or_b32 exec_lo, exec_lo, s11
	v_lshrrev_b32_e32 v60, 20, v60
	s_delay_alu instid0(VALU_DEP_2) | instskip(SKIP_2) | instid1(VALU_DEP_2)
	v_cmp_gt_i32_e32 vcc_lo, 16, v129
	v_lshrrev_b32_e32 v59, 24, v59
	v_min_i32_e32 v61, 15, v129
	v_dual_cndmask_b32 v60, 7, v60 :: v_dual_and_b32 v59, 0x80, v59
	s_delay_alu instid0(VALU_DEP_2) | instskip(NEXT) | instid1(VALU_DEP_2)
	v_lshlrev_b32_e32 v61, 3, v61
	v_or_b32_e32 v129, v129, v60
	s_delay_alu instid0(VALU_DEP_1) | instskip(SKIP_1) | instid1(VALU_DEP_1)
	v_cmp_ne_u32_e32 vcc_lo, 0, v129
	v_and_b32_e32 v62, 7, v60
	v_or3_b32 v59, v61, v59, v62
	s_delay_alu instid0(VALU_DEP_1)
	v_cndmask_b32_e32 v129, 0, v59, vcc_lo
.LBB6_3830:                             ;   in Loop: Header=BB6_3373 Depth=2
	s_or_b32 exec_lo, exec_lo, s26
.LBB6_3831:                             ;   in Loop: Header=BB6_3373 Depth=2
	s_delay_alu instid0(SALU_CYCLE_1) | instskip(SKIP_3) | instid1(VALU_DEP_1)
	s_or_b32 exec_lo, exec_lo, s25
	v_and_b32_e32 v60, 0xff, v134
	s_mov_b32 s11, 0
	s_mov_b32 s26, exec_lo
                                        ; implicit-def: $sgpr25
	v_cmpx_lt_i16_e32 0x7f, v60
	s_xor_b32 s26, exec_lo, s26
	s_cbranch_execnz .LBB6_4440
; %bb.3832:                             ;   in Loop: Header=BB6_3373 Depth=2
	s_or_saveexec_b32 s26, s26
	v_mov_b32_e32 v59, s25
	s_xor_b32 exec_lo, exec_lo, s26
	s_cbranch_execnz .LBB6_4443
.LBB6_3833:                             ;   in Loop: Header=BB6_3373 Depth=2
	s_or_b32 exec_lo, exec_lo, s26
	s_and_saveexec_b32 s25, s11
	s_cbranch_execz .LBB6_3835
.LBB6_3834:                             ;   in Loop: Header=BB6_3373 Depth=2
	v_lshrrev_b16 v62, 3, v134
	s_delay_alu instid0(VALU_DEP_1) | instskip(NEXT) | instid1(VALU_DEP_1)
	v_and_b32_e32 v62, 15, v62
	v_cmp_eq_u32_e32 vcc_lo, 0, v62
	v_and_b32_e32 v59, 7, v134
	s_delay_alu instid0(VALU_DEP_1) | instskip(NEXT) | instid1(VALU_DEP_1)
	v_clz_i32_u32_e32 v60, v59
	v_min_u32_e32 v60, 32, v60
	s_delay_alu instid0(VALU_DEP_1) | instskip(SKIP_1) | instid1(VALU_DEP_1)
	v_subrev_nc_u32_e32 v61, 28, v60
	v_sub_nc_u32_e32 v60, 29, v60
	v_dual_cndmask_b32 v60, v62, v60 :: v_dual_lshlrev_b32 v61, v61, v134
	v_lshlrev_b32_e32 v134, 24, v134
	s_delay_alu instid0(VALU_DEP_2) | instskip(NEXT) | instid1(VALU_DEP_3)
	v_and_b32_e32 v61, 7, v61
	v_lshl_add_u32 v60, v60, 23, 0x3b800000
	s_delay_alu instid0(VALU_DEP_2) | instskip(NEXT) | instid1(VALU_DEP_1)
	v_dual_cndmask_b32 v59, v59, v61 :: v_dual_and_b32 v134, 0x80000000, v134
	v_lshlrev_b32_e32 v59, 20, v59
	s_delay_alu instid0(VALU_DEP_1)
	v_or3_b32 v59, v134, v60, v59
.LBB6_3835:                             ;   in Loop: Header=BB6_3373 Depth=2
	s_or_b32 exec_lo, exec_lo, s25
	s_waitcnt vmcnt(27) lgkmcnt(27)
	v_and_b32_e32 v60, 0xff, v58
	s_mov_b32 s11, 0
	s_mov_b32 s26, exec_lo
                                        ; implicit-def: $sgpr25
	s_delay_alu instid0(VALU_DEP_1)
	v_cmpx_lt_i16_e32 0x7f, v60
	s_xor_b32 s26, exec_lo, s26
	s_cbranch_execnz .LBB6_4444
; %bb.3836:                             ;   in Loop: Header=BB6_3373 Depth=2
	s_or_saveexec_b32 s26, s26
	v_mov_b32_e32 v134, s25
	s_xor_b32 exec_lo, exec_lo, s26
	s_cbranch_execnz .LBB6_4447
.LBB6_3837:                             ;   in Loop: Header=BB6_3373 Depth=2
	s_or_b32 exec_lo, exec_lo, s26
	s_and_saveexec_b32 s25, s11
	s_cbranch_execz .LBB6_3839
.LBB6_3838:                             ;   in Loop: Header=BB6_3373 Depth=2
	v_and_b32_e32 v134, 7, v58
	v_lshrrev_b16 v62, 3, v58
	s_delay_alu instid0(VALU_DEP_2) | instskip(NEXT) | instid1(VALU_DEP_2)
	v_clz_i32_u32_e32 v60, v134
	v_and_b32_e32 v62, 15, v62
	s_delay_alu instid0(VALU_DEP_2) | instskip(NEXT) | instid1(VALU_DEP_2)
	v_min_u32_e32 v60, 32, v60
	v_cmp_eq_u32_e32 vcc_lo, 0, v62
	s_delay_alu instid0(VALU_DEP_2) | instskip(SKIP_1) | instid1(VALU_DEP_1)
	v_subrev_nc_u32_e32 v61, 28, v60
	v_sub_nc_u32_e32 v60, 29, v60
	v_dual_cndmask_b32 v60, v62, v60 :: v_dual_lshlrev_b32 v61, v61, v58
	v_lshlrev_b32_e32 v58, 24, v58
	s_delay_alu instid0(VALU_DEP_2) | instskip(NEXT) | instid1(VALU_DEP_3)
	v_and_b32_e32 v61, 7, v61
	v_lshl_add_u32 v60, v60, 23, 0x3b800000
	s_delay_alu instid0(VALU_DEP_3) | instskip(NEXT) | instid1(VALU_DEP_3)
	v_and_b32_e32 v58, 0x80000000, v58
	v_cndmask_b32_e32 v134, v134, v61, vcc_lo
	s_delay_alu instid0(VALU_DEP_1) | instskip(NEXT) | instid1(VALU_DEP_1)
	v_lshlrev_b32_e32 v134, 20, v134
	v_or3_b32 v134, v58, v60, v134
.LBB6_3839:                             ;   in Loop: Header=BB6_3373 Depth=2
	s_or_b32 exec_lo, exec_lo, s25
	s_delay_alu instid0(VALU_DEP_1) | instskip(NEXT) | instid1(VALU_DEP_1)
	v_add_f32_e32 v58, v59, v134
	v_and_b32_e32 v134, 0x7f800000, v58
	s_delay_alu instid0(VALU_DEP_1)
	v_cmp_ne_u32_e32 vcc_lo, 0x7f800000, v134
	v_mov_b32_e32 v134, 0x80
	s_and_saveexec_b32 s25, vcc_lo
	s_cbranch_execz .LBB6_3847
; %bb.3840:                             ;   in Loop: Header=BB6_3373 Depth=2
	v_mov_b32_e32 v134, 0
	s_mov_b32 s26, exec_lo
	v_cmpx_ne_u32_e32 0, v58
	s_cbranch_execz .LBB6_3846
; %bb.3841:                             ;   in Loop: Header=BB6_3373 Depth=2
	v_bfe_u32 v134, v58, 23, 8
	s_delay_alu instid0(VALU_DEP_1) | instskip(SKIP_1) | instid1(VALU_DEP_2)
	v_sub_nc_u32_e32 v60, 0x78, v134
	v_cmp_gt_u32_e32 vcc_lo, 0x79, v134
	v_dual_cndmask_b32 v60, 0, v60 :: v_dual_and_b32 v59, 0x7fffff, v58
	s_delay_alu instid0(VALU_DEP_1) | instskip(SKIP_2) | instid1(VALU_DEP_4)
	v_or_b32_e32 v61, 0x800000, v59
	v_cmp_eq_u32_e32 vcc_lo, 0, v134
	v_add_nc_u32_e32 v134, 0xffffff89, v134
	v_cndmask_b32_e64 v60, v60, 0x77, vcc_lo
	s_delay_alu instid0(VALU_DEP_4) | instskip(NEXT) | instid1(VALU_DEP_3)
	v_cndmask_b32_e32 v59, v61, v59, vcc_lo
	v_cndmask_b32_e64 v134, v134, 0xffffff8a, vcc_lo
	s_delay_alu instid0(VALU_DEP_3) | instskip(NEXT) | instid1(VALU_DEP_3)
	v_lshl_add_u32 v61, 0x100000, v60, -1
	v_lshrrev_b32_e32 v62, v60, v59
	v_lshlrev_b32_e64 v72, v60, 0x80000
	s_delay_alu instid0(VALU_DEP_4) | instskip(NEXT) | instid1(VALU_DEP_4)
	v_add_nc_u32_e32 v60, v60, v134
	v_and_b32_e32 v59, v61, v59
	s_delay_alu instid0(VALU_DEP_4) | instskip(NEXT) | instid1(VALU_DEP_2)
	v_bfe_u32 v63, v62, 20, 1
	v_cmp_eq_u32_e64 s11, v59, v72
	s_delay_alu instid0(VALU_DEP_2) | instskip(NEXT) | instid1(VALU_DEP_1)
	v_add_nc_u32_e32 v61, -1, v63
	v_cndmask_b32_e64 v59, 0, v61, s11
	v_lshrrev_b32_e32 v61, 23, v62
	s_mov_b32 s11, exec_lo
	s_delay_alu instid0(VALU_DEP_2) | instskip(NEXT) | instid1(VALU_DEP_2)
	v_add_nc_u32_e32 v59, v59, v62
	v_xor_b32_e32 v61, 1, v61
	s_delay_alu instid0(VALU_DEP_2) | instskip(NEXT) | instid1(VALU_DEP_1)
	v_and_b32_e32 v134, 0xfffff, v59
	v_add_nc_u32_e32 v59, v134, v62
                                        ; implicit-def: $vgpr134
	s_delay_alu instid0(VALU_DEP_3)
	v_cmpx_ne_u32_e64 v60, v61
	s_xor_b32 s11, exec_lo, s11
; %bb.3842:                             ;   in Loop: Header=BB6_3373 Depth=2
	s_delay_alu instid0(VALU_DEP_2) | instskip(SKIP_2) | instid1(VALU_DEP_2)
	v_cmp_lt_u32_e32 vcc_lo, 0xffffff, v59
	v_sub_nc_u32_e32 v134, v60, v61
	v_cndmask_b32_e64 v60, 0, 1, vcc_lo
	v_add_co_ci_u32_e32 v134, vcc_lo, 0, v134, vcc_lo
	s_delay_alu instid0(VALU_DEP_2)
	v_lshrrev_b32_e32 v59, v60, v59
; %bb.3843:                             ;   in Loop: Header=BB6_3373 Depth=2
	s_and_not1_saveexec_b32 s11, s11
; %bb.3844:                             ;   in Loop: Header=BB6_3373 Depth=2
	s_delay_alu instid0(VALU_DEP_1)
	v_bfe_u32 v134, v59, 23, 1
; %bb.3845:                             ;   in Loop: Header=BB6_3373 Depth=2
	s_or_b32 exec_lo, exec_lo, s11
	v_lshrrev_b32_e32 v59, 20, v59
	s_delay_alu instid0(VALU_DEP_2) | instskip(SKIP_2) | instid1(VALU_DEP_2)
	v_cmp_gt_i32_e32 vcc_lo, 16, v134
	v_lshrrev_b32_e32 v58, 24, v58
	v_min_i32_e32 v60, 15, v134
	v_dual_cndmask_b32 v59, 7, v59 :: v_dual_and_b32 v58, 0x80, v58
	s_delay_alu instid0(VALU_DEP_2) | instskip(NEXT) | instid1(VALU_DEP_2)
	v_lshlrev_b32_e32 v60, 3, v60
	v_or_b32_e32 v134, v134, v59
	s_delay_alu instid0(VALU_DEP_1) | instskip(SKIP_1) | instid1(VALU_DEP_1)
	v_cmp_ne_u32_e32 vcc_lo, 0, v134
	v_and_b32_e32 v61, 7, v59
	v_or3_b32 v58, v60, v58, v61
	s_delay_alu instid0(VALU_DEP_1)
	v_cndmask_b32_e32 v134, 0, v58, vcc_lo
.LBB6_3846:                             ;   in Loop: Header=BB6_3373 Depth=2
	s_or_b32 exec_lo, exec_lo, s26
.LBB6_3847:                             ;   in Loop: Header=BB6_3373 Depth=2
	s_delay_alu instid0(SALU_CYCLE_1) | instskip(SKIP_3) | instid1(VALU_DEP_1)
	s_or_b32 exec_lo, exec_lo, s25
	v_and_b32_e32 v59, 0xff, v147
	s_mov_b32 s11, 0
	s_mov_b32 s26, exec_lo
                                        ; implicit-def: $sgpr25
	v_cmpx_lt_i16_e32 0x7f, v59
	s_xor_b32 s26, exec_lo, s26
	s_cbranch_execnz .LBB6_4448
; %bb.3848:                             ;   in Loop: Header=BB6_3373 Depth=2
	s_or_saveexec_b32 s26, s26
	v_mov_b32_e32 v58, s25
	s_xor_b32 exec_lo, exec_lo, s26
	s_cbranch_execnz .LBB6_4451
.LBB6_3849:                             ;   in Loop: Header=BB6_3373 Depth=2
	s_or_b32 exec_lo, exec_lo, s26
	s_and_saveexec_b32 s25, s11
	s_cbranch_execz .LBB6_3851
.LBB6_3850:                             ;   in Loop: Header=BB6_3373 Depth=2
	v_and_b32_e32 v58, 7, v147
	v_lshrrev_b16 v61, 3, v147
	s_delay_alu instid0(VALU_DEP_2) | instskip(NEXT) | instid1(VALU_DEP_1)
	v_clz_i32_u32_e32 v59, v58
	v_min_u32_e32 v59, 32, v59
	s_delay_alu instid0(VALU_DEP_1) | instskip(SKIP_1) | instid1(VALU_DEP_2)
	v_subrev_nc_u32_e32 v60, 28, v59
	v_sub_nc_u32_e32 v59, 29, v59
	v_lshlrev_b32_e32 v60, v60, v147
	v_lshlrev_b32_e32 v147, 24, v147
	s_delay_alu instid0(VALU_DEP_2) | instskip(SKIP_1) | instid1(VALU_DEP_3)
	v_and_b32_e32 v60, 7, v60
	v_and_b32_e32 v61, 15, v61
	;; [unrolled: 1-line block ×3, first 2 shown]
	s_delay_alu instid0(VALU_DEP_2) | instskip(NEXT) | instid1(VALU_DEP_4)
	v_cmp_eq_u32_e32 vcc_lo, 0, v61
	v_dual_cndmask_b32 v58, v58, v60 :: v_dual_cndmask_b32 v59, v61, v59
	s_delay_alu instid0(VALU_DEP_1) | instskip(NEXT) | instid1(VALU_DEP_2)
	v_lshlrev_b32_e32 v58, 20, v58
	v_lshl_add_u32 v59, v59, 23, 0x3b800000
	s_delay_alu instid0(VALU_DEP_1)
	v_or3_b32 v58, v147, v59, v58
.LBB6_3851:                             ;   in Loop: Header=BB6_3373 Depth=2
	s_or_b32 exec_lo, exec_lo, s25
	s_waitcnt vmcnt(26) lgkmcnt(26)
	v_and_b32_e32 v59, 0xff, v57
	s_mov_b32 s11, 0
	s_mov_b32 s26, exec_lo
                                        ; implicit-def: $sgpr25
	s_delay_alu instid0(VALU_DEP_1)
	v_cmpx_lt_i16_e32 0x7f, v59
	s_xor_b32 s26, exec_lo, s26
	s_cbranch_execnz .LBB6_4452
; %bb.3852:                             ;   in Loop: Header=BB6_3373 Depth=2
	s_or_saveexec_b32 s26, s26
	v_mov_b32_e32 v147, s25
	s_xor_b32 exec_lo, exec_lo, s26
	s_cbranch_execnz .LBB6_4455
.LBB6_3853:                             ;   in Loop: Header=BB6_3373 Depth=2
	s_or_b32 exec_lo, exec_lo, s26
	s_and_saveexec_b32 s25, s11
	s_cbranch_execz .LBB6_3855
.LBB6_3854:                             ;   in Loop: Header=BB6_3373 Depth=2
	v_and_b32_e32 v147, 7, v57
	v_lshrrev_b16 v61, 3, v57
	s_delay_alu instid0(VALU_DEP_2) | instskip(NEXT) | instid1(VALU_DEP_2)
	v_clz_i32_u32_e32 v59, v147
	v_and_b32_e32 v61, 15, v61
	s_delay_alu instid0(VALU_DEP_2) | instskip(NEXT) | instid1(VALU_DEP_2)
	v_min_u32_e32 v59, 32, v59
	v_cmp_eq_u32_e32 vcc_lo, 0, v61
	s_delay_alu instid0(VALU_DEP_2) | instskip(SKIP_1) | instid1(VALU_DEP_1)
	v_subrev_nc_u32_e32 v60, 28, v59
	v_sub_nc_u32_e32 v59, 29, v59
	v_dual_cndmask_b32 v59, v61, v59 :: v_dual_lshlrev_b32 v60, v60, v57
	v_lshlrev_b32_e32 v57, 24, v57
	s_delay_alu instid0(VALU_DEP_2) | instskip(NEXT) | instid1(VALU_DEP_3)
	v_and_b32_e32 v60, 7, v60
	v_lshl_add_u32 v59, v59, 23, 0x3b800000
	s_delay_alu instid0(VALU_DEP_3) | instskip(NEXT) | instid1(VALU_DEP_3)
	v_and_b32_e32 v57, 0x80000000, v57
	v_cndmask_b32_e32 v147, v147, v60, vcc_lo
	s_delay_alu instid0(VALU_DEP_1) | instskip(NEXT) | instid1(VALU_DEP_1)
	v_lshlrev_b32_e32 v147, 20, v147
	v_or3_b32 v147, v57, v59, v147
.LBB6_3855:                             ;   in Loop: Header=BB6_3373 Depth=2
	s_or_b32 exec_lo, exec_lo, s25
	s_delay_alu instid0(VALU_DEP_1) | instskip(NEXT) | instid1(VALU_DEP_1)
	v_add_f32_e32 v57, v58, v147
	v_and_b32_e32 v147, 0x7f800000, v57
	s_delay_alu instid0(VALU_DEP_1)
	v_cmp_ne_u32_e32 vcc_lo, 0x7f800000, v147
	v_mov_b32_e32 v147, 0x80
	s_and_saveexec_b32 s25, vcc_lo
	s_cbranch_execz .LBB6_3863
; %bb.3856:                             ;   in Loop: Header=BB6_3373 Depth=2
	v_mov_b32_e32 v147, 0
	s_mov_b32 s26, exec_lo
	v_cmpx_ne_u32_e32 0, v57
	s_cbranch_execz .LBB6_3862
; %bb.3857:                             ;   in Loop: Header=BB6_3373 Depth=2
	v_bfe_u32 v147, v57, 23, 8
	s_delay_alu instid0(VALU_DEP_1) | instskip(SKIP_1) | instid1(VALU_DEP_2)
	v_sub_nc_u32_e32 v59, 0x78, v147
	v_cmp_gt_u32_e32 vcc_lo, 0x79, v147
	v_dual_cndmask_b32 v59, 0, v59 :: v_dual_and_b32 v58, 0x7fffff, v57
	s_delay_alu instid0(VALU_DEP_1) | instskip(SKIP_2) | instid1(VALU_DEP_4)
	v_or_b32_e32 v60, 0x800000, v58
	v_cmp_eq_u32_e32 vcc_lo, 0, v147
	v_add_nc_u32_e32 v147, 0xffffff89, v147
	v_cndmask_b32_e64 v59, v59, 0x77, vcc_lo
	s_delay_alu instid0(VALU_DEP_4) | instskip(NEXT) | instid1(VALU_DEP_3)
	v_cndmask_b32_e32 v58, v60, v58, vcc_lo
	v_cndmask_b32_e64 v147, v147, 0xffffff8a, vcc_lo
	s_delay_alu instid0(VALU_DEP_3) | instskip(NEXT) | instid1(VALU_DEP_3)
	v_lshl_add_u32 v60, 0x100000, v59, -1
	v_lshrrev_b32_e32 v61, v59, v58
	v_lshlrev_b32_e64 v63, v59, 0x80000
	s_delay_alu instid0(VALU_DEP_4) | instskip(NEXT) | instid1(VALU_DEP_4)
	v_add_nc_u32_e32 v59, v59, v147
	v_and_b32_e32 v58, v60, v58
	s_delay_alu instid0(VALU_DEP_4) | instskip(NEXT) | instid1(VALU_DEP_2)
	v_bfe_u32 v62, v61, 20, 1
	v_cmp_eq_u32_e64 s11, v58, v63
	s_delay_alu instid0(VALU_DEP_2) | instskip(NEXT) | instid1(VALU_DEP_1)
	v_add_nc_u32_e32 v60, -1, v62
	v_cndmask_b32_e64 v58, 0, v60, s11
	v_lshrrev_b32_e32 v60, 23, v61
	s_mov_b32 s11, exec_lo
	s_delay_alu instid0(VALU_DEP_2) | instskip(NEXT) | instid1(VALU_DEP_2)
	v_add_nc_u32_e32 v58, v58, v61
	v_xor_b32_e32 v60, 1, v60
	s_delay_alu instid0(VALU_DEP_2) | instskip(NEXT) | instid1(VALU_DEP_1)
	v_and_b32_e32 v147, 0xfffff, v58
	v_add_nc_u32_e32 v58, v147, v61
                                        ; implicit-def: $vgpr147
	s_delay_alu instid0(VALU_DEP_3)
	v_cmpx_ne_u32_e64 v59, v60
	s_xor_b32 s11, exec_lo, s11
; %bb.3858:                             ;   in Loop: Header=BB6_3373 Depth=2
	s_delay_alu instid0(VALU_DEP_2) | instskip(SKIP_2) | instid1(VALU_DEP_2)
	v_cmp_lt_u32_e32 vcc_lo, 0xffffff, v58
	v_sub_nc_u32_e32 v147, v59, v60
	v_cndmask_b32_e64 v59, 0, 1, vcc_lo
	v_add_co_ci_u32_e32 v147, vcc_lo, 0, v147, vcc_lo
	s_delay_alu instid0(VALU_DEP_2)
	v_lshrrev_b32_e32 v58, v59, v58
; %bb.3859:                             ;   in Loop: Header=BB6_3373 Depth=2
	s_and_not1_saveexec_b32 s11, s11
; %bb.3860:                             ;   in Loop: Header=BB6_3373 Depth=2
	s_delay_alu instid0(VALU_DEP_1)
	v_bfe_u32 v147, v58, 23, 1
; %bb.3861:                             ;   in Loop: Header=BB6_3373 Depth=2
	s_or_b32 exec_lo, exec_lo, s11
	v_lshrrev_b32_e32 v58, 20, v58
	s_delay_alu instid0(VALU_DEP_2) | instskip(SKIP_2) | instid1(VALU_DEP_2)
	v_cmp_gt_i32_e32 vcc_lo, 16, v147
	v_lshrrev_b32_e32 v57, 24, v57
	v_min_i32_e32 v59, 15, v147
	v_dual_cndmask_b32 v58, 7, v58 :: v_dual_and_b32 v57, 0x80, v57
	s_delay_alu instid0(VALU_DEP_2) | instskip(NEXT) | instid1(VALU_DEP_2)
	v_lshlrev_b32_e32 v59, 3, v59
	v_or_b32_e32 v147, v147, v58
	s_delay_alu instid0(VALU_DEP_1) | instskip(SKIP_1) | instid1(VALU_DEP_1)
	v_cmp_ne_u32_e32 vcc_lo, 0, v147
	v_and_b32_e32 v60, 7, v58
	v_or3_b32 v57, v59, v57, v60
	s_delay_alu instid0(VALU_DEP_1)
	v_cndmask_b32_e32 v147, 0, v57, vcc_lo
.LBB6_3862:                             ;   in Loop: Header=BB6_3373 Depth=2
	s_or_b32 exec_lo, exec_lo, s26
.LBB6_3863:                             ;   in Loop: Header=BB6_3373 Depth=2
	s_delay_alu instid0(SALU_CYCLE_1) | instskip(SKIP_3) | instid1(VALU_DEP_1)
	s_or_b32 exec_lo, exec_lo, s25
	v_and_b32_e32 v58, 0xff, v160
	s_mov_b32 s11, 0
	s_mov_b32 s26, exec_lo
                                        ; implicit-def: $sgpr25
	v_cmpx_lt_i16_e32 0x7f, v58
	s_xor_b32 s26, exec_lo, s26
	s_cbranch_execnz .LBB6_4456
; %bb.3864:                             ;   in Loop: Header=BB6_3373 Depth=2
	s_or_saveexec_b32 s26, s26
	v_mov_b32_e32 v57, s25
	s_xor_b32 exec_lo, exec_lo, s26
	s_cbranch_execnz .LBB6_4459
.LBB6_3865:                             ;   in Loop: Header=BB6_3373 Depth=2
	s_or_b32 exec_lo, exec_lo, s26
	s_and_saveexec_b32 s25, s11
	s_cbranch_execz .LBB6_3867
.LBB6_3866:                             ;   in Loop: Header=BB6_3373 Depth=2
	v_lshrrev_b16 v60, 3, v160
	s_delay_alu instid0(VALU_DEP_1) | instskip(NEXT) | instid1(VALU_DEP_1)
	v_and_b32_e32 v60, 15, v60
	v_cmp_eq_u32_e32 vcc_lo, 0, v60
	v_and_b32_e32 v57, 7, v160
	s_delay_alu instid0(VALU_DEP_1) | instskip(NEXT) | instid1(VALU_DEP_1)
	v_clz_i32_u32_e32 v58, v57
	v_min_u32_e32 v58, 32, v58
	s_delay_alu instid0(VALU_DEP_1) | instskip(SKIP_1) | instid1(VALU_DEP_1)
	v_subrev_nc_u32_e32 v59, 28, v58
	v_sub_nc_u32_e32 v58, 29, v58
	v_dual_cndmask_b32 v58, v60, v58 :: v_dual_lshlrev_b32 v59, v59, v160
	v_lshlrev_b32_e32 v160, 24, v160
	s_delay_alu instid0(VALU_DEP_2) | instskip(NEXT) | instid1(VALU_DEP_3)
	v_and_b32_e32 v59, 7, v59
	v_lshl_add_u32 v58, v58, 23, 0x3b800000
	s_delay_alu instid0(VALU_DEP_2) | instskip(NEXT) | instid1(VALU_DEP_1)
	v_dual_cndmask_b32 v57, v57, v59 :: v_dual_and_b32 v160, 0x80000000, v160
	v_lshlrev_b32_e32 v57, 20, v57
	s_delay_alu instid0(VALU_DEP_1)
	v_or3_b32 v57, v160, v58, v57
.LBB6_3867:                             ;   in Loop: Header=BB6_3373 Depth=2
	s_or_b32 exec_lo, exec_lo, s25
	s_waitcnt vmcnt(25) lgkmcnt(25)
	v_and_b32_e32 v58, 0xff, v56
	s_mov_b32 s11, 0
	s_mov_b32 s26, exec_lo
                                        ; implicit-def: $sgpr25
	s_delay_alu instid0(VALU_DEP_1)
	v_cmpx_lt_i16_e32 0x7f, v58
	s_xor_b32 s26, exec_lo, s26
	s_cbranch_execnz .LBB6_4460
; %bb.3868:                             ;   in Loop: Header=BB6_3373 Depth=2
	s_or_saveexec_b32 s26, s26
	v_mov_b32_e32 v160, s25
	s_xor_b32 exec_lo, exec_lo, s26
	s_cbranch_execnz .LBB6_4463
.LBB6_3869:                             ;   in Loop: Header=BB6_3373 Depth=2
	s_or_b32 exec_lo, exec_lo, s26
	s_and_saveexec_b32 s25, s11
	s_cbranch_execz .LBB6_3871
.LBB6_3870:                             ;   in Loop: Header=BB6_3373 Depth=2
	v_and_b32_e32 v160, 7, v56
	v_lshrrev_b16 v60, 3, v56
	s_delay_alu instid0(VALU_DEP_2) | instskip(NEXT) | instid1(VALU_DEP_2)
	v_clz_i32_u32_e32 v58, v160
	v_and_b32_e32 v60, 15, v60
	s_delay_alu instid0(VALU_DEP_2) | instskip(NEXT) | instid1(VALU_DEP_2)
	v_min_u32_e32 v58, 32, v58
	v_cmp_eq_u32_e32 vcc_lo, 0, v60
	s_delay_alu instid0(VALU_DEP_2) | instskip(SKIP_1) | instid1(VALU_DEP_1)
	v_subrev_nc_u32_e32 v59, 28, v58
	v_sub_nc_u32_e32 v58, 29, v58
	v_dual_cndmask_b32 v58, v60, v58 :: v_dual_lshlrev_b32 v59, v59, v56
	v_lshlrev_b32_e32 v56, 24, v56
	s_delay_alu instid0(VALU_DEP_2) | instskip(NEXT) | instid1(VALU_DEP_3)
	v_and_b32_e32 v59, 7, v59
	v_lshl_add_u32 v58, v58, 23, 0x3b800000
	s_delay_alu instid0(VALU_DEP_3) | instskip(NEXT) | instid1(VALU_DEP_3)
	v_and_b32_e32 v56, 0x80000000, v56
	v_cndmask_b32_e32 v160, v160, v59, vcc_lo
	s_delay_alu instid0(VALU_DEP_1) | instskip(NEXT) | instid1(VALU_DEP_1)
	v_lshlrev_b32_e32 v160, 20, v160
	v_or3_b32 v160, v56, v58, v160
.LBB6_3871:                             ;   in Loop: Header=BB6_3373 Depth=2
	s_or_b32 exec_lo, exec_lo, s25
	s_delay_alu instid0(VALU_DEP_1) | instskip(NEXT) | instid1(VALU_DEP_1)
	v_add_f32_e32 v56, v57, v160
	v_and_b32_e32 v160, 0x7f800000, v56
	s_delay_alu instid0(VALU_DEP_1)
	v_cmp_ne_u32_e32 vcc_lo, 0x7f800000, v160
	v_mov_b32_e32 v160, 0x80
	s_and_saveexec_b32 s25, vcc_lo
	s_cbranch_execz .LBB6_3879
; %bb.3872:                             ;   in Loop: Header=BB6_3373 Depth=2
	v_mov_b32_e32 v160, 0
	s_mov_b32 s26, exec_lo
	v_cmpx_ne_u32_e32 0, v56
	s_cbranch_execz .LBB6_3878
; %bb.3873:                             ;   in Loop: Header=BB6_3373 Depth=2
	v_bfe_u32 v160, v56, 23, 8
	s_delay_alu instid0(VALU_DEP_1) | instskip(SKIP_1) | instid1(VALU_DEP_2)
	v_sub_nc_u32_e32 v58, 0x78, v160
	v_cmp_gt_u32_e32 vcc_lo, 0x79, v160
	v_dual_cndmask_b32 v58, 0, v58 :: v_dual_and_b32 v57, 0x7fffff, v56
	s_delay_alu instid0(VALU_DEP_1) | instskip(SKIP_2) | instid1(VALU_DEP_4)
	v_or_b32_e32 v59, 0x800000, v57
	v_cmp_eq_u32_e32 vcc_lo, 0, v160
	v_add_nc_u32_e32 v160, 0xffffff89, v160
	v_cndmask_b32_e64 v58, v58, 0x77, vcc_lo
	s_delay_alu instid0(VALU_DEP_4) | instskip(NEXT) | instid1(VALU_DEP_3)
	v_cndmask_b32_e32 v57, v59, v57, vcc_lo
	v_cndmask_b32_e64 v160, v160, 0xffffff8a, vcc_lo
	s_delay_alu instid0(VALU_DEP_3) | instskip(NEXT) | instid1(VALU_DEP_3)
	v_lshl_add_u32 v59, 0x100000, v58, -1
	v_lshrrev_b32_e32 v60, v58, v57
	v_lshlrev_b32_e64 v62, v58, 0x80000
	s_delay_alu instid0(VALU_DEP_4) | instskip(NEXT) | instid1(VALU_DEP_4)
	v_add_nc_u32_e32 v58, v58, v160
	v_and_b32_e32 v57, v59, v57
	s_delay_alu instid0(VALU_DEP_4) | instskip(NEXT) | instid1(VALU_DEP_2)
	v_bfe_u32 v61, v60, 20, 1
	v_cmp_eq_u32_e64 s11, v57, v62
	s_delay_alu instid0(VALU_DEP_2) | instskip(NEXT) | instid1(VALU_DEP_1)
	v_add_nc_u32_e32 v59, -1, v61
	v_cndmask_b32_e64 v57, 0, v59, s11
	v_lshrrev_b32_e32 v59, 23, v60
	s_mov_b32 s11, exec_lo
	s_delay_alu instid0(VALU_DEP_2) | instskip(NEXT) | instid1(VALU_DEP_2)
	v_add_nc_u32_e32 v57, v57, v60
	v_xor_b32_e32 v59, 1, v59
	s_delay_alu instid0(VALU_DEP_2) | instskip(NEXT) | instid1(VALU_DEP_1)
	v_and_b32_e32 v160, 0xfffff, v57
	v_add_nc_u32_e32 v57, v160, v60
                                        ; implicit-def: $vgpr160
	s_delay_alu instid0(VALU_DEP_3)
	v_cmpx_ne_u32_e64 v58, v59
	s_xor_b32 s11, exec_lo, s11
; %bb.3874:                             ;   in Loop: Header=BB6_3373 Depth=2
	s_delay_alu instid0(VALU_DEP_2) | instskip(SKIP_2) | instid1(VALU_DEP_2)
	v_cmp_lt_u32_e32 vcc_lo, 0xffffff, v57
	v_sub_nc_u32_e32 v160, v58, v59
	v_cndmask_b32_e64 v58, 0, 1, vcc_lo
	v_add_co_ci_u32_e32 v160, vcc_lo, 0, v160, vcc_lo
	s_delay_alu instid0(VALU_DEP_2)
	v_lshrrev_b32_e32 v57, v58, v57
; %bb.3875:                             ;   in Loop: Header=BB6_3373 Depth=2
	s_and_not1_saveexec_b32 s11, s11
; %bb.3876:                             ;   in Loop: Header=BB6_3373 Depth=2
	s_delay_alu instid0(VALU_DEP_1)
	v_bfe_u32 v160, v57, 23, 1
; %bb.3877:                             ;   in Loop: Header=BB6_3373 Depth=2
	s_or_b32 exec_lo, exec_lo, s11
	v_lshrrev_b32_e32 v57, 20, v57
	s_delay_alu instid0(VALU_DEP_2) | instskip(SKIP_2) | instid1(VALU_DEP_2)
	v_cmp_gt_i32_e32 vcc_lo, 16, v160
	v_lshrrev_b32_e32 v56, 24, v56
	v_min_i32_e32 v58, 15, v160
	v_dual_cndmask_b32 v57, 7, v57 :: v_dual_and_b32 v56, 0x80, v56
	s_delay_alu instid0(VALU_DEP_2) | instskip(NEXT) | instid1(VALU_DEP_2)
	v_lshlrev_b32_e32 v58, 3, v58
	v_or_b32_e32 v160, v160, v57
	s_delay_alu instid0(VALU_DEP_1) | instskip(SKIP_1) | instid1(VALU_DEP_1)
	v_cmp_ne_u32_e32 vcc_lo, 0, v160
	v_and_b32_e32 v59, 7, v57
	v_or3_b32 v56, v58, v56, v59
	s_delay_alu instid0(VALU_DEP_1)
	v_cndmask_b32_e32 v160, 0, v56, vcc_lo
.LBB6_3878:                             ;   in Loop: Header=BB6_3373 Depth=2
	s_or_b32 exec_lo, exec_lo, s26
.LBB6_3879:                             ;   in Loop: Header=BB6_3373 Depth=2
	s_delay_alu instid0(SALU_CYCLE_1) | instskip(SKIP_3) | instid1(VALU_DEP_1)
	s_or_b32 exec_lo, exec_lo, s25
	v_and_b32_e32 v57, 0xff, v165
	s_mov_b32 s11, 0
	s_mov_b32 s26, exec_lo
                                        ; implicit-def: $sgpr25
	v_cmpx_lt_i16_e32 0x7f, v57
	s_xor_b32 s26, exec_lo, s26
	s_cbranch_execnz .LBB6_4464
; %bb.3880:                             ;   in Loop: Header=BB6_3373 Depth=2
	s_or_saveexec_b32 s26, s26
	v_mov_b32_e32 v56, s25
	s_xor_b32 exec_lo, exec_lo, s26
	s_cbranch_execnz .LBB6_4467
.LBB6_3881:                             ;   in Loop: Header=BB6_3373 Depth=2
	s_or_b32 exec_lo, exec_lo, s26
	s_and_saveexec_b32 s25, s11
	s_cbranch_execz .LBB6_3883
.LBB6_3882:                             ;   in Loop: Header=BB6_3373 Depth=2
	v_and_b32_e32 v56, 7, v165
	v_lshrrev_b16 v59, 3, v165
	s_delay_alu instid0(VALU_DEP_2) | instskip(NEXT) | instid1(VALU_DEP_1)
	v_clz_i32_u32_e32 v57, v56
	v_min_u32_e32 v57, 32, v57
	s_delay_alu instid0(VALU_DEP_1) | instskip(SKIP_1) | instid1(VALU_DEP_2)
	v_subrev_nc_u32_e32 v58, 28, v57
	v_sub_nc_u32_e32 v57, 29, v57
	v_lshlrev_b32_e32 v58, v58, v165
	v_lshlrev_b32_e32 v165, 24, v165
	s_delay_alu instid0(VALU_DEP_2) | instskip(SKIP_1) | instid1(VALU_DEP_3)
	v_and_b32_e32 v58, 7, v58
	v_and_b32_e32 v59, 15, v59
	;; [unrolled: 1-line block ×3, first 2 shown]
	s_delay_alu instid0(VALU_DEP_2) | instskip(NEXT) | instid1(VALU_DEP_4)
	v_cmp_eq_u32_e32 vcc_lo, 0, v59
	v_dual_cndmask_b32 v56, v56, v58 :: v_dual_cndmask_b32 v57, v59, v57
	s_delay_alu instid0(VALU_DEP_1) | instskip(NEXT) | instid1(VALU_DEP_2)
	v_lshlrev_b32_e32 v56, 20, v56
	v_lshl_add_u32 v57, v57, 23, 0x3b800000
	s_delay_alu instid0(VALU_DEP_1)
	v_or3_b32 v56, v165, v57, v56
.LBB6_3883:                             ;   in Loop: Header=BB6_3373 Depth=2
	s_or_b32 exec_lo, exec_lo, s25
	s_waitcnt vmcnt(24) lgkmcnt(24)
	v_and_b32_e32 v57, 0xff, v47
	s_mov_b32 s11, 0
	s_mov_b32 s26, exec_lo
                                        ; implicit-def: $sgpr25
	s_delay_alu instid0(VALU_DEP_1)
	v_cmpx_lt_i16_e32 0x7f, v57
	s_xor_b32 s26, exec_lo, s26
	s_cbranch_execnz .LBB6_4468
; %bb.3884:                             ;   in Loop: Header=BB6_3373 Depth=2
	s_or_saveexec_b32 s26, s26
	v_mov_b32_e32 v165, s25
	s_xor_b32 exec_lo, exec_lo, s26
	s_cbranch_execnz .LBB6_4471
.LBB6_3885:                             ;   in Loop: Header=BB6_3373 Depth=2
	s_or_b32 exec_lo, exec_lo, s26
	s_and_saveexec_b32 s25, s11
	s_cbranch_execz .LBB6_3887
.LBB6_3886:                             ;   in Loop: Header=BB6_3373 Depth=2
	v_and_b32_e32 v165, 7, v47
	v_lshrrev_b16 v59, 3, v47
	s_delay_alu instid0(VALU_DEP_2) | instskip(NEXT) | instid1(VALU_DEP_2)
	v_clz_i32_u32_e32 v57, v165
	v_and_b32_e32 v59, 15, v59
	s_delay_alu instid0(VALU_DEP_2) | instskip(NEXT) | instid1(VALU_DEP_2)
	v_min_u32_e32 v57, 32, v57
	v_cmp_eq_u32_e32 vcc_lo, 0, v59
	s_delay_alu instid0(VALU_DEP_2) | instskip(SKIP_1) | instid1(VALU_DEP_1)
	v_subrev_nc_u32_e32 v58, 28, v57
	v_sub_nc_u32_e32 v57, 29, v57
	v_dual_cndmask_b32 v57, v59, v57 :: v_dual_lshlrev_b32 v58, v58, v47
	v_lshlrev_b32_e32 v47, 24, v47
	s_delay_alu instid0(VALU_DEP_2) | instskip(NEXT) | instid1(VALU_DEP_3)
	v_and_b32_e32 v58, 7, v58
	v_lshl_add_u32 v57, v57, 23, 0x3b800000
	s_delay_alu instid0(VALU_DEP_3) | instskip(NEXT) | instid1(VALU_DEP_3)
	v_and_b32_e32 v47, 0x80000000, v47
	v_cndmask_b32_e32 v165, v165, v58, vcc_lo
	s_delay_alu instid0(VALU_DEP_1) | instskip(NEXT) | instid1(VALU_DEP_1)
	v_lshlrev_b32_e32 v165, 20, v165
	v_or3_b32 v165, v47, v57, v165
.LBB6_3887:                             ;   in Loop: Header=BB6_3373 Depth=2
	s_or_b32 exec_lo, exec_lo, s25
	s_delay_alu instid0(VALU_DEP_1) | instskip(NEXT) | instid1(VALU_DEP_1)
	v_add_f32_e32 v47, v56, v165
	v_and_b32_e32 v165, 0x7f800000, v47
	s_delay_alu instid0(VALU_DEP_1)
	v_cmp_ne_u32_e32 vcc_lo, 0x7f800000, v165
	v_mov_b32_e32 v165, 0x80
	s_and_saveexec_b32 s25, vcc_lo
	s_cbranch_execz .LBB6_3895
; %bb.3888:                             ;   in Loop: Header=BB6_3373 Depth=2
	v_mov_b32_e32 v165, 0
	s_mov_b32 s26, exec_lo
	v_cmpx_ne_u32_e32 0, v47
	s_cbranch_execz .LBB6_3894
; %bb.3889:                             ;   in Loop: Header=BB6_3373 Depth=2
	v_bfe_u32 v165, v47, 23, 8
	s_delay_alu instid0(VALU_DEP_1) | instskip(SKIP_1) | instid1(VALU_DEP_2)
	v_sub_nc_u32_e32 v57, 0x78, v165
	v_cmp_gt_u32_e32 vcc_lo, 0x79, v165
	v_dual_cndmask_b32 v57, 0, v57 :: v_dual_and_b32 v56, 0x7fffff, v47
	s_delay_alu instid0(VALU_DEP_1) | instskip(SKIP_2) | instid1(VALU_DEP_4)
	v_or_b32_e32 v58, 0x800000, v56
	v_cmp_eq_u32_e32 vcc_lo, 0, v165
	v_add_nc_u32_e32 v165, 0xffffff89, v165
	v_cndmask_b32_e64 v57, v57, 0x77, vcc_lo
	s_delay_alu instid0(VALU_DEP_4) | instskip(NEXT) | instid1(VALU_DEP_3)
	v_cndmask_b32_e32 v56, v58, v56, vcc_lo
	v_cndmask_b32_e64 v165, v165, 0xffffff8a, vcc_lo
	s_delay_alu instid0(VALU_DEP_3) | instskip(NEXT) | instid1(VALU_DEP_3)
	v_lshl_add_u32 v58, 0x100000, v57, -1
	v_lshrrev_b32_e32 v59, v57, v56
	v_lshlrev_b32_e64 v61, v57, 0x80000
	s_delay_alu instid0(VALU_DEP_4) | instskip(NEXT) | instid1(VALU_DEP_4)
	v_add_nc_u32_e32 v57, v57, v165
	v_and_b32_e32 v56, v58, v56
	s_delay_alu instid0(VALU_DEP_4) | instskip(NEXT) | instid1(VALU_DEP_2)
	v_bfe_u32 v60, v59, 20, 1
	v_cmp_eq_u32_e64 s11, v56, v61
	s_delay_alu instid0(VALU_DEP_2) | instskip(NEXT) | instid1(VALU_DEP_1)
	v_add_nc_u32_e32 v58, -1, v60
	v_cndmask_b32_e64 v56, 0, v58, s11
	v_lshrrev_b32_e32 v58, 23, v59
	s_mov_b32 s11, exec_lo
	s_delay_alu instid0(VALU_DEP_2) | instskip(NEXT) | instid1(VALU_DEP_2)
	v_add_nc_u32_e32 v56, v56, v59
	v_xor_b32_e32 v58, 1, v58
	s_delay_alu instid0(VALU_DEP_2) | instskip(NEXT) | instid1(VALU_DEP_1)
	v_and_b32_e32 v165, 0xfffff, v56
	v_add_nc_u32_e32 v56, v165, v59
                                        ; implicit-def: $vgpr165
	s_delay_alu instid0(VALU_DEP_3)
	v_cmpx_ne_u32_e64 v57, v58
	s_xor_b32 s11, exec_lo, s11
; %bb.3890:                             ;   in Loop: Header=BB6_3373 Depth=2
	s_delay_alu instid0(VALU_DEP_2) | instskip(SKIP_2) | instid1(VALU_DEP_2)
	v_cmp_lt_u32_e32 vcc_lo, 0xffffff, v56
	v_sub_nc_u32_e32 v165, v57, v58
	v_cndmask_b32_e64 v57, 0, 1, vcc_lo
	v_add_co_ci_u32_e32 v165, vcc_lo, 0, v165, vcc_lo
	s_delay_alu instid0(VALU_DEP_2)
	v_lshrrev_b32_e32 v56, v57, v56
; %bb.3891:                             ;   in Loop: Header=BB6_3373 Depth=2
	s_and_not1_saveexec_b32 s11, s11
; %bb.3892:                             ;   in Loop: Header=BB6_3373 Depth=2
	s_delay_alu instid0(VALU_DEP_1)
	v_bfe_u32 v165, v56, 23, 1
; %bb.3893:                             ;   in Loop: Header=BB6_3373 Depth=2
	s_or_b32 exec_lo, exec_lo, s11
	v_lshrrev_b32_e32 v56, 20, v56
	s_delay_alu instid0(VALU_DEP_2) | instskip(SKIP_2) | instid1(VALU_DEP_2)
	v_cmp_gt_i32_e32 vcc_lo, 16, v165
	v_lshrrev_b32_e32 v47, 24, v47
	v_min_i32_e32 v57, 15, v165
	v_dual_cndmask_b32 v56, 7, v56 :: v_dual_and_b32 v47, 0x80, v47
	s_delay_alu instid0(VALU_DEP_2) | instskip(NEXT) | instid1(VALU_DEP_2)
	v_lshlrev_b32_e32 v57, 3, v57
	v_or_b32_e32 v165, v165, v56
	s_delay_alu instid0(VALU_DEP_1) | instskip(SKIP_1) | instid1(VALU_DEP_1)
	v_cmp_ne_u32_e32 vcc_lo, 0, v165
	v_and_b32_e32 v58, 7, v56
	v_or3_b32 v47, v57, v47, v58
	s_delay_alu instid0(VALU_DEP_1)
	v_cndmask_b32_e32 v165, 0, v47, vcc_lo
.LBB6_3894:                             ;   in Loop: Header=BB6_3373 Depth=2
	s_or_b32 exec_lo, exec_lo, s26
.LBB6_3895:                             ;   in Loop: Header=BB6_3373 Depth=2
	s_delay_alu instid0(SALU_CYCLE_1) | instskip(SKIP_3) | instid1(VALU_DEP_1)
	s_or_b32 exec_lo, exec_lo, s25
	v_and_b32_e32 v56, 0xff, v166
	s_mov_b32 s11, 0
	s_mov_b32 s26, exec_lo
                                        ; implicit-def: $sgpr25
	v_cmpx_lt_i16_e32 0x7f, v56
	s_xor_b32 s26, exec_lo, s26
	s_cbranch_execnz .LBB6_4472
; %bb.3896:                             ;   in Loop: Header=BB6_3373 Depth=2
	s_or_saveexec_b32 s26, s26
	v_mov_b32_e32 v47, s25
	s_xor_b32 exec_lo, exec_lo, s26
	s_cbranch_execnz .LBB6_4475
.LBB6_3897:                             ;   in Loop: Header=BB6_3373 Depth=2
	s_or_b32 exec_lo, exec_lo, s26
	s_and_saveexec_b32 s25, s11
	s_cbranch_execz .LBB6_3899
.LBB6_3898:                             ;   in Loop: Header=BB6_3373 Depth=2
	v_lshrrev_b16 v58, 3, v166
	s_delay_alu instid0(VALU_DEP_1) | instskip(NEXT) | instid1(VALU_DEP_1)
	v_and_b32_e32 v58, 15, v58
	v_cmp_eq_u32_e32 vcc_lo, 0, v58
	v_and_b32_e32 v47, 7, v166
	s_delay_alu instid0(VALU_DEP_1) | instskip(NEXT) | instid1(VALU_DEP_1)
	v_clz_i32_u32_e32 v56, v47
	v_min_u32_e32 v56, 32, v56
	s_delay_alu instid0(VALU_DEP_1) | instskip(SKIP_1) | instid1(VALU_DEP_1)
	v_subrev_nc_u32_e32 v57, 28, v56
	v_sub_nc_u32_e32 v56, 29, v56
	v_dual_cndmask_b32 v56, v58, v56 :: v_dual_lshlrev_b32 v57, v57, v166
	v_lshlrev_b32_e32 v166, 24, v166
	s_delay_alu instid0(VALU_DEP_2) | instskip(NEXT) | instid1(VALU_DEP_3)
	v_and_b32_e32 v57, 7, v57
	v_lshl_add_u32 v56, v56, 23, 0x3b800000
	s_delay_alu instid0(VALU_DEP_2) | instskip(NEXT) | instid1(VALU_DEP_1)
	v_dual_cndmask_b32 v47, v47, v57 :: v_dual_and_b32 v166, 0x80000000, v166
	v_lshlrev_b32_e32 v47, 20, v47
	s_delay_alu instid0(VALU_DEP_1)
	v_or3_b32 v47, v166, v56, v47
.LBB6_3899:                             ;   in Loop: Header=BB6_3373 Depth=2
	s_or_b32 exec_lo, exec_lo, s25
	s_waitcnt vmcnt(23) lgkmcnt(23)
	v_and_b32_e32 v56, 0xff, v46
	s_mov_b32 s11, 0
	s_mov_b32 s26, exec_lo
                                        ; implicit-def: $sgpr25
	s_delay_alu instid0(VALU_DEP_1)
	v_cmpx_lt_i16_e32 0x7f, v56
	s_xor_b32 s26, exec_lo, s26
	s_cbranch_execnz .LBB6_4476
; %bb.3900:                             ;   in Loop: Header=BB6_3373 Depth=2
	s_or_saveexec_b32 s26, s26
	v_mov_b32_e32 v166, s25
	s_xor_b32 exec_lo, exec_lo, s26
	s_cbranch_execnz .LBB6_4479
.LBB6_3901:                             ;   in Loop: Header=BB6_3373 Depth=2
	s_or_b32 exec_lo, exec_lo, s26
	s_and_saveexec_b32 s25, s11
	s_cbranch_execz .LBB6_3903
.LBB6_3902:                             ;   in Loop: Header=BB6_3373 Depth=2
	v_and_b32_e32 v166, 7, v46
	v_lshrrev_b16 v58, 3, v46
	s_delay_alu instid0(VALU_DEP_2) | instskip(NEXT) | instid1(VALU_DEP_2)
	v_clz_i32_u32_e32 v56, v166
	v_and_b32_e32 v58, 15, v58
	s_delay_alu instid0(VALU_DEP_2) | instskip(NEXT) | instid1(VALU_DEP_2)
	v_min_u32_e32 v56, 32, v56
	v_cmp_eq_u32_e32 vcc_lo, 0, v58
	s_delay_alu instid0(VALU_DEP_2) | instskip(SKIP_1) | instid1(VALU_DEP_1)
	v_subrev_nc_u32_e32 v57, 28, v56
	v_sub_nc_u32_e32 v56, 29, v56
	v_dual_cndmask_b32 v56, v58, v56 :: v_dual_lshlrev_b32 v57, v57, v46
	v_lshlrev_b32_e32 v46, 24, v46
	s_delay_alu instid0(VALU_DEP_2) | instskip(NEXT) | instid1(VALU_DEP_3)
	v_and_b32_e32 v57, 7, v57
	v_lshl_add_u32 v56, v56, 23, 0x3b800000
	s_delay_alu instid0(VALU_DEP_3) | instskip(NEXT) | instid1(VALU_DEP_3)
	v_and_b32_e32 v46, 0x80000000, v46
	v_cndmask_b32_e32 v166, v166, v57, vcc_lo
	s_delay_alu instid0(VALU_DEP_1) | instskip(NEXT) | instid1(VALU_DEP_1)
	v_lshlrev_b32_e32 v166, 20, v166
	v_or3_b32 v166, v46, v56, v166
.LBB6_3903:                             ;   in Loop: Header=BB6_3373 Depth=2
	s_or_b32 exec_lo, exec_lo, s25
	s_delay_alu instid0(VALU_DEP_1) | instskip(NEXT) | instid1(VALU_DEP_1)
	v_add_f32_e32 v46, v47, v166
	v_and_b32_e32 v166, 0x7f800000, v46
	s_delay_alu instid0(VALU_DEP_1)
	v_cmp_ne_u32_e32 vcc_lo, 0x7f800000, v166
	v_mov_b32_e32 v166, 0x80
	s_and_saveexec_b32 s25, vcc_lo
	s_cbranch_execz .LBB6_3911
; %bb.3904:                             ;   in Loop: Header=BB6_3373 Depth=2
	v_mov_b32_e32 v166, 0
	s_mov_b32 s26, exec_lo
	v_cmpx_ne_u32_e32 0, v46
	s_cbranch_execz .LBB6_3910
; %bb.3905:                             ;   in Loop: Header=BB6_3373 Depth=2
	v_bfe_u32 v166, v46, 23, 8
	s_delay_alu instid0(VALU_DEP_1) | instskip(SKIP_1) | instid1(VALU_DEP_2)
	v_sub_nc_u32_e32 v56, 0x78, v166
	v_cmp_gt_u32_e32 vcc_lo, 0x79, v166
	v_dual_cndmask_b32 v56, 0, v56 :: v_dual_and_b32 v47, 0x7fffff, v46
	s_delay_alu instid0(VALU_DEP_1) | instskip(SKIP_2) | instid1(VALU_DEP_4)
	v_or_b32_e32 v57, 0x800000, v47
	v_cmp_eq_u32_e32 vcc_lo, 0, v166
	v_add_nc_u32_e32 v166, 0xffffff89, v166
	v_cndmask_b32_e64 v56, v56, 0x77, vcc_lo
	s_delay_alu instid0(VALU_DEP_4) | instskip(NEXT) | instid1(VALU_DEP_3)
	v_cndmask_b32_e32 v47, v57, v47, vcc_lo
	v_cndmask_b32_e64 v166, v166, 0xffffff8a, vcc_lo
	s_delay_alu instid0(VALU_DEP_3) | instskip(NEXT) | instid1(VALU_DEP_3)
	v_lshl_add_u32 v57, 0x100000, v56, -1
	v_lshrrev_b32_e32 v58, v56, v47
	v_lshlrev_b32_e64 v60, v56, 0x80000
	s_delay_alu instid0(VALU_DEP_4) | instskip(NEXT) | instid1(VALU_DEP_4)
	v_add_nc_u32_e32 v56, v56, v166
	v_and_b32_e32 v47, v57, v47
	s_delay_alu instid0(VALU_DEP_4) | instskip(NEXT) | instid1(VALU_DEP_2)
	v_bfe_u32 v59, v58, 20, 1
	v_cmp_eq_u32_e64 s11, v47, v60
	s_delay_alu instid0(VALU_DEP_2) | instskip(NEXT) | instid1(VALU_DEP_1)
	v_add_nc_u32_e32 v57, -1, v59
	v_cndmask_b32_e64 v47, 0, v57, s11
	v_lshrrev_b32_e32 v57, 23, v58
	s_mov_b32 s11, exec_lo
	s_delay_alu instid0(VALU_DEP_2) | instskip(NEXT) | instid1(VALU_DEP_2)
	v_add_nc_u32_e32 v47, v47, v58
	v_xor_b32_e32 v57, 1, v57
	s_delay_alu instid0(VALU_DEP_2) | instskip(NEXT) | instid1(VALU_DEP_1)
	v_and_b32_e32 v166, 0xfffff, v47
	v_add_nc_u32_e32 v47, v166, v58
                                        ; implicit-def: $vgpr166
	s_delay_alu instid0(VALU_DEP_3)
	v_cmpx_ne_u32_e64 v56, v57
	s_xor_b32 s11, exec_lo, s11
; %bb.3906:                             ;   in Loop: Header=BB6_3373 Depth=2
	s_delay_alu instid0(VALU_DEP_2) | instskip(SKIP_2) | instid1(VALU_DEP_2)
	v_cmp_lt_u32_e32 vcc_lo, 0xffffff, v47
	v_sub_nc_u32_e32 v166, v56, v57
	v_cndmask_b32_e64 v56, 0, 1, vcc_lo
	v_add_co_ci_u32_e32 v166, vcc_lo, 0, v166, vcc_lo
	s_delay_alu instid0(VALU_DEP_2)
	v_lshrrev_b32_e32 v47, v56, v47
; %bb.3907:                             ;   in Loop: Header=BB6_3373 Depth=2
	s_and_not1_saveexec_b32 s11, s11
; %bb.3908:                             ;   in Loop: Header=BB6_3373 Depth=2
	s_delay_alu instid0(VALU_DEP_1)
	v_bfe_u32 v166, v47, 23, 1
; %bb.3909:                             ;   in Loop: Header=BB6_3373 Depth=2
	s_or_b32 exec_lo, exec_lo, s11
	v_lshrrev_b32_e32 v47, 20, v47
	s_delay_alu instid0(VALU_DEP_2) | instskip(SKIP_2) | instid1(VALU_DEP_2)
	v_cmp_gt_i32_e32 vcc_lo, 16, v166
	v_lshrrev_b32_e32 v46, 24, v46
	v_min_i32_e32 v56, 15, v166
	v_dual_cndmask_b32 v47, 7, v47 :: v_dual_and_b32 v46, 0x80, v46
	s_delay_alu instid0(VALU_DEP_2) | instskip(NEXT) | instid1(VALU_DEP_2)
	v_lshlrev_b32_e32 v56, 3, v56
	v_or_b32_e32 v166, v166, v47
	s_delay_alu instid0(VALU_DEP_1) | instskip(SKIP_1) | instid1(VALU_DEP_1)
	v_cmp_ne_u32_e32 vcc_lo, 0, v166
	v_and_b32_e32 v57, 7, v47
	v_or3_b32 v46, v56, v46, v57
	s_delay_alu instid0(VALU_DEP_1)
	v_cndmask_b32_e32 v166, 0, v46, vcc_lo
.LBB6_3910:                             ;   in Loop: Header=BB6_3373 Depth=2
	s_or_b32 exec_lo, exec_lo, s26
.LBB6_3911:                             ;   in Loop: Header=BB6_3373 Depth=2
	s_delay_alu instid0(SALU_CYCLE_1) | instskip(SKIP_3) | instid1(VALU_DEP_1)
	s_or_b32 exec_lo, exec_lo, s25
	v_and_b32_e32 v47, 0xff, v164
	s_mov_b32 s11, 0
	s_mov_b32 s26, exec_lo
                                        ; implicit-def: $sgpr25
	v_cmpx_lt_i16_e32 0x7f, v47
	s_xor_b32 s26, exec_lo, s26
	s_cbranch_execnz .LBB6_4480
; %bb.3912:                             ;   in Loop: Header=BB6_3373 Depth=2
	s_or_saveexec_b32 s26, s26
	v_mov_b32_e32 v46, s25
	s_xor_b32 exec_lo, exec_lo, s26
	s_cbranch_execnz .LBB6_4483
.LBB6_3913:                             ;   in Loop: Header=BB6_3373 Depth=2
	s_or_b32 exec_lo, exec_lo, s26
	s_and_saveexec_b32 s25, s11
	s_cbranch_execz .LBB6_3915
.LBB6_3914:                             ;   in Loop: Header=BB6_3373 Depth=2
	v_lshrrev_b16 v57, 3, v164
	s_delay_alu instid0(VALU_DEP_1) | instskip(NEXT) | instid1(VALU_DEP_1)
	v_and_b32_e32 v57, 15, v57
	v_cmp_eq_u32_e32 vcc_lo, 0, v57
	v_and_b32_e32 v46, 7, v164
	s_delay_alu instid0(VALU_DEP_1) | instskip(NEXT) | instid1(VALU_DEP_1)
	v_clz_i32_u32_e32 v47, v46
	v_min_u32_e32 v47, 32, v47
	s_delay_alu instid0(VALU_DEP_1) | instskip(SKIP_1) | instid1(VALU_DEP_1)
	v_subrev_nc_u32_e32 v56, 28, v47
	v_sub_nc_u32_e32 v47, 29, v47
	v_dual_cndmask_b32 v47, v57, v47 :: v_dual_lshlrev_b32 v56, v56, v164
	v_lshlrev_b32_e32 v164, 24, v164
	s_delay_alu instid0(VALU_DEP_2) | instskip(NEXT) | instid1(VALU_DEP_3)
	v_and_b32_e32 v56, 7, v56
	v_lshl_add_u32 v47, v47, 23, 0x3b800000
	s_delay_alu instid0(VALU_DEP_3) | instskip(NEXT) | instid1(VALU_DEP_3)
	v_and_b32_e32 v164, 0x80000000, v164
	v_cndmask_b32_e32 v46, v46, v56, vcc_lo
	s_delay_alu instid0(VALU_DEP_1) | instskip(NEXT) | instid1(VALU_DEP_1)
	v_lshlrev_b32_e32 v46, 20, v46
	v_or3_b32 v46, v164, v47, v46
.LBB6_3915:                             ;   in Loop: Header=BB6_3373 Depth=2
	s_or_b32 exec_lo, exec_lo, s25
	s_waitcnt vmcnt(22) lgkmcnt(22)
	v_and_b32_e32 v47, 0xff, v45
	s_mov_b32 s11, 0
	s_mov_b32 s26, exec_lo
                                        ; implicit-def: $sgpr25
	s_delay_alu instid0(VALU_DEP_1)
	v_cmpx_lt_i16_e32 0x7f, v47
	s_xor_b32 s26, exec_lo, s26
	s_cbranch_execnz .LBB6_4484
; %bb.3916:                             ;   in Loop: Header=BB6_3373 Depth=2
	s_or_saveexec_b32 s26, s26
	v_mov_b32_e32 v164, s25
	s_xor_b32 exec_lo, exec_lo, s26
	s_cbranch_execnz .LBB6_4487
.LBB6_3917:                             ;   in Loop: Header=BB6_3373 Depth=2
	s_or_b32 exec_lo, exec_lo, s26
	s_and_saveexec_b32 s25, s11
	s_cbranch_execz .LBB6_3919
.LBB6_3918:                             ;   in Loop: Header=BB6_3373 Depth=2
	v_lshrrev_b16 v57, 3, v45
	s_delay_alu instid0(VALU_DEP_1) | instskip(NEXT) | instid1(VALU_DEP_1)
	v_and_b32_e32 v57, 15, v57
	v_cmp_eq_u32_e32 vcc_lo, 0, v57
	v_and_b32_e32 v164, 7, v45
	s_delay_alu instid0(VALU_DEP_1) | instskip(NEXT) | instid1(VALU_DEP_1)
	v_clz_i32_u32_e32 v47, v164
	v_min_u32_e32 v47, 32, v47
	s_delay_alu instid0(VALU_DEP_1) | instskip(SKIP_1) | instid1(VALU_DEP_1)
	v_subrev_nc_u32_e32 v56, 28, v47
	v_sub_nc_u32_e32 v47, 29, v47
	v_dual_cndmask_b32 v47, v57, v47 :: v_dual_lshlrev_b32 v56, v56, v45
	v_lshlrev_b32_e32 v45, 24, v45
	s_delay_alu instid0(VALU_DEP_2) | instskip(NEXT) | instid1(VALU_DEP_3)
	v_and_b32_e32 v56, 7, v56
	v_lshl_add_u32 v47, v47, 23, 0x3b800000
	s_delay_alu instid0(VALU_DEP_2) | instskip(NEXT) | instid1(VALU_DEP_1)
	v_dual_cndmask_b32 v164, v164, v56 :: v_dual_and_b32 v45, 0x80000000, v45
	v_lshlrev_b32_e32 v164, 20, v164
	s_delay_alu instid0(VALU_DEP_1)
	v_or3_b32 v164, v45, v47, v164
.LBB6_3919:                             ;   in Loop: Header=BB6_3373 Depth=2
	s_or_b32 exec_lo, exec_lo, s25
	s_delay_alu instid0(VALU_DEP_1) | instskip(NEXT) | instid1(VALU_DEP_1)
	v_add_f32_e32 v45, v46, v164
	v_and_b32_e32 v164, 0x7f800000, v45
	s_delay_alu instid0(VALU_DEP_1)
	v_cmp_ne_u32_e32 vcc_lo, 0x7f800000, v164
	v_mov_b32_e32 v164, 0x80
	s_and_saveexec_b32 s25, vcc_lo
	s_cbranch_execz .LBB6_3927
; %bb.3920:                             ;   in Loop: Header=BB6_3373 Depth=2
	v_mov_b32_e32 v164, 0
	s_mov_b32 s26, exec_lo
	v_cmpx_ne_u32_e32 0, v45
	s_cbranch_execz .LBB6_3926
; %bb.3921:                             ;   in Loop: Header=BB6_3373 Depth=2
	v_bfe_u32 v164, v45, 23, 8
	s_delay_alu instid0(VALU_DEP_1) | instskip(SKIP_1) | instid1(VALU_DEP_2)
	v_sub_nc_u32_e32 v47, 0x78, v164
	v_cmp_gt_u32_e32 vcc_lo, 0x79, v164
	v_dual_cndmask_b32 v47, 0, v47 :: v_dual_and_b32 v46, 0x7fffff, v45
	s_delay_alu instid0(VALU_DEP_1) | instskip(SKIP_2) | instid1(VALU_DEP_4)
	v_or_b32_e32 v56, 0x800000, v46
	v_cmp_eq_u32_e32 vcc_lo, 0, v164
	v_add_nc_u32_e32 v164, 0xffffff89, v164
	v_cndmask_b32_e64 v47, v47, 0x77, vcc_lo
	s_delay_alu instid0(VALU_DEP_2) | instskip(SKIP_1) | instid1(VALU_DEP_3)
	v_cndmask_b32_e64 v164, v164, 0xffffff8a, vcc_lo
	v_cndmask_b32_e32 v46, v56, v46, vcc_lo
	v_lshl_add_u32 v56, 0x100000, v47, -1
	v_lshlrev_b32_e64 v59, v47, 0x80000
	s_delay_alu instid0(VALU_DEP_3) | instskip(SKIP_1) | instid1(VALU_DEP_4)
	v_lshrrev_b32_e32 v57, v47, v46
	v_add_nc_u32_e32 v47, v47, v164
	v_and_b32_e32 v46, v56, v46
	s_delay_alu instid0(VALU_DEP_3) | instskip(NEXT) | instid1(VALU_DEP_2)
	v_bfe_u32 v58, v57, 20, 1
	v_cmp_eq_u32_e64 s11, v46, v59
	s_delay_alu instid0(VALU_DEP_2) | instskip(NEXT) | instid1(VALU_DEP_1)
	v_add_nc_u32_e32 v56, -1, v58
	v_cndmask_b32_e64 v46, 0, v56, s11
	v_lshrrev_b32_e32 v56, 23, v57
	s_mov_b32 s11, exec_lo
	s_delay_alu instid0(VALU_DEP_2) | instskip(NEXT) | instid1(VALU_DEP_2)
	v_add_nc_u32_e32 v46, v46, v57
	v_xor_b32_e32 v56, 1, v56
	s_delay_alu instid0(VALU_DEP_2) | instskip(NEXT) | instid1(VALU_DEP_1)
	v_and_b32_e32 v164, 0xfffff, v46
	v_add_nc_u32_e32 v46, v164, v57
                                        ; implicit-def: $vgpr164
	s_delay_alu instid0(VALU_DEP_3)
	v_cmpx_ne_u32_e64 v47, v56
	s_xor_b32 s11, exec_lo, s11
; %bb.3922:                             ;   in Loop: Header=BB6_3373 Depth=2
	s_delay_alu instid0(VALU_DEP_2) | instskip(SKIP_2) | instid1(VALU_DEP_2)
	v_cmp_lt_u32_e32 vcc_lo, 0xffffff, v46
	v_sub_nc_u32_e32 v164, v47, v56
	v_cndmask_b32_e64 v47, 0, 1, vcc_lo
	v_add_co_ci_u32_e32 v164, vcc_lo, 0, v164, vcc_lo
	s_delay_alu instid0(VALU_DEP_2)
	v_lshrrev_b32_e32 v46, v47, v46
; %bb.3923:                             ;   in Loop: Header=BB6_3373 Depth=2
	s_and_not1_saveexec_b32 s11, s11
; %bb.3924:                             ;   in Loop: Header=BB6_3373 Depth=2
	s_delay_alu instid0(VALU_DEP_1)
	v_bfe_u32 v164, v46, 23, 1
; %bb.3925:                             ;   in Loop: Header=BB6_3373 Depth=2
	s_or_b32 exec_lo, exec_lo, s11
	v_lshrrev_b32_e32 v46, 20, v46
	s_delay_alu instid0(VALU_DEP_2) | instskip(SKIP_2) | instid1(VALU_DEP_2)
	v_cmp_gt_i32_e32 vcc_lo, 16, v164
	v_lshrrev_b32_e32 v45, 24, v45
	v_min_i32_e32 v47, 15, v164
	v_dual_cndmask_b32 v46, 7, v46 :: v_dual_and_b32 v45, 0x80, v45
	s_delay_alu instid0(VALU_DEP_1) | instskip(SKIP_1) | instid1(VALU_DEP_2)
	v_or_b32_e32 v164, v164, v46
	v_and_b32_e32 v56, 7, v46
	v_cmp_ne_u32_e32 vcc_lo, 0, v164
	v_lshlrev_b32_e32 v47, 3, v47
	s_delay_alu instid0(VALU_DEP_1) | instskip(NEXT) | instid1(VALU_DEP_1)
	v_or3_b32 v45, v47, v45, v56
	v_cndmask_b32_e32 v164, 0, v45, vcc_lo
.LBB6_3926:                             ;   in Loop: Header=BB6_3373 Depth=2
	s_or_b32 exec_lo, exec_lo, s26
.LBB6_3927:                             ;   in Loop: Header=BB6_3373 Depth=2
	s_delay_alu instid0(SALU_CYCLE_1) | instskip(SKIP_3) | instid1(VALU_DEP_1)
	s_or_b32 exec_lo, exec_lo, s25
	v_and_b32_e32 v46, 0xff, v162
	s_mov_b32 s11, 0
	s_mov_b32 s26, exec_lo
                                        ; implicit-def: $sgpr25
	v_cmpx_lt_i16_e32 0x7f, v46
	s_xor_b32 s26, exec_lo, s26
	s_cbranch_execnz .LBB6_4488
; %bb.3928:                             ;   in Loop: Header=BB6_3373 Depth=2
	s_or_saveexec_b32 s26, s26
	v_mov_b32_e32 v45, s25
	s_xor_b32 exec_lo, exec_lo, s26
	s_cbranch_execnz .LBB6_4491
.LBB6_3929:                             ;   in Loop: Header=BB6_3373 Depth=2
	s_or_b32 exec_lo, exec_lo, s26
	s_and_saveexec_b32 s25, s11
	s_cbranch_execz .LBB6_3931
.LBB6_3930:                             ;   in Loop: Header=BB6_3373 Depth=2
	v_and_b32_e32 v45, 7, v162
	v_lshrrev_b16 v56, 3, v162
	s_delay_alu instid0(VALU_DEP_2) | instskip(NEXT) | instid1(VALU_DEP_1)
	v_clz_i32_u32_e32 v46, v45
	v_min_u32_e32 v46, 32, v46
	s_delay_alu instid0(VALU_DEP_1) | instskip(SKIP_1) | instid1(VALU_DEP_2)
	v_subrev_nc_u32_e32 v47, 28, v46
	v_sub_nc_u32_e32 v46, 29, v46
	v_lshlrev_b32_e32 v47, v47, v162
	v_lshlrev_b32_e32 v162, 24, v162
	s_delay_alu instid0(VALU_DEP_2) | instskip(SKIP_1) | instid1(VALU_DEP_3)
	v_and_b32_e32 v47, 7, v47
	v_and_b32_e32 v56, 15, v56
	;; [unrolled: 1-line block ×3, first 2 shown]
	s_delay_alu instid0(VALU_DEP_2) | instskip(NEXT) | instid1(VALU_DEP_4)
	v_cmp_eq_u32_e32 vcc_lo, 0, v56
	v_dual_cndmask_b32 v45, v45, v47 :: v_dual_cndmask_b32 v46, v56, v46
	s_delay_alu instid0(VALU_DEP_1) | instskip(NEXT) | instid1(VALU_DEP_2)
	v_lshlrev_b32_e32 v45, 20, v45
	v_lshl_add_u32 v46, v46, 23, 0x3b800000
	s_delay_alu instid0(VALU_DEP_1)
	v_or3_b32 v45, v162, v46, v45
.LBB6_3931:                             ;   in Loop: Header=BB6_3373 Depth=2
	s_or_b32 exec_lo, exec_lo, s25
	s_waitcnt vmcnt(21) lgkmcnt(21)
	v_and_b32_e32 v46, 0xff, v44
	s_mov_b32 s11, 0
	s_mov_b32 s26, exec_lo
                                        ; implicit-def: $sgpr25
	s_delay_alu instid0(VALU_DEP_1)
	v_cmpx_lt_i16_e32 0x7f, v46
	s_xor_b32 s26, exec_lo, s26
	s_cbranch_execnz .LBB6_4492
; %bb.3932:                             ;   in Loop: Header=BB6_3373 Depth=2
	s_or_saveexec_b32 s26, s26
	v_mov_b32_e32 v162, s25
	s_xor_b32 exec_lo, exec_lo, s26
	s_cbranch_execnz .LBB6_4495
.LBB6_3933:                             ;   in Loop: Header=BB6_3373 Depth=2
	s_or_b32 exec_lo, exec_lo, s26
	s_and_saveexec_b32 s25, s11
	s_cbranch_execz .LBB6_3935
.LBB6_3934:                             ;   in Loop: Header=BB6_3373 Depth=2
	v_and_b32_e32 v162, 7, v44
	v_lshrrev_b16 v56, 3, v44
	s_delay_alu instid0(VALU_DEP_2) | instskip(NEXT) | instid1(VALU_DEP_2)
	v_clz_i32_u32_e32 v46, v162
	v_and_b32_e32 v56, 15, v56
	s_delay_alu instid0(VALU_DEP_2) | instskip(NEXT) | instid1(VALU_DEP_2)
	v_min_u32_e32 v46, 32, v46
	v_cmp_eq_u32_e32 vcc_lo, 0, v56
	s_delay_alu instid0(VALU_DEP_2) | instskip(SKIP_1) | instid1(VALU_DEP_1)
	v_subrev_nc_u32_e32 v47, 28, v46
	v_sub_nc_u32_e32 v46, 29, v46
	v_dual_cndmask_b32 v46, v56, v46 :: v_dual_lshlrev_b32 v47, v47, v44
	v_lshlrev_b32_e32 v44, 24, v44
	s_delay_alu instid0(VALU_DEP_2) | instskip(NEXT) | instid1(VALU_DEP_3)
	v_and_b32_e32 v47, 7, v47
	v_lshl_add_u32 v46, v46, 23, 0x3b800000
	s_delay_alu instid0(VALU_DEP_3) | instskip(NEXT) | instid1(VALU_DEP_3)
	v_and_b32_e32 v44, 0x80000000, v44
	v_cndmask_b32_e32 v162, v162, v47, vcc_lo
	s_delay_alu instid0(VALU_DEP_1) | instskip(NEXT) | instid1(VALU_DEP_1)
	v_lshlrev_b32_e32 v162, 20, v162
	v_or3_b32 v162, v44, v46, v162
.LBB6_3935:                             ;   in Loop: Header=BB6_3373 Depth=2
	s_or_b32 exec_lo, exec_lo, s25
	s_delay_alu instid0(VALU_DEP_1) | instskip(NEXT) | instid1(VALU_DEP_1)
	v_add_f32_e32 v44, v45, v162
	v_and_b32_e32 v162, 0x7f800000, v44
	s_delay_alu instid0(VALU_DEP_1)
	v_cmp_ne_u32_e32 vcc_lo, 0x7f800000, v162
	v_mov_b32_e32 v162, 0x80
	s_and_saveexec_b32 s25, vcc_lo
	s_cbranch_execz .LBB6_3943
; %bb.3936:                             ;   in Loop: Header=BB6_3373 Depth=2
	v_mov_b32_e32 v162, 0
	s_mov_b32 s26, exec_lo
	v_cmpx_ne_u32_e32 0, v44
	s_cbranch_execz .LBB6_3942
; %bb.3937:                             ;   in Loop: Header=BB6_3373 Depth=2
	v_bfe_u32 v162, v44, 23, 8
	s_delay_alu instid0(VALU_DEP_1) | instskip(SKIP_1) | instid1(VALU_DEP_2)
	v_sub_nc_u32_e32 v46, 0x78, v162
	v_cmp_gt_u32_e32 vcc_lo, 0x79, v162
	v_dual_cndmask_b32 v46, 0, v46 :: v_dual_and_b32 v45, 0x7fffff, v44
	s_delay_alu instid0(VALU_DEP_1) | instskip(SKIP_2) | instid1(VALU_DEP_4)
	v_or_b32_e32 v47, 0x800000, v45
	v_cmp_eq_u32_e32 vcc_lo, 0, v162
	v_add_nc_u32_e32 v162, 0xffffff89, v162
	v_cndmask_b32_e64 v46, v46, 0x77, vcc_lo
	s_delay_alu instid0(VALU_DEP_4) | instskip(NEXT) | instid1(VALU_DEP_3)
	v_cndmask_b32_e32 v45, v47, v45, vcc_lo
	v_cndmask_b32_e64 v162, v162, 0xffffff8a, vcc_lo
	s_delay_alu instid0(VALU_DEP_3) | instskip(NEXT) | instid1(VALU_DEP_3)
	v_lshl_add_u32 v47, 0x100000, v46, -1
	v_lshrrev_b32_e32 v56, v46, v45
	v_lshlrev_b32_e64 v58, v46, 0x80000
	s_delay_alu instid0(VALU_DEP_4) | instskip(NEXT) | instid1(VALU_DEP_4)
	v_add_nc_u32_e32 v46, v46, v162
	v_and_b32_e32 v45, v47, v45
	s_delay_alu instid0(VALU_DEP_4) | instskip(NEXT) | instid1(VALU_DEP_2)
	v_bfe_u32 v57, v56, 20, 1
	v_cmp_eq_u32_e64 s11, v45, v58
	s_delay_alu instid0(VALU_DEP_2) | instskip(NEXT) | instid1(VALU_DEP_1)
	v_add_nc_u32_e32 v47, -1, v57
	v_cndmask_b32_e64 v45, 0, v47, s11
	v_lshrrev_b32_e32 v47, 23, v56
	s_mov_b32 s11, exec_lo
	s_delay_alu instid0(VALU_DEP_2) | instskip(NEXT) | instid1(VALU_DEP_2)
	v_add_nc_u32_e32 v45, v45, v56
	v_xor_b32_e32 v47, 1, v47
	s_delay_alu instid0(VALU_DEP_2) | instskip(NEXT) | instid1(VALU_DEP_1)
	v_and_b32_e32 v162, 0xfffff, v45
	v_add_nc_u32_e32 v45, v162, v56
                                        ; implicit-def: $vgpr162
	s_delay_alu instid0(VALU_DEP_3)
	v_cmpx_ne_u32_e64 v46, v47
	s_xor_b32 s11, exec_lo, s11
; %bb.3938:                             ;   in Loop: Header=BB6_3373 Depth=2
	s_delay_alu instid0(VALU_DEP_2) | instskip(SKIP_2) | instid1(VALU_DEP_2)
	v_cmp_lt_u32_e32 vcc_lo, 0xffffff, v45
	v_sub_nc_u32_e32 v162, v46, v47
	v_cndmask_b32_e64 v46, 0, 1, vcc_lo
	v_add_co_ci_u32_e32 v162, vcc_lo, 0, v162, vcc_lo
	s_delay_alu instid0(VALU_DEP_2)
	v_lshrrev_b32_e32 v45, v46, v45
; %bb.3939:                             ;   in Loop: Header=BB6_3373 Depth=2
	s_and_not1_saveexec_b32 s11, s11
; %bb.3940:                             ;   in Loop: Header=BB6_3373 Depth=2
	s_delay_alu instid0(VALU_DEP_1)
	v_bfe_u32 v162, v45, 23, 1
; %bb.3941:                             ;   in Loop: Header=BB6_3373 Depth=2
	s_or_b32 exec_lo, exec_lo, s11
	v_lshrrev_b32_e32 v45, 20, v45
	s_delay_alu instid0(VALU_DEP_2) | instskip(SKIP_2) | instid1(VALU_DEP_2)
	v_cmp_gt_i32_e32 vcc_lo, 16, v162
	v_lshrrev_b32_e32 v44, 24, v44
	v_min_i32_e32 v46, 15, v162
	v_dual_cndmask_b32 v45, 7, v45 :: v_dual_and_b32 v44, 0x80, v44
	s_delay_alu instid0(VALU_DEP_2) | instskip(NEXT) | instid1(VALU_DEP_2)
	v_lshlrev_b32_e32 v46, 3, v46
	v_or_b32_e32 v162, v162, v45
	s_delay_alu instid0(VALU_DEP_1) | instskip(SKIP_1) | instid1(VALU_DEP_1)
	v_cmp_ne_u32_e32 vcc_lo, 0, v162
	v_and_b32_e32 v47, 7, v45
	v_or3_b32 v44, v46, v44, v47
	s_delay_alu instid0(VALU_DEP_1)
	v_cndmask_b32_e32 v162, 0, v44, vcc_lo
.LBB6_3942:                             ;   in Loop: Header=BB6_3373 Depth=2
	s_or_b32 exec_lo, exec_lo, s26
.LBB6_3943:                             ;   in Loop: Header=BB6_3373 Depth=2
	s_delay_alu instid0(SALU_CYCLE_1) | instskip(SKIP_3) | instid1(VALU_DEP_1)
	s_or_b32 exec_lo, exec_lo, s25
	v_and_b32_e32 v45, 0xff, v161
	s_mov_b32 s11, 0
	s_mov_b32 s26, exec_lo
                                        ; implicit-def: $sgpr25
	v_cmpx_lt_i16_e32 0x7f, v45
	s_xor_b32 s26, exec_lo, s26
	s_cbranch_execnz .LBB6_4496
; %bb.3944:                             ;   in Loop: Header=BB6_3373 Depth=2
	s_or_saveexec_b32 s26, s26
	v_mov_b32_e32 v44, s25
	s_xor_b32 exec_lo, exec_lo, s26
	s_cbranch_execnz .LBB6_4499
.LBB6_3945:                             ;   in Loop: Header=BB6_3373 Depth=2
	s_or_b32 exec_lo, exec_lo, s26
	s_and_saveexec_b32 s25, s11
	s_cbranch_execz .LBB6_3947
.LBB6_3946:                             ;   in Loop: Header=BB6_3373 Depth=2
	v_and_b32_e32 v44, 7, v161
	v_lshrrev_b16 v47, 3, v161
	s_delay_alu instid0(VALU_DEP_2) | instskip(NEXT) | instid1(VALU_DEP_1)
	v_clz_i32_u32_e32 v45, v44
	v_min_u32_e32 v45, 32, v45
	s_delay_alu instid0(VALU_DEP_1) | instskip(SKIP_1) | instid1(VALU_DEP_2)
	v_subrev_nc_u32_e32 v46, 28, v45
	v_sub_nc_u32_e32 v45, 29, v45
	v_lshlrev_b32_e32 v46, v46, v161
	v_lshlrev_b32_e32 v161, 24, v161
	s_delay_alu instid0(VALU_DEP_2) | instskip(SKIP_1) | instid1(VALU_DEP_3)
	v_and_b32_e32 v46, 7, v46
	v_and_b32_e32 v47, 15, v47
	;; [unrolled: 1-line block ×3, first 2 shown]
	s_delay_alu instid0(VALU_DEP_2) | instskip(NEXT) | instid1(VALU_DEP_4)
	v_cmp_eq_u32_e32 vcc_lo, 0, v47
	v_dual_cndmask_b32 v44, v44, v46 :: v_dual_cndmask_b32 v45, v47, v45
	s_delay_alu instid0(VALU_DEP_1) | instskip(NEXT) | instid1(VALU_DEP_2)
	v_lshlrev_b32_e32 v44, 20, v44
	v_lshl_add_u32 v45, v45, 23, 0x3b800000
	s_delay_alu instid0(VALU_DEP_1)
	v_or3_b32 v44, v161, v45, v44
.LBB6_3947:                             ;   in Loop: Header=BB6_3373 Depth=2
	s_or_b32 exec_lo, exec_lo, s25
	s_waitcnt vmcnt(20) lgkmcnt(20)
	v_and_b32_e32 v45, 0xff, v43
	s_mov_b32 s11, 0
	s_mov_b32 s26, exec_lo
                                        ; implicit-def: $sgpr25
	s_delay_alu instid0(VALU_DEP_1)
	v_cmpx_lt_i16_e32 0x7f, v45
	s_xor_b32 s26, exec_lo, s26
	s_cbranch_execnz .LBB6_4500
; %bb.3948:                             ;   in Loop: Header=BB6_3373 Depth=2
	s_or_saveexec_b32 s26, s26
	v_mov_b32_e32 v161, s25
	s_xor_b32 exec_lo, exec_lo, s26
	s_cbranch_execnz .LBB6_4503
.LBB6_3949:                             ;   in Loop: Header=BB6_3373 Depth=2
	s_or_b32 exec_lo, exec_lo, s26
	s_and_saveexec_b32 s25, s11
	s_cbranch_execz .LBB6_3951
.LBB6_3950:                             ;   in Loop: Header=BB6_3373 Depth=2
	v_and_b32_e32 v161, 7, v43
	v_lshrrev_b16 v47, 3, v43
	s_delay_alu instid0(VALU_DEP_2) | instskip(NEXT) | instid1(VALU_DEP_2)
	v_clz_i32_u32_e32 v45, v161
	v_and_b32_e32 v47, 15, v47
	s_delay_alu instid0(VALU_DEP_2) | instskip(NEXT) | instid1(VALU_DEP_2)
	v_min_u32_e32 v45, 32, v45
	v_cmp_eq_u32_e32 vcc_lo, 0, v47
	s_delay_alu instid0(VALU_DEP_2) | instskip(SKIP_1) | instid1(VALU_DEP_1)
	v_subrev_nc_u32_e32 v46, 28, v45
	v_sub_nc_u32_e32 v45, 29, v45
	v_dual_cndmask_b32 v45, v47, v45 :: v_dual_lshlrev_b32 v46, v46, v43
	v_lshlrev_b32_e32 v43, 24, v43
	s_delay_alu instid0(VALU_DEP_2) | instskip(NEXT) | instid1(VALU_DEP_3)
	v_and_b32_e32 v46, 7, v46
	v_lshl_add_u32 v45, v45, 23, 0x3b800000
	s_delay_alu instid0(VALU_DEP_3) | instskip(NEXT) | instid1(VALU_DEP_3)
	v_and_b32_e32 v43, 0x80000000, v43
	v_cndmask_b32_e32 v161, v161, v46, vcc_lo
	s_delay_alu instid0(VALU_DEP_1) | instskip(NEXT) | instid1(VALU_DEP_1)
	v_lshlrev_b32_e32 v161, 20, v161
	v_or3_b32 v161, v43, v45, v161
.LBB6_3951:                             ;   in Loop: Header=BB6_3373 Depth=2
	s_or_b32 exec_lo, exec_lo, s25
	s_delay_alu instid0(VALU_DEP_1) | instskip(NEXT) | instid1(VALU_DEP_1)
	v_add_f32_e32 v43, v44, v161
	v_and_b32_e32 v161, 0x7f800000, v43
	s_delay_alu instid0(VALU_DEP_1)
	v_cmp_ne_u32_e32 vcc_lo, 0x7f800000, v161
	v_mov_b32_e32 v161, 0x80
	s_and_saveexec_b32 s25, vcc_lo
	s_cbranch_execz .LBB6_3959
; %bb.3952:                             ;   in Loop: Header=BB6_3373 Depth=2
	v_mov_b32_e32 v161, 0
	s_mov_b32 s26, exec_lo
	v_cmpx_ne_u32_e32 0, v43
	s_cbranch_execz .LBB6_3958
; %bb.3953:                             ;   in Loop: Header=BB6_3373 Depth=2
	v_bfe_u32 v161, v43, 23, 8
	s_delay_alu instid0(VALU_DEP_1) | instskip(SKIP_1) | instid1(VALU_DEP_2)
	v_sub_nc_u32_e32 v45, 0x78, v161
	v_cmp_gt_u32_e32 vcc_lo, 0x79, v161
	v_dual_cndmask_b32 v45, 0, v45 :: v_dual_and_b32 v44, 0x7fffff, v43
	s_delay_alu instid0(VALU_DEP_1) | instskip(SKIP_2) | instid1(VALU_DEP_4)
	v_or_b32_e32 v46, 0x800000, v44
	v_cmp_eq_u32_e32 vcc_lo, 0, v161
	v_add_nc_u32_e32 v161, 0xffffff89, v161
	v_cndmask_b32_e64 v45, v45, 0x77, vcc_lo
	s_delay_alu instid0(VALU_DEP_4) | instskip(NEXT) | instid1(VALU_DEP_3)
	v_cndmask_b32_e32 v44, v46, v44, vcc_lo
	v_cndmask_b32_e64 v161, v161, 0xffffff8a, vcc_lo
	s_delay_alu instid0(VALU_DEP_3) | instskip(NEXT) | instid1(VALU_DEP_3)
	v_lshl_add_u32 v46, 0x100000, v45, -1
	v_lshrrev_b32_e32 v47, v45, v44
	v_lshlrev_b32_e64 v57, v45, 0x80000
	s_delay_alu instid0(VALU_DEP_4) | instskip(NEXT) | instid1(VALU_DEP_4)
	v_add_nc_u32_e32 v45, v45, v161
	v_and_b32_e32 v44, v46, v44
	s_delay_alu instid0(VALU_DEP_4) | instskip(NEXT) | instid1(VALU_DEP_2)
	v_bfe_u32 v56, v47, 20, 1
	v_cmp_eq_u32_e64 s11, v44, v57
	s_delay_alu instid0(VALU_DEP_2) | instskip(NEXT) | instid1(VALU_DEP_1)
	v_add_nc_u32_e32 v46, -1, v56
	v_cndmask_b32_e64 v44, 0, v46, s11
	v_lshrrev_b32_e32 v46, 23, v47
	s_mov_b32 s11, exec_lo
	s_delay_alu instid0(VALU_DEP_2) | instskip(NEXT) | instid1(VALU_DEP_2)
	v_add_nc_u32_e32 v44, v44, v47
	v_xor_b32_e32 v46, 1, v46
	s_delay_alu instid0(VALU_DEP_2) | instskip(NEXT) | instid1(VALU_DEP_1)
	v_and_b32_e32 v161, 0xfffff, v44
	v_add_nc_u32_e32 v44, v161, v47
                                        ; implicit-def: $vgpr161
	s_delay_alu instid0(VALU_DEP_3)
	v_cmpx_ne_u32_e64 v45, v46
	s_xor_b32 s11, exec_lo, s11
; %bb.3954:                             ;   in Loop: Header=BB6_3373 Depth=2
	s_delay_alu instid0(VALU_DEP_2) | instskip(SKIP_2) | instid1(VALU_DEP_2)
	v_cmp_lt_u32_e32 vcc_lo, 0xffffff, v44
	v_sub_nc_u32_e32 v161, v45, v46
	v_cndmask_b32_e64 v45, 0, 1, vcc_lo
	v_add_co_ci_u32_e32 v161, vcc_lo, 0, v161, vcc_lo
	s_delay_alu instid0(VALU_DEP_2)
	v_lshrrev_b32_e32 v44, v45, v44
; %bb.3955:                             ;   in Loop: Header=BB6_3373 Depth=2
	s_and_not1_saveexec_b32 s11, s11
; %bb.3956:                             ;   in Loop: Header=BB6_3373 Depth=2
	s_delay_alu instid0(VALU_DEP_1)
	v_bfe_u32 v161, v44, 23, 1
; %bb.3957:                             ;   in Loop: Header=BB6_3373 Depth=2
	s_or_b32 exec_lo, exec_lo, s11
	v_lshrrev_b32_e32 v44, 20, v44
	s_delay_alu instid0(VALU_DEP_2) | instskip(SKIP_2) | instid1(VALU_DEP_2)
	v_cmp_gt_i32_e32 vcc_lo, 16, v161
	v_lshrrev_b32_e32 v43, 24, v43
	v_min_i32_e32 v45, 15, v161
	v_dual_cndmask_b32 v44, 7, v44 :: v_dual_and_b32 v43, 0x80, v43
	s_delay_alu instid0(VALU_DEP_2) | instskip(NEXT) | instid1(VALU_DEP_2)
	v_lshlrev_b32_e32 v45, 3, v45
	v_or_b32_e32 v161, v161, v44
	s_delay_alu instid0(VALU_DEP_1) | instskip(SKIP_1) | instid1(VALU_DEP_1)
	v_cmp_ne_u32_e32 vcc_lo, 0, v161
	v_and_b32_e32 v46, 7, v44
	v_or3_b32 v43, v45, v43, v46
	s_delay_alu instid0(VALU_DEP_1)
	v_cndmask_b32_e32 v161, 0, v43, vcc_lo
.LBB6_3958:                             ;   in Loop: Header=BB6_3373 Depth=2
	s_or_b32 exec_lo, exec_lo, s26
.LBB6_3959:                             ;   in Loop: Header=BB6_3373 Depth=2
	s_delay_alu instid0(SALU_CYCLE_1) | instskip(SKIP_3) | instid1(VALU_DEP_1)
	s_or_b32 exec_lo, exec_lo, s25
	v_and_b32_e32 v44, 0xff, v151
	s_mov_b32 s11, 0
	s_mov_b32 s26, exec_lo
                                        ; implicit-def: $sgpr25
	v_cmpx_lt_i16_e32 0x7f, v44
	s_xor_b32 s26, exec_lo, s26
	s_cbranch_execnz .LBB6_4504
; %bb.3960:                             ;   in Loop: Header=BB6_3373 Depth=2
	s_or_saveexec_b32 s26, s26
	v_mov_b32_e32 v43, s25
	s_xor_b32 exec_lo, exec_lo, s26
	s_cbranch_execnz .LBB6_4507
.LBB6_3961:                             ;   in Loop: Header=BB6_3373 Depth=2
	s_or_b32 exec_lo, exec_lo, s26
	s_and_saveexec_b32 s25, s11
	s_cbranch_execz .LBB6_3963
.LBB6_3962:                             ;   in Loop: Header=BB6_3373 Depth=2
	v_lshrrev_b16 v46, 3, v151
	s_delay_alu instid0(VALU_DEP_1) | instskip(NEXT) | instid1(VALU_DEP_1)
	v_and_b32_e32 v46, 15, v46
	v_cmp_eq_u32_e32 vcc_lo, 0, v46
	v_and_b32_e32 v43, 7, v151
	s_delay_alu instid0(VALU_DEP_1) | instskip(NEXT) | instid1(VALU_DEP_1)
	v_clz_i32_u32_e32 v44, v43
	v_min_u32_e32 v44, 32, v44
	s_delay_alu instid0(VALU_DEP_1) | instskip(SKIP_1) | instid1(VALU_DEP_1)
	v_subrev_nc_u32_e32 v45, 28, v44
	v_sub_nc_u32_e32 v44, 29, v44
	v_dual_cndmask_b32 v44, v46, v44 :: v_dual_lshlrev_b32 v45, v45, v151
	v_lshlrev_b32_e32 v151, 24, v151
	s_delay_alu instid0(VALU_DEP_2) | instskip(NEXT) | instid1(VALU_DEP_3)
	v_and_b32_e32 v45, 7, v45
	v_lshl_add_u32 v44, v44, 23, 0x3b800000
	s_delay_alu instid0(VALU_DEP_3) | instskip(NEXT) | instid1(VALU_DEP_3)
	v_and_b32_e32 v151, 0x80000000, v151
	v_cndmask_b32_e32 v43, v43, v45, vcc_lo
	s_delay_alu instid0(VALU_DEP_1) | instskip(NEXT) | instid1(VALU_DEP_1)
	v_lshlrev_b32_e32 v43, 20, v43
	v_or3_b32 v43, v151, v44, v43
.LBB6_3963:                             ;   in Loop: Header=BB6_3373 Depth=2
	s_or_b32 exec_lo, exec_lo, s25
	s_waitcnt vmcnt(19) lgkmcnt(19)
	v_and_b32_e32 v44, 0xff, v42
	s_mov_b32 s11, 0
	s_mov_b32 s26, exec_lo
                                        ; implicit-def: $sgpr25
	s_delay_alu instid0(VALU_DEP_1)
	v_cmpx_lt_i16_e32 0x7f, v44
	s_xor_b32 s26, exec_lo, s26
	s_cbranch_execnz .LBB6_4508
; %bb.3964:                             ;   in Loop: Header=BB6_3373 Depth=2
	s_or_saveexec_b32 s26, s26
	v_mov_b32_e32 v151, s25
	s_xor_b32 exec_lo, exec_lo, s26
	s_cbranch_execnz .LBB6_4511
.LBB6_3965:                             ;   in Loop: Header=BB6_3373 Depth=2
	s_or_b32 exec_lo, exec_lo, s26
	s_and_saveexec_b32 s25, s11
	s_cbranch_execz .LBB6_3967
.LBB6_3966:                             ;   in Loop: Header=BB6_3373 Depth=2
	v_lshrrev_b16 v46, 3, v42
	s_delay_alu instid0(VALU_DEP_1) | instskip(NEXT) | instid1(VALU_DEP_1)
	v_and_b32_e32 v46, 15, v46
	v_cmp_eq_u32_e32 vcc_lo, 0, v46
	v_and_b32_e32 v151, 7, v42
	s_delay_alu instid0(VALU_DEP_1) | instskip(NEXT) | instid1(VALU_DEP_1)
	v_clz_i32_u32_e32 v44, v151
	v_min_u32_e32 v44, 32, v44
	s_delay_alu instid0(VALU_DEP_1) | instskip(SKIP_1) | instid1(VALU_DEP_1)
	v_subrev_nc_u32_e32 v45, 28, v44
	v_sub_nc_u32_e32 v44, 29, v44
	v_dual_cndmask_b32 v44, v46, v44 :: v_dual_lshlrev_b32 v45, v45, v42
	v_lshlrev_b32_e32 v42, 24, v42
	s_delay_alu instid0(VALU_DEP_2) | instskip(NEXT) | instid1(VALU_DEP_3)
	v_and_b32_e32 v45, 7, v45
	v_lshl_add_u32 v44, v44, 23, 0x3b800000
	s_delay_alu instid0(VALU_DEP_2) | instskip(NEXT) | instid1(VALU_DEP_1)
	v_dual_cndmask_b32 v151, v151, v45 :: v_dual_and_b32 v42, 0x80000000, v42
	v_lshlrev_b32_e32 v151, 20, v151
	s_delay_alu instid0(VALU_DEP_1)
	v_or3_b32 v151, v42, v44, v151
.LBB6_3967:                             ;   in Loop: Header=BB6_3373 Depth=2
	s_or_b32 exec_lo, exec_lo, s25
	s_delay_alu instid0(VALU_DEP_1) | instskip(NEXT) | instid1(VALU_DEP_1)
	v_add_f32_e32 v42, v43, v151
	v_and_b32_e32 v151, 0x7f800000, v42
	s_delay_alu instid0(VALU_DEP_1)
	v_cmp_ne_u32_e32 vcc_lo, 0x7f800000, v151
	v_mov_b32_e32 v151, 0x80
	s_and_saveexec_b32 s25, vcc_lo
	s_cbranch_execz .LBB6_3975
; %bb.3968:                             ;   in Loop: Header=BB6_3373 Depth=2
	v_mov_b32_e32 v151, 0
	s_mov_b32 s26, exec_lo
	v_cmpx_ne_u32_e32 0, v42
	s_cbranch_execz .LBB6_3974
; %bb.3969:                             ;   in Loop: Header=BB6_3373 Depth=2
	v_bfe_u32 v151, v42, 23, 8
	s_delay_alu instid0(VALU_DEP_1) | instskip(SKIP_1) | instid1(VALU_DEP_2)
	v_sub_nc_u32_e32 v44, 0x78, v151
	v_cmp_gt_u32_e32 vcc_lo, 0x79, v151
	v_dual_cndmask_b32 v44, 0, v44 :: v_dual_and_b32 v43, 0x7fffff, v42
	s_delay_alu instid0(VALU_DEP_1) | instskip(SKIP_2) | instid1(VALU_DEP_4)
	v_or_b32_e32 v45, 0x800000, v43
	v_cmp_eq_u32_e32 vcc_lo, 0, v151
	v_add_nc_u32_e32 v151, 0xffffff89, v151
	v_cndmask_b32_e64 v44, v44, 0x77, vcc_lo
	s_delay_alu instid0(VALU_DEP_4) | instskip(NEXT) | instid1(VALU_DEP_3)
	v_cndmask_b32_e32 v43, v45, v43, vcc_lo
	v_cndmask_b32_e64 v151, v151, 0xffffff8a, vcc_lo
	s_delay_alu instid0(VALU_DEP_3) | instskip(NEXT) | instid1(VALU_DEP_3)
	v_lshl_add_u32 v45, 0x100000, v44, -1
	v_lshrrev_b32_e32 v46, v44, v43
	v_lshlrev_b32_e64 v56, v44, 0x80000
	s_delay_alu instid0(VALU_DEP_4) | instskip(NEXT) | instid1(VALU_DEP_4)
	v_add_nc_u32_e32 v44, v44, v151
	v_and_b32_e32 v43, v45, v43
	s_delay_alu instid0(VALU_DEP_4) | instskip(NEXT) | instid1(VALU_DEP_2)
	v_bfe_u32 v47, v46, 20, 1
	v_cmp_eq_u32_e64 s11, v43, v56
	s_delay_alu instid0(VALU_DEP_2) | instskip(NEXT) | instid1(VALU_DEP_1)
	v_add_nc_u32_e32 v45, -1, v47
	v_cndmask_b32_e64 v43, 0, v45, s11
	v_lshrrev_b32_e32 v45, 23, v46
	s_mov_b32 s11, exec_lo
	s_delay_alu instid0(VALU_DEP_2) | instskip(NEXT) | instid1(VALU_DEP_2)
	v_add_nc_u32_e32 v43, v43, v46
	v_xor_b32_e32 v45, 1, v45
	s_delay_alu instid0(VALU_DEP_2) | instskip(NEXT) | instid1(VALU_DEP_1)
	v_and_b32_e32 v151, 0xfffff, v43
	v_add_nc_u32_e32 v43, v151, v46
                                        ; implicit-def: $vgpr151
	s_delay_alu instid0(VALU_DEP_3)
	v_cmpx_ne_u32_e64 v44, v45
	s_xor_b32 s11, exec_lo, s11
; %bb.3970:                             ;   in Loop: Header=BB6_3373 Depth=2
	s_delay_alu instid0(VALU_DEP_2) | instskip(SKIP_2) | instid1(VALU_DEP_2)
	v_cmp_lt_u32_e32 vcc_lo, 0xffffff, v43
	v_sub_nc_u32_e32 v151, v44, v45
	v_cndmask_b32_e64 v44, 0, 1, vcc_lo
	v_add_co_ci_u32_e32 v151, vcc_lo, 0, v151, vcc_lo
	s_delay_alu instid0(VALU_DEP_2)
	v_lshrrev_b32_e32 v43, v44, v43
; %bb.3971:                             ;   in Loop: Header=BB6_3373 Depth=2
	s_and_not1_saveexec_b32 s11, s11
; %bb.3972:                             ;   in Loop: Header=BB6_3373 Depth=2
	s_delay_alu instid0(VALU_DEP_1)
	v_bfe_u32 v151, v43, 23, 1
; %bb.3973:                             ;   in Loop: Header=BB6_3373 Depth=2
	s_or_b32 exec_lo, exec_lo, s11
	v_lshrrev_b32_e32 v43, 20, v43
	s_delay_alu instid0(VALU_DEP_2) | instskip(SKIP_2) | instid1(VALU_DEP_2)
	v_cmp_gt_i32_e32 vcc_lo, 16, v151
	v_lshrrev_b32_e32 v42, 24, v42
	v_min_i32_e32 v44, 15, v151
	v_dual_cndmask_b32 v43, 7, v43 :: v_dual_and_b32 v42, 0x80, v42
	s_delay_alu instid0(VALU_DEP_1) | instskip(SKIP_1) | instid1(VALU_DEP_2)
	v_or_b32_e32 v151, v151, v43
	v_and_b32_e32 v45, 7, v43
	v_cmp_ne_u32_e32 vcc_lo, 0, v151
	v_lshlrev_b32_e32 v44, 3, v44
	s_delay_alu instid0(VALU_DEP_1) | instskip(NEXT) | instid1(VALU_DEP_1)
	v_or3_b32 v42, v44, v42, v45
	v_cndmask_b32_e32 v151, 0, v42, vcc_lo
.LBB6_3974:                             ;   in Loop: Header=BB6_3373 Depth=2
	s_or_b32 exec_lo, exec_lo, s26
.LBB6_3975:                             ;   in Loop: Header=BB6_3373 Depth=2
	s_delay_alu instid0(SALU_CYCLE_1) | instskip(SKIP_3) | instid1(VALU_DEP_1)
	s_or_b32 exec_lo, exec_lo, s25
	v_and_b32_e32 v43, 0xff, v149
	s_mov_b32 s11, 0
	s_mov_b32 s26, exec_lo
                                        ; implicit-def: $sgpr25
	v_cmpx_lt_i16_e32 0x7f, v43
	s_xor_b32 s26, exec_lo, s26
	s_cbranch_execnz .LBB6_4512
; %bb.3976:                             ;   in Loop: Header=BB6_3373 Depth=2
	s_or_saveexec_b32 s26, s26
	v_mov_b32_e32 v42, s25
	s_xor_b32 exec_lo, exec_lo, s26
	s_cbranch_execnz .LBB6_4515
.LBB6_3977:                             ;   in Loop: Header=BB6_3373 Depth=2
	s_or_b32 exec_lo, exec_lo, s26
	s_and_saveexec_b32 s25, s11
	s_cbranch_execz .LBB6_3979
.LBB6_3978:                             ;   in Loop: Header=BB6_3373 Depth=2
	v_lshrrev_b16 v45, 3, v149
	s_delay_alu instid0(VALU_DEP_1) | instskip(NEXT) | instid1(VALU_DEP_1)
	v_and_b32_e32 v45, 15, v45
	v_cmp_eq_u32_e32 vcc_lo, 0, v45
	v_and_b32_e32 v42, 7, v149
	s_delay_alu instid0(VALU_DEP_1) | instskip(NEXT) | instid1(VALU_DEP_1)
	v_clz_i32_u32_e32 v43, v42
	v_min_u32_e32 v43, 32, v43
	s_delay_alu instid0(VALU_DEP_1) | instskip(SKIP_1) | instid1(VALU_DEP_1)
	v_subrev_nc_u32_e32 v44, 28, v43
	v_sub_nc_u32_e32 v43, 29, v43
	v_dual_cndmask_b32 v43, v45, v43 :: v_dual_lshlrev_b32 v44, v44, v149
	v_lshlrev_b32_e32 v149, 24, v149
	s_delay_alu instid0(VALU_DEP_2) | instskip(NEXT) | instid1(VALU_DEP_3)
	v_and_b32_e32 v44, 7, v44
	v_lshl_add_u32 v43, v43, 23, 0x3b800000
	s_delay_alu instid0(VALU_DEP_2) | instskip(NEXT) | instid1(VALU_DEP_1)
	v_dual_cndmask_b32 v42, v42, v44 :: v_dual_and_b32 v149, 0x80000000, v149
	v_lshlrev_b32_e32 v42, 20, v42
	s_delay_alu instid0(VALU_DEP_1)
	v_or3_b32 v42, v149, v43, v42
.LBB6_3979:                             ;   in Loop: Header=BB6_3373 Depth=2
	s_or_b32 exec_lo, exec_lo, s25
	s_waitcnt vmcnt(18) lgkmcnt(18)
	v_and_b32_e32 v43, 0xff, v41
	s_mov_b32 s11, 0
	s_mov_b32 s26, exec_lo
                                        ; implicit-def: $sgpr25
	s_delay_alu instid0(VALU_DEP_1)
	v_cmpx_lt_i16_e32 0x7f, v43
	s_xor_b32 s26, exec_lo, s26
	s_cbranch_execnz .LBB6_4516
; %bb.3980:                             ;   in Loop: Header=BB6_3373 Depth=2
	s_or_saveexec_b32 s26, s26
	v_mov_b32_e32 v149, s25
	s_xor_b32 exec_lo, exec_lo, s26
	s_cbranch_execnz .LBB6_4519
.LBB6_3981:                             ;   in Loop: Header=BB6_3373 Depth=2
	s_or_b32 exec_lo, exec_lo, s26
	s_and_saveexec_b32 s25, s11
	s_cbranch_execz .LBB6_3983
.LBB6_3982:                             ;   in Loop: Header=BB6_3373 Depth=2
	v_and_b32_e32 v149, 7, v41
	v_lshrrev_b16 v45, 3, v41
	s_delay_alu instid0(VALU_DEP_2) | instskip(NEXT) | instid1(VALU_DEP_2)
	v_clz_i32_u32_e32 v43, v149
	v_and_b32_e32 v45, 15, v45
	s_delay_alu instid0(VALU_DEP_2) | instskip(NEXT) | instid1(VALU_DEP_2)
	v_min_u32_e32 v43, 32, v43
	v_cmp_eq_u32_e32 vcc_lo, 0, v45
	s_delay_alu instid0(VALU_DEP_2) | instskip(SKIP_1) | instid1(VALU_DEP_1)
	v_subrev_nc_u32_e32 v44, 28, v43
	v_sub_nc_u32_e32 v43, 29, v43
	v_dual_cndmask_b32 v43, v45, v43 :: v_dual_lshlrev_b32 v44, v44, v41
	v_lshlrev_b32_e32 v41, 24, v41
	s_delay_alu instid0(VALU_DEP_2) | instskip(NEXT) | instid1(VALU_DEP_3)
	v_and_b32_e32 v44, 7, v44
	v_lshl_add_u32 v43, v43, 23, 0x3b800000
	s_delay_alu instid0(VALU_DEP_3) | instskip(NEXT) | instid1(VALU_DEP_3)
	v_and_b32_e32 v41, 0x80000000, v41
	v_cndmask_b32_e32 v149, v149, v44, vcc_lo
	s_delay_alu instid0(VALU_DEP_1) | instskip(NEXT) | instid1(VALU_DEP_1)
	v_lshlrev_b32_e32 v149, 20, v149
	v_or3_b32 v149, v41, v43, v149
.LBB6_3983:                             ;   in Loop: Header=BB6_3373 Depth=2
	s_or_b32 exec_lo, exec_lo, s25
	s_delay_alu instid0(VALU_DEP_1) | instskip(NEXT) | instid1(VALU_DEP_1)
	v_add_f32_e32 v41, v42, v149
	v_and_b32_e32 v149, 0x7f800000, v41
	s_delay_alu instid0(VALU_DEP_1)
	v_cmp_ne_u32_e32 vcc_lo, 0x7f800000, v149
	v_mov_b32_e32 v149, 0x80
	s_and_saveexec_b32 s25, vcc_lo
	s_cbranch_execz .LBB6_3991
; %bb.3984:                             ;   in Loop: Header=BB6_3373 Depth=2
	v_mov_b32_e32 v149, 0
	s_mov_b32 s26, exec_lo
	v_cmpx_ne_u32_e32 0, v41
	s_cbranch_execz .LBB6_3990
; %bb.3985:                             ;   in Loop: Header=BB6_3373 Depth=2
	v_bfe_u32 v149, v41, 23, 8
	s_delay_alu instid0(VALU_DEP_1) | instskip(SKIP_1) | instid1(VALU_DEP_2)
	v_sub_nc_u32_e32 v43, 0x78, v149
	v_cmp_gt_u32_e32 vcc_lo, 0x79, v149
	v_dual_cndmask_b32 v43, 0, v43 :: v_dual_and_b32 v42, 0x7fffff, v41
	s_delay_alu instid0(VALU_DEP_1) | instskip(SKIP_2) | instid1(VALU_DEP_4)
	v_or_b32_e32 v44, 0x800000, v42
	v_cmp_eq_u32_e32 vcc_lo, 0, v149
	v_add_nc_u32_e32 v149, 0xffffff89, v149
	v_cndmask_b32_e64 v43, v43, 0x77, vcc_lo
	s_delay_alu instid0(VALU_DEP_4) | instskip(NEXT) | instid1(VALU_DEP_3)
	v_cndmask_b32_e32 v42, v44, v42, vcc_lo
	v_cndmask_b32_e64 v149, v149, 0xffffff8a, vcc_lo
	s_delay_alu instid0(VALU_DEP_3) | instskip(NEXT) | instid1(VALU_DEP_3)
	v_lshl_add_u32 v44, 0x100000, v43, -1
	v_lshrrev_b32_e32 v45, v43, v42
	v_lshlrev_b32_e64 v47, v43, 0x80000
	s_delay_alu instid0(VALU_DEP_4) | instskip(NEXT) | instid1(VALU_DEP_4)
	v_add_nc_u32_e32 v43, v43, v149
	v_and_b32_e32 v42, v44, v42
	s_delay_alu instid0(VALU_DEP_4) | instskip(NEXT) | instid1(VALU_DEP_2)
	v_bfe_u32 v46, v45, 20, 1
	v_cmp_eq_u32_e64 s11, v42, v47
	s_delay_alu instid0(VALU_DEP_2) | instskip(NEXT) | instid1(VALU_DEP_1)
	v_add_nc_u32_e32 v44, -1, v46
	v_cndmask_b32_e64 v42, 0, v44, s11
	v_lshrrev_b32_e32 v44, 23, v45
	s_mov_b32 s11, exec_lo
	s_delay_alu instid0(VALU_DEP_2) | instskip(NEXT) | instid1(VALU_DEP_2)
	v_add_nc_u32_e32 v42, v42, v45
	v_xor_b32_e32 v44, 1, v44
	s_delay_alu instid0(VALU_DEP_2) | instskip(NEXT) | instid1(VALU_DEP_1)
	v_and_b32_e32 v149, 0xfffff, v42
	v_add_nc_u32_e32 v42, v149, v45
                                        ; implicit-def: $vgpr149
	s_delay_alu instid0(VALU_DEP_3)
	v_cmpx_ne_u32_e64 v43, v44
	s_xor_b32 s11, exec_lo, s11
; %bb.3986:                             ;   in Loop: Header=BB6_3373 Depth=2
	s_delay_alu instid0(VALU_DEP_2) | instskip(SKIP_2) | instid1(VALU_DEP_2)
	v_cmp_lt_u32_e32 vcc_lo, 0xffffff, v42
	v_sub_nc_u32_e32 v149, v43, v44
	v_cndmask_b32_e64 v43, 0, 1, vcc_lo
	v_add_co_ci_u32_e32 v149, vcc_lo, 0, v149, vcc_lo
	s_delay_alu instid0(VALU_DEP_2)
	v_lshrrev_b32_e32 v42, v43, v42
; %bb.3987:                             ;   in Loop: Header=BB6_3373 Depth=2
	s_and_not1_saveexec_b32 s11, s11
; %bb.3988:                             ;   in Loop: Header=BB6_3373 Depth=2
	s_delay_alu instid0(VALU_DEP_1)
	v_bfe_u32 v149, v42, 23, 1
; %bb.3989:                             ;   in Loop: Header=BB6_3373 Depth=2
	s_or_b32 exec_lo, exec_lo, s11
	v_lshrrev_b32_e32 v42, 20, v42
	s_delay_alu instid0(VALU_DEP_2) | instskip(SKIP_2) | instid1(VALU_DEP_2)
	v_cmp_gt_i32_e32 vcc_lo, 16, v149
	v_lshrrev_b32_e32 v41, 24, v41
	v_min_i32_e32 v43, 15, v149
	v_dual_cndmask_b32 v42, 7, v42 :: v_dual_and_b32 v41, 0x80, v41
	s_delay_alu instid0(VALU_DEP_2) | instskip(NEXT) | instid1(VALU_DEP_2)
	v_lshlrev_b32_e32 v43, 3, v43
	v_or_b32_e32 v149, v149, v42
	s_delay_alu instid0(VALU_DEP_1) | instskip(SKIP_1) | instid1(VALU_DEP_1)
	v_cmp_ne_u32_e32 vcc_lo, 0, v149
	v_and_b32_e32 v44, 7, v42
	v_or3_b32 v41, v43, v41, v44
	s_delay_alu instid0(VALU_DEP_1)
	v_cndmask_b32_e32 v149, 0, v41, vcc_lo
.LBB6_3990:                             ;   in Loop: Header=BB6_3373 Depth=2
	s_or_b32 exec_lo, exec_lo, s26
.LBB6_3991:                             ;   in Loop: Header=BB6_3373 Depth=2
	s_delay_alu instid0(SALU_CYCLE_1) | instskip(SKIP_3) | instid1(VALU_DEP_1)
	s_or_b32 exec_lo, exec_lo, s25
	v_and_b32_e32 v42, 0xff, v148
	s_mov_b32 s11, 0
	s_mov_b32 s26, exec_lo
                                        ; implicit-def: $sgpr25
	v_cmpx_lt_i16_e32 0x7f, v42
	s_xor_b32 s26, exec_lo, s26
	s_cbranch_execnz .LBB6_4520
; %bb.3992:                             ;   in Loop: Header=BB6_3373 Depth=2
	s_or_saveexec_b32 s26, s26
	v_mov_b32_e32 v41, s25
	s_xor_b32 exec_lo, exec_lo, s26
	s_cbranch_execnz .LBB6_4523
.LBB6_3993:                             ;   in Loop: Header=BB6_3373 Depth=2
	s_or_b32 exec_lo, exec_lo, s26
	s_and_saveexec_b32 s25, s11
	s_cbranch_execz .LBB6_3995
.LBB6_3994:                             ;   in Loop: Header=BB6_3373 Depth=2
	v_lshrrev_b16 v44, 3, v148
	s_delay_alu instid0(VALU_DEP_1) | instskip(NEXT) | instid1(VALU_DEP_1)
	v_and_b32_e32 v44, 15, v44
	v_cmp_eq_u32_e32 vcc_lo, 0, v44
	v_and_b32_e32 v41, 7, v148
	s_delay_alu instid0(VALU_DEP_1) | instskip(NEXT) | instid1(VALU_DEP_1)
	v_clz_i32_u32_e32 v42, v41
	v_min_u32_e32 v42, 32, v42
	s_delay_alu instid0(VALU_DEP_1) | instskip(SKIP_1) | instid1(VALU_DEP_1)
	v_subrev_nc_u32_e32 v43, 28, v42
	v_sub_nc_u32_e32 v42, 29, v42
	v_dual_cndmask_b32 v42, v44, v42 :: v_dual_lshlrev_b32 v43, v43, v148
	v_lshlrev_b32_e32 v148, 24, v148
	s_delay_alu instid0(VALU_DEP_2) | instskip(NEXT) | instid1(VALU_DEP_3)
	v_and_b32_e32 v43, 7, v43
	v_lshl_add_u32 v42, v42, 23, 0x3b800000
	s_delay_alu instid0(VALU_DEP_2) | instskip(NEXT) | instid1(VALU_DEP_1)
	v_dual_cndmask_b32 v41, v41, v43 :: v_dual_and_b32 v148, 0x80000000, v148
	v_lshlrev_b32_e32 v41, 20, v41
	s_delay_alu instid0(VALU_DEP_1)
	v_or3_b32 v41, v148, v42, v41
.LBB6_3995:                             ;   in Loop: Header=BB6_3373 Depth=2
	s_or_b32 exec_lo, exec_lo, s25
	s_waitcnt vmcnt(17) lgkmcnt(17)
	v_and_b32_e32 v42, 0xff, v40
	s_mov_b32 s11, 0
	s_mov_b32 s26, exec_lo
                                        ; implicit-def: $sgpr25
	s_delay_alu instid0(VALU_DEP_1)
	v_cmpx_lt_i16_e32 0x7f, v42
	s_xor_b32 s26, exec_lo, s26
	s_cbranch_execnz .LBB6_4524
; %bb.3996:                             ;   in Loop: Header=BB6_3373 Depth=2
	s_or_saveexec_b32 s26, s26
	v_mov_b32_e32 v148, s25
	s_xor_b32 exec_lo, exec_lo, s26
	s_cbranch_execnz .LBB6_4527
.LBB6_3997:                             ;   in Loop: Header=BB6_3373 Depth=2
	s_or_b32 exec_lo, exec_lo, s26
	s_and_saveexec_b32 s25, s11
	s_cbranch_execz .LBB6_3999
.LBB6_3998:                             ;   in Loop: Header=BB6_3373 Depth=2
	v_and_b32_e32 v148, 7, v40
	v_lshrrev_b16 v44, 3, v40
	s_delay_alu instid0(VALU_DEP_2) | instskip(NEXT) | instid1(VALU_DEP_2)
	v_clz_i32_u32_e32 v42, v148
	v_and_b32_e32 v44, 15, v44
	s_delay_alu instid0(VALU_DEP_2) | instskip(NEXT) | instid1(VALU_DEP_2)
	v_min_u32_e32 v42, 32, v42
	v_cmp_eq_u32_e32 vcc_lo, 0, v44
	s_delay_alu instid0(VALU_DEP_2) | instskip(SKIP_1) | instid1(VALU_DEP_1)
	v_subrev_nc_u32_e32 v43, 28, v42
	v_sub_nc_u32_e32 v42, 29, v42
	v_dual_cndmask_b32 v42, v44, v42 :: v_dual_lshlrev_b32 v43, v43, v40
	v_lshlrev_b32_e32 v40, 24, v40
	s_delay_alu instid0(VALU_DEP_2) | instskip(NEXT) | instid1(VALU_DEP_3)
	v_and_b32_e32 v43, 7, v43
	v_lshl_add_u32 v42, v42, 23, 0x3b800000
	s_delay_alu instid0(VALU_DEP_3) | instskip(NEXT) | instid1(VALU_DEP_3)
	v_and_b32_e32 v40, 0x80000000, v40
	v_cndmask_b32_e32 v148, v148, v43, vcc_lo
	s_delay_alu instid0(VALU_DEP_1) | instskip(NEXT) | instid1(VALU_DEP_1)
	v_lshlrev_b32_e32 v148, 20, v148
	v_or3_b32 v148, v40, v42, v148
.LBB6_3999:                             ;   in Loop: Header=BB6_3373 Depth=2
	s_or_b32 exec_lo, exec_lo, s25
	s_delay_alu instid0(VALU_DEP_1) | instskip(NEXT) | instid1(VALU_DEP_1)
	v_add_f32_e32 v40, v41, v148
	v_and_b32_e32 v148, 0x7f800000, v40
	s_delay_alu instid0(VALU_DEP_1)
	v_cmp_ne_u32_e32 vcc_lo, 0x7f800000, v148
	v_mov_b32_e32 v148, 0x80
	s_and_saveexec_b32 s25, vcc_lo
	s_cbranch_execz .LBB6_4007
; %bb.4000:                             ;   in Loop: Header=BB6_3373 Depth=2
	v_mov_b32_e32 v148, 0
	s_mov_b32 s26, exec_lo
	v_cmpx_ne_u32_e32 0, v40
	s_cbranch_execz .LBB6_4006
; %bb.4001:                             ;   in Loop: Header=BB6_3373 Depth=2
	v_bfe_u32 v148, v40, 23, 8
	s_delay_alu instid0(VALU_DEP_1) | instskip(SKIP_1) | instid1(VALU_DEP_2)
	v_sub_nc_u32_e32 v42, 0x78, v148
	v_cmp_gt_u32_e32 vcc_lo, 0x79, v148
	v_dual_cndmask_b32 v42, 0, v42 :: v_dual_and_b32 v41, 0x7fffff, v40
	s_delay_alu instid0(VALU_DEP_1) | instskip(SKIP_2) | instid1(VALU_DEP_4)
	v_or_b32_e32 v43, 0x800000, v41
	v_cmp_eq_u32_e32 vcc_lo, 0, v148
	v_add_nc_u32_e32 v148, 0xffffff89, v148
	v_cndmask_b32_e64 v42, v42, 0x77, vcc_lo
	s_delay_alu instid0(VALU_DEP_4) | instskip(NEXT) | instid1(VALU_DEP_3)
	v_cndmask_b32_e32 v41, v43, v41, vcc_lo
	v_cndmask_b32_e64 v148, v148, 0xffffff8a, vcc_lo
	s_delay_alu instid0(VALU_DEP_3) | instskip(NEXT) | instid1(VALU_DEP_3)
	v_lshl_add_u32 v43, 0x100000, v42, -1
	v_lshrrev_b32_e32 v44, v42, v41
	v_lshlrev_b32_e64 v46, v42, 0x80000
	s_delay_alu instid0(VALU_DEP_4) | instskip(NEXT) | instid1(VALU_DEP_4)
	v_add_nc_u32_e32 v42, v42, v148
	v_and_b32_e32 v41, v43, v41
	s_delay_alu instid0(VALU_DEP_4) | instskip(NEXT) | instid1(VALU_DEP_2)
	v_bfe_u32 v45, v44, 20, 1
	v_cmp_eq_u32_e64 s11, v41, v46
	s_delay_alu instid0(VALU_DEP_2) | instskip(NEXT) | instid1(VALU_DEP_1)
	v_add_nc_u32_e32 v43, -1, v45
	v_cndmask_b32_e64 v41, 0, v43, s11
	v_lshrrev_b32_e32 v43, 23, v44
	s_mov_b32 s11, exec_lo
	s_delay_alu instid0(VALU_DEP_2) | instskip(NEXT) | instid1(VALU_DEP_2)
	v_add_nc_u32_e32 v41, v41, v44
	v_xor_b32_e32 v43, 1, v43
	s_delay_alu instid0(VALU_DEP_2) | instskip(NEXT) | instid1(VALU_DEP_1)
	v_and_b32_e32 v148, 0xfffff, v41
	v_add_nc_u32_e32 v41, v148, v44
                                        ; implicit-def: $vgpr148
	s_delay_alu instid0(VALU_DEP_3)
	v_cmpx_ne_u32_e64 v42, v43
	s_xor_b32 s11, exec_lo, s11
; %bb.4002:                             ;   in Loop: Header=BB6_3373 Depth=2
	s_delay_alu instid0(VALU_DEP_2) | instskip(SKIP_2) | instid1(VALU_DEP_2)
	v_cmp_lt_u32_e32 vcc_lo, 0xffffff, v41
	v_sub_nc_u32_e32 v148, v42, v43
	v_cndmask_b32_e64 v42, 0, 1, vcc_lo
	v_add_co_ci_u32_e32 v148, vcc_lo, 0, v148, vcc_lo
	s_delay_alu instid0(VALU_DEP_2)
	v_lshrrev_b32_e32 v41, v42, v41
; %bb.4003:                             ;   in Loop: Header=BB6_3373 Depth=2
	s_and_not1_saveexec_b32 s11, s11
; %bb.4004:                             ;   in Loop: Header=BB6_3373 Depth=2
	s_delay_alu instid0(VALU_DEP_1)
	v_bfe_u32 v148, v41, 23, 1
; %bb.4005:                             ;   in Loop: Header=BB6_3373 Depth=2
	s_or_b32 exec_lo, exec_lo, s11
	v_lshrrev_b32_e32 v41, 20, v41
	s_delay_alu instid0(VALU_DEP_2) | instskip(SKIP_2) | instid1(VALU_DEP_2)
	v_cmp_gt_i32_e32 vcc_lo, 16, v148
	v_lshrrev_b32_e32 v40, 24, v40
	v_min_i32_e32 v42, 15, v148
	v_dual_cndmask_b32 v41, 7, v41 :: v_dual_and_b32 v40, 0x80, v40
	s_delay_alu instid0(VALU_DEP_2) | instskip(NEXT) | instid1(VALU_DEP_2)
	v_lshlrev_b32_e32 v42, 3, v42
	v_or_b32_e32 v148, v148, v41
	s_delay_alu instid0(VALU_DEP_1) | instskip(SKIP_1) | instid1(VALU_DEP_1)
	v_cmp_ne_u32_e32 vcc_lo, 0, v148
	v_and_b32_e32 v43, 7, v41
	v_or3_b32 v40, v42, v40, v43
	s_delay_alu instid0(VALU_DEP_1)
	v_cndmask_b32_e32 v148, 0, v40, vcc_lo
.LBB6_4006:                             ;   in Loop: Header=BB6_3373 Depth=2
	s_or_b32 exec_lo, exec_lo, s26
.LBB6_4007:                             ;   in Loop: Header=BB6_3373 Depth=2
	s_delay_alu instid0(SALU_CYCLE_1) | instskip(SKIP_3) | instid1(VALU_DEP_1)
	s_or_b32 exec_lo, exec_lo, s25
	v_and_b32_e32 v41, 0xff, v146
	s_mov_b32 s11, 0
	s_mov_b32 s26, exec_lo
                                        ; implicit-def: $sgpr25
	v_cmpx_lt_i16_e32 0x7f, v41
	s_xor_b32 s26, exec_lo, s26
	s_cbranch_execnz .LBB6_4528
; %bb.4008:                             ;   in Loop: Header=BB6_3373 Depth=2
	s_or_saveexec_b32 s26, s26
	v_mov_b32_e32 v40, s25
	s_xor_b32 exec_lo, exec_lo, s26
	s_cbranch_execnz .LBB6_4531
.LBB6_4009:                             ;   in Loop: Header=BB6_3373 Depth=2
	s_or_b32 exec_lo, exec_lo, s26
	s_and_saveexec_b32 s25, s11
	s_cbranch_execz .LBB6_4011
.LBB6_4010:                             ;   in Loop: Header=BB6_3373 Depth=2
	v_lshrrev_b16 v43, 3, v146
	s_delay_alu instid0(VALU_DEP_1) | instskip(NEXT) | instid1(VALU_DEP_1)
	v_and_b32_e32 v43, 15, v43
	v_cmp_eq_u32_e32 vcc_lo, 0, v43
	v_and_b32_e32 v40, 7, v146
	s_delay_alu instid0(VALU_DEP_1) | instskip(NEXT) | instid1(VALU_DEP_1)
	v_clz_i32_u32_e32 v41, v40
	v_min_u32_e32 v41, 32, v41
	s_delay_alu instid0(VALU_DEP_1) | instskip(SKIP_1) | instid1(VALU_DEP_1)
	v_subrev_nc_u32_e32 v42, 28, v41
	v_sub_nc_u32_e32 v41, 29, v41
	v_dual_cndmask_b32 v41, v43, v41 :: v_dual_lshlrev_b32 v42, v42, v146
	v_lshlrev_b32_e32 v146, 24, v146
	s_delay_alu instid0(VALU_DEP_2) | instskip(NEXT) | instid1(VALU_DEP_3)
	v_and_b32_e32 v42, 7, v42
	v_lshl_add_u32 v41, v41, 23, 0x3b800000
	s_delay_alu instid0(VALU_DEP_3) | instskip(NEXT) | instid1(VALU_DEP_3)
	v_and_b32_e32 v146, 0x80000000, v146
	v_cndmask_b32_e32 v40, v40, v42, vcc_lo
	s_delay_alu instid0(VALU_DEP_1) | instskip(NEXT) | instid1(VALU_DEP_1)
	v_lshlrev_b32_e32 v40, 20, v40
	v_or3_b32 v40, v146, v41, v40
.LBB6_4011:                             ;   in Loop: Header=BB6_3373 Depth=2
	s_or_b32 exec_lo, exec_lo, s25
	s_waitcnt vmcnt(16) lgkmcnt(16)
	v_and_b32_e32 v41, 0xff, v183
	s_mov_b32 s11, 0
	s_mov_b32 s26, exec_lo
                                        ; implicit-def: $sgpr25
	s_delay_alu instid0(VALU_DEP_1)
	v_cmpx_lt_i16_e32 0x7f, v41
	s_xor_b32 s26, exec_lo, s26
	s_cbranch_execnz .LBB6_4532
; %bb.4012:                             ;   in Loop: Header=BB6_3373 Depth=2
	s_or_saveexec_b32 s26, s26
	v_mov_b32_e32 v146, s25
	s_xor_b32 exec_lo, exec_lo, s26
	s_cbranch_execnz .LBB6_4535
.LBB6_4013:                             ;   in Loop: Header=BB6_3373 Depth=2
	s_or_b32 exec_lo, exec_lo, s26
	s_and_saveexec_b32 s25, s11
	s_cbranch_execz .LBB6_4015
.LBB6_4014:                             ;   in Loop: Header=BB6_3373 Depth=2
	v_lshrrev_b16 v43, 3, v183
	s_delay_alu instid0(VALU_DEP_1) | instskip(NEXT) | instid1(VALU_DEP_1)
	v_and_b32_e32 v43, 15, v43
	v_cmp_eq_u32_e32 vcc_lo, 0, v43
	v_and_b32_e32 v146, 7, v183
	s_delay_alu instid0(VALU_DEP_1) | instskip(NEXT) | instid1(VALU_DEP_1)
	v_clz_i32_u32_e32 v41, v146
	v_min_u32_e32 v41, 32, v41
	s_delay_alu instid0(VALU_DEP_1) | instskip(SKIP_1) | instid1(VALU_DEP_1)
	v_subrev_nc_u32_e32 v42, 28, v41
	v_sub_nc_u32_e32 v41, 29, v41
	v_dual_cndmask_b32 v41, v43, v41 :: v_dual_lshlrev_b32 v42, v42, v183
	v_lshlrev_b32_e32 v183, 24, v183
	s_delay_alu instid0(VALU_DEP_2) | instskip(NEXT) | instid1(VALU_DEP_3)
	v_and_b32_e32 v42, 7, v42
	v_lshl_add_u32 v41, v41, 23, 0x3b800000
	s_delay_alu instid0(VALU_DEP_2) | instskip(NEXT) | instid1(VALU_DEP_1)
	v_dual_cndmask_b32 v146, v146, v42 :: v_dual_and_b32 v183, 0x80000000, v183
	v_lshlrev_b32_e32 v146, 20, v146
	s_delay_alu instid0(VALU_DEP_1)
	v_or3_b32 v146, v183, v41, v146
.LBB6_4015:                             ;   in Loop: Header=BB6_3373 Depth=2
	s_or_b32 exec_lo, exec_lo, s25
	s_delay_alu instid0(VALU_DEP_1) | instskip(NEXT) | instid1(VALU_DEP_1)
	v_add_f32_e32 v183, v40, v146
	v_and_b32_e32 v146, 0x7f800000, v183
	s_delay_alu instid0(VALU_DEP_1)
	v_cmp_ne_u32_e32 vcc_lo, 0x7f800000, v146
	v_mov_b32_e32 v146, 0x80
	s_and_saveexec_b32 s25, vcc_lo
	s_cbranch_execz .LBB6_4023
; %bb.4016:                             ;   in Loop: Header=BB6_3373 Depth=2
	v_mov_b32_e32 v146, 0
	s_mov_b32 s26, exec_lo
	v_cmpx_ne_u32_e32 0, v183
	s_cbranch_execz .LBB6_4022
; %bb.4017:                             ;   in Loop: Header=BB6_3373 Depth=2
	v_bfe_u32 v146, v183, 23, 8
	s_delay_alu instid0(VALU_DEP_1) | instskip(SKIP_1) | instid1(VALU_DEP_2)
	v_sub_nc_u32_e32 v41, 0x78, v146
	v_cmp_gt_u32_e32 vcc_lo, 0x79, v146
	v_dual_cndmask_b32 v41, 0, v41 :: v_dual_and_b32 v40, 0x7fffff, v183
	s_delay_alu instid0(VALU_DEP_1) | instskip(SKIP_2) | instid1(VALU_DEP_4)
	v_or_b32_e32 v42, 0x800000, v40
	v_cmp_eq_u32_e32 vcc_lo, 0, v146
	v_add_nc_u32_e32 v146, 0xffffff89, v146
	v_cndmask_b32_e64 v41, v41, 0x77, vcc_lo
	s_delay_alu instid0(VALU_DEP_2) | instskip(SKIP_1) | instid1(VALU_DEP_3)
	v_cndmask_b32_e64 v146, v146, 0xffffff8a, vcc_lo
	v_cndmask_b32_e32 v40, v42, v40, vcc_lo
	v_lshl_add_u32 v42, 0x100000, v41, -1
	v_lshlrev_b32_e64 v45, v41, 0x80000
	s_delay_alu instid0(VALU_DEP_3) | instskip(SKIP_1) | instid1(VALU_DEP_4)
	v_lshrrev_b32_e32 v43, v41, v40
	v_add_nc_u32_e32 v41, v41, v146
	v_and_b32_e32 v40, v42, v40
	s_delay_alu instid0(VALU_DEP_3) | instskip(NEXT) | instid1(VALU_DEP_2)
	v_bfe_u32 v44, v43, 20, 1
	v_cmp_eq_u32_e64 s11, v40, v45
	s_delay_alu instid0(VALU_DEP_2) | instskip(NEXT) | instid1(VALU_DEP_1)
	v_add_nc_u32_e32 v42, -1, v44
	v_cndmask_b32_e64 v40, 0, v42, s11
	v_lshrrev_b32_e32 v42, 23, v43
	s_mov_b32 s11, exec_lo
	s_delay_alu instid0(VALU_DEP_2) | instskip(NEXT) | instid1(VALU_DEP_2)
	v_add_nc_u32_e32 v40, v40, v43
	v_xor_b32_e32 v42, 1, v42
	s_delay_alu instid0(VALU_DEP_2) | instskip(NEXT) | instid1(VALU_DEP_1)
	v_and_b32_e32 v146, 0xfffff, v40
	v_add_nc_u32_e32 v40, v146, v43
                                        ; implicit-def: $vgpr146
	s_delay_alu instid0(VALU_DEP_3)
	v_cmpx_ne_u32_e64 v41, v42
	s_xor_b32 s11, exec_lo, s11
; %bb.4018:                             ;   in Loop: Header=BB6_3373 Depth=2
	s_delay_alu instid0(VALU_DEP_2) | instskip(SKIP_2) | instid1(VALU_DEP_2)
	v_cmp_lt_u32_e32 vcc_lo, 0xffffff, v40
	v_sub_nc_u32_e32 v146, v41, v42
	v_cndmask_b32_e64 v41, 0, 1, vcc_lo
	v_add_co_ci_u32_e32 v146, vcc_lo, 0, v146, vcc_lo
	s_delay_alu instid0(VALU_DEP_2)
	v_lshrrev_b32_e32 v40, v41, v40
; %bb.4019:                             ;   in Loop: Header=BB6_3373 Depth=2
	s_and_not1_saveexec_b32 s11, s11
; %bb.4020:                             ;   in Loop: Header=BB6_3373 Depth=2
	s_delay_alu instid0(VALU_DEP_1)
	v_bfe_u32 v146, v40, 23, 1
; %bb.4021:                             ;   in Loop: Header=BB6_3373 Depth=2
	s_or_b32 exec_lo, exec_lo, s11
	v_lshrrev_b32_e32 v40, 20, v40
	s_delay_alu instid0(VALU_DEP_2) | instskip(SKIP_2) | instid1(VALU_DEP_2)
	v_cmp_gt_i32_e32 vcc_lo, 16, v146
	v_lshrrev_b32_e32 v183, 24, v183
	v_min_i32_e32 v41, 15, v146
	v_dual_cndmask_b32 v40, 7, v40 :: v_dual_and_b32 v183, 0x80, v183
	s_delay_alu instid0(VALU_DEP_1) | instskip(SKIP_1) | instid1(VALU_DEP_2)
	v_or_b32_e32 v146, v146, v40
	v_and_b32_e32 v42, 7, v40
	v_cmp_ne_u32_e32 vcc_lo, 0, v146
	v_lshlrev_b32_e32 v41, 3, v41
	s_delay_alu instid0(VALU_DEP_1) | instskip(NEXT) | instid1(VALU_DEP_1)
	v_or3_b32 v183, v41, v183, v42
	v_cndmask_b32_e32 v146, 0, v183, vcc_lo
.LBB6_4022:                             ;   in Loop: Header=BB6_3373 Depth=2
	s_or_b32 exec_lo, exec_lo, s26
.LBB6_4023:                             ;   in Loop: Header=BB6_3373 Depth=2
	s_delay_alu instid0(SALU_CYCLE_1) | instskip(SKIP_3) | instid1(VALU_DEP_1)
	s_or_b32 exec_lo, exec_lo, s25
	v_and_b32_e32 v40, 0xff, v144
	s_mov_b32 s11, 0
	s_mov_b32 s26, exec_lo
                                        ; implicit-def: $sgpr25
	v_cmpx_lt_i16_e32 0x7f, v40
	s_xor_b32 s26, exec_lo, s26
	s_cbranch_execnz .LBB6_4536
; %bb.4024:                             ;   in Loop: Header=BB6_3373 Depth=2
	s_or_saveexec_b32 s26, s26
	v_mov_b32_e32 v183, s25
	s_xor_b32 exec_lo, exec_lo, s26
	s_cbranch_execnz .LBB6_4539
.LBB6_4025:                             ;   in Loop: Header=BB6_3373 Depth=2
	s_or_b32 exec_lo, exec_lo, s26
	s_and_saveexec_b32 s25, s11
	s_cbranch_execz .LBB6_4027
.LBB6_4026:                             ;   in Loop: Header=BB6_3373 Depth=2
	v_and_b32_e32 v183, 7, v144
	v_lshrrev_b16 v42, 3, v144
	s_delay_alu instid0(VALU_DEP_2) | instskip(NEXT) | instid1(VALU_DEP_1)
	v_clz_i32_u32_e32 v40, v183
	v_min_u32_e32 v40, 32, v40
	s_delay_alu instid0(VALU_DEP_1) | instskip(SKIP_1) | instid1(VALU_DEP_2)
	v_subrev_nc_u32_e32 v41, 28, v40
	v_sub_nc_u32_e32 v40, 29, v40
	v_lshlrev_b32_e32 v41, v41, v144
	v_lshlrev_b32_e32 v144, 24, v144
	s_delay_alu instid0(VALU_DEP_2) | instskip(SKIP_1) | instid1(VALU_DEP_3)
	v_and_b32_e32 v41, 7, v41
	v_and_b32_e32 v42, 15, v42
	;; [unrolled: 1-line block ×3, first 2 shown]
	s_delay_alu instid0(VALU_DEP_2) | instskip(NEXT) | instid1(VALU_DEP_4)
	v_cmp_eq_u32_e32 vcc_lo, 0, v42
	v_dual_cndmask_b32 v183, v183, v41 :: v_dual_cndmask_b32 v40, v42, v40
	s_delay_alu instid0(VALU_DEP_1) | instskip(NEXT) | instid1(VALU_DEP_2)
	v_lshlrev_b32_e32 v183, 20, v183
	v_lshl_add_u32 v40, v40, 23, 0x3b800000
	s_delay_alu instid0(VALU_DEP_1)
	v_or3_b32 v183, v144, v40, v183
.LBB6_4027:                             ;   in Loop: Header=BB6_3373 Depth=2
	s_or_b32 exec_lo, exec_lo, s25
	s_waitcnt vmcnt(15) lgkmcnt(15)
	v_and_b32_e32 v40, 0xff, v182
	s_mov_b32 s11, 0
	s_mov_b32 s26, exec_lo
                                        ; implicit-def: $sgpr25
	s_delay_alu instid0(VALU_DEP_1)
	v_cmpx_lt_i16_e32 0x7f, v40
	s_xor_b32 s26, exec_lo, s26
	s_cbranch_execnz .LBB6_4540
; %bb.4028:                             ;   in Loop: Header=BB6_3373 Depth=2
	s_or_saveexec_b32 s26, s26
	v_mov_b32_e32 v144, s25
	s_xor_b32 exec_lo, exec_lo, s26
	s_cbranch_execnz .LBB6_4543
.LBB6_4029:                             ;   in Loop: Header=BB6_3373 Depth=2
	s_or_b32 exec_lo, exec_lo, s26
	s_and_saveexec_b32 s25, s11
	s_cbranch_execz .LBB6_4031
.LBB6_4030:                             ;   in Loop: Header=BB6_3373 Depth=2
	v_and_b32_e32 v144, 7, v182
	v_lshrrev_b16 v42, 3, v182
	s_delay_alu instid0(VALU_DEP_2) | instskip(NEXT) | instid1(VALU_DEP_2)
	v_clz_i32_u32_e32 v40, v144
	v_and_b32_e32 v42, 15, v42
	s_delay_alu instid0(VALU_DEP_2) | instskip(NEXT) | instid1(VALU_DEP_2)
	v_min_u32_e32 v40, 32, v40
	v_cmp_eq_u32_e32 vcc_lo, 0, v42
	s_delay_alu instid0(VALU_DEP_2) | instskip(SKIP_1) | instid1(VALU_DEP_1)
	v_subrev_nc_u32_e32 v41, 28, v40
	v_sub_nc_u32_e32 v40, 29, v40
	v_dual_cndmask_b32 v40, v42, v40 :: v_dual_lshlrev_b32 v41, v41, v182
	v_lshlrev_b32_e32 v182, 24, v182
	s_delay_alu instid0(VALU_DEP_2) | instskip(NEXT) | instid1(VALU_DEP_3)
	v_and_b32_e32 v41, 7, v41
	v_lshl_add_u32 v40, v40, 23, 0x3b800000
	s_delay_alu instid0(VALU_DEP_3) | instskip(NEXT) | instid1(VALU_DEP_3)
	v_and_b32_e32 v182, 0x80000000, v182
	v_cndmask_b32_e32 v144, v144, v41, vcc_lo
	s_delay_alu instid0(VALU_DEP_1) | instskip(NEXT) | instid1(VALU_DEP_1)
	v_lshlrev_b32_e32 v144, 20, v144
	v_or3_b32 v144, v182, v40, v144
.LBB6_4031:                             ;   in Loop: Header=BB6_3373 Depth=2
	s_or_b32 exec_lo, exec_lo, s25
	s_delay_alu instid0(VALU_DEP_1) | instskip(NEXT) | instid1(VALU_DEP_1)
	v_add_f32_e32 v182, v183, v144
	v_and_b32_e32 v144, 0x7f800000, v182
	s_delay_alu instid0(VALU_DEP_1)
	v_cmp_ne_u32_e32 vcc_lo, 0x7f800000, v144
	v_mov_b32_e32 v144, 0x80
	s_and_saveexec_b32 s25, vcc_lo
	s_cbranch_execz .LBB6_4039
; %bb.4032:                             ;   in Loop: Header=BB6_3373 Depth=2
	v_mov_b32_e32 v144, 0
	s_mov_b32 s26, exec_lo
	v_cmpx_ne_u32_e32 0, v182
	s_cbranch_execz .LBB6_4038
; %bb.4033:                             ;   in Loop: Header=BB6_3373 Depth=2
	v_bfe_u32 v144, v182, 23, 8
	s_delay_alu instid0(VALU_DEP_1) | instskip(SKIP_1) | instid1(VALU_DEP_2)
	v_sub_nc_u32_e32 v40, 0x78, v144
	v_cmp_gt_u32_e32 vcc_lo, 0x79, v144
	v_dual_cndmask_b32 v40, 0, v40 :: v_dual_and_b32 v183, 0x7fffff, v182
	s_delay_alu instid0(VALU_DEP_1) | instskip(SKIP_2) | instid1(VALU_DEP_4)
	v_or_b32_e32 v41, 0x800000, v183
	v_cmp_eq_u32_e32 vcc_lo, 0, v144
	v_add_nc_u32_e32 v144, 0xffffff89, v144
	v_cndmask_b32_e64 v40, v40, 0x77, vcc_lo
	s_delay_alu instid0(VALU_DEP_4) | instskip(NEXT) | instid1(VALU_DEP_3)
	v_cndmask_b32_e32 v183, v41, v183, vcc_lo
	v_cndmask_b32_e64 v144, v144, 0xffffff8a, vcc_lo
	s_delay_alu instid0(VALU_DEP_3) | instskip(NEXT) | instid1(VALU_DEP_3)
	v_lshl_add_u32 v41, 0x100000, v40, -1
	v_lshrrev_b32_e32 v42, v40, v183
	v_lshlrev_b32_e64 v44, v40, 0x80000
	s_delay_alu instid0(VALU_DEP_4) | instskip(NEXT) | instid1(VALU_DEP_4)
	v_add_nc_u32_e32 v40, v40, v144
	v_and_b32_e32 v183, v41, v183
	s_delay_alu instid0(VALU_DEP_4) | instskip(NEXT) | instid1(VALU_DEP_2)
	v_bfe_u32 v43, v42, 20, 1
	v_cmp_eq_u32_e64 s11, v183, v44
	s_delay_alu instid0(VALU_DEP_2) | instskip(NEXT) | instid1(VALU_DEP_1)
	v_add_nc_u32_e32 v41, -1, v43
	v_cndmask_b32_e64 v183, 0, v41, s11
	v_lshrrev_b32_e32 v41, 23, v42
	s_mov_b32 s11, exec_lo
	s_delay_alu instid0(VALU_DEP_2) | instskip(NEXT) | instid1(VALU_DEP_2)
	v_add_nc_u32_e32 v183, v183, v42
	v_xor_b32_e32 v41, 1, v41
	s_delay_alu instid0(VALU_DEP_2) | instskip(NEXT) | instid1(VALU_DEP_1)
	v_and_b32_e32 v144, 0xfffff, v183
	v_add_nc_u32_e32 v183, v144, v42
                                        ; implicit-def: $vgpr144
	s_delay_alu instid0(VALU_DEP_3)
	v_cmpx_ne_u32_e64 v40, v41
	s_xor_b32 s11, exec_lo, s11
; %bb.4034:                             ;   in Loop: Header=BB6_3373 Depth=2
	s_delay_alu instid0(VALU_DEP_2) | instskip(SKIP_2) | instid1(VALU_DEP_2)
	v_cmp_lt_u32_e32 vcc_lo, 0xffffff, v183
	v_sub_nc_u32_e32 v144, v40, v41
	v_cndmask_b32_e64 v40, 0, 1, vcc_lo
	v_add_co_ci_u32_e32 v144, vcc_lo, 0, v144, vcc_lo
	s_delay_alu instid0(VALU_DEP_2)
	v_lshrrev_b32_e32 v183, v40, v183
; %bb.4035:                             ;   in Loop: Header=BB6_3373 Depth=2
	s_and_not1_saveexec_b32 s11, s11
; %bb.4036:                             ;   in Loop: Header=BB6_3373 Depth=2
	s_delay_alu instid0(VALU_DEP_1)
	v_bfe_u32 v144, v183, 23, 1
; %bb.4037:                             ;   in Loop: Header=BB6_3373 Depth=2
	s_or_b32 exec_lo, exec_lo, s11
	v_lshrrev_b32_e32 v183, 20, v183
	s_delay_alu instid0(VALU_DEP_2) | instskip(SKIP_2) | instid1(VALU_DEP_2)
	v_cmp_gt_i32_e32 vcc_lo, 16, v144
	v_lshrrev_b32_e32 v182, 24, v182
	v_min_i32_e32 v40, 15, v144
	v_dual_cndmask_b32 v183, 7, v183 :: v_dual_and_b32 v182, 0x80, v182
	s_delay_alu instid0(VALU_DEP_2) | instskip(NEXT) | instid1(VALU_DEP_2)
	v_lshlrev_b32_e32 v40, 3, v40
	v_or_b32_e32 v144, v144, v183
	s_delay_alu instid0(VALU_DEP_1) | instskip(SKIP_1) | instid1(VALU_DEP_1)
	v_cmp_ne_u32_e32 vcc_lo, 0, v144
	v_and_b32_e32 v41, 7, v183
	v_or3_b32 v182, v40, v182, v41
	s_delay_alu instid0(VALU_DEP_1)
	v_cndmask_b32_e32 v144, 0, v182, vcc_lo
.LBB6_4038:                             ;   in Loop: Header=BB6_3373 Depth=2
	s_or_b32 exec_lo, exec_lo, s26
.LBB6_4039:                             ;   in Loop: Header=BB6_3373 Depth=2
	s_delay_alu instid0(SALU_CYCLE_1) | instskip(SKIP_3) | instid1(VALU_DEP_1)
	s_or_b32 exec_lo, exec_lo, s25
	v_and_b32_e32 v183, 0xff, v135
	s_mov_b32 s11, 0
	s_mov_b32 s26, exec_lo
                                        ; implicit-def: $sgpr25
	v_cmpx_lt_i16_e64 0x7f, v183
	s_xor_b32 s26, exec_lo, s26
	s_cbranch_execnz .LBB6_4544
; %bb.4040:                             ;   in Loop: Header=BB6_3373 Depth=2
	s_or_saveexec_b32 s26, s26
	v_mov_b32_e32 v182, s25
	s_xor_b32 exec_lo, exec_lo, s26
	s_cbranch_execnz .LBB6_4547
.LBB6_4041:                             ;   in Loop: Header=BB6_3373 Depth=2
	s_or_b32 exec_lo, exec_lo, s26
	s_and_saveexec_b32 s25, s11
	s_cbranch_execz .LBB6_4043
.LBB6_4042:                             ;   in Loop: Header=BB6_3373 Depth=2
	v_and_b32_e32 v182, 7, v135
	v_lshrrev_b16 v41, 3, v135
	s_delay_alu instid0(VALU_DEP_2) | instskip(NEXT) | instid1(VALU_DEP_1)
	v_clz_i32_u32_e32 v183, v182
	v_min_u32_e32 v183, 32, v183
	s_delay_alu instid0(VALU_DEP_1) | instskip(SKIP_1) | instid1(VALU_DEP_2)
	v_subrev_nc_u32_e32 v40, 28, v183
	v_sub_nc_u32_e32 v183, 29, v183
	v_lshlrev_b32_e32 v40, v40, v135
	v_lshlrev_b32_e32 v135, 24, v135
	s_delay_alu instid0(VALU_DEP_2) | instskip(SKIP_1) | instid1(VALU_DEP_3)
	v_and_b32_e32 v40, 7, v40
	v_and_b32_e32 v41, 15, v41
	;; [unrolled: 1-line block ×3, first 2 shown]
	s_delay_alu instid0(VALU_DEP_2) | instskip(NEXT) | instid1(VALU_DEP_4)
	v_cmp_eq_u32_e32 vcc_lo, 0, v41
	v_dual_cndmask_b32 v182, v182, v40 :: v_dual_cndmask_b32 v183, v41, v183
	s_delay_alu instid0(VALU_DEP_1) | instskip(NEXT) | instid1(VALU_DEP_2)
	v_lshlrev_b32_e32 v182, 20, v182
	v_lshl_add_u32 v183, v183, 23, 0x3b800000
	s_delay_alu instid0(VALU_DEP_1)
	v_or3_b32 v182, v135, v183, v182
.LBB6_4043:                             ;   in Loop: Header=BB6_3373 Depth=2
	s_or_b32 exec_lo, exec_lo, s25
	s_waitcnt vmcnt(14) lgkmcnt(14)
	v_and_b32_e32 v183, 0xff, v181
	s_mov_b32 s11, 0
	s_mov_b32 s26, exec_lo
                                        ; implicit-def: $sgpr25
	s_delay_alu instid0(VALU_DEP_1)
	v_cmpx_lt_i16_e64 0x7f, v183
	s_xor_b32 s26, exec_lo, s26
	s_cbranch_execnz .LBB6_4548
; %bb.4044:                             ;   in Loop: Header=BB6_3373 Depth=2
	s_or_saveexec_b32 s26, s26
	v_mov_b32_e32 v135, s25
	s_xor_b32 exec_lo, exec_lo, s26
	s_cbranch_execnz .LBB6_4551
.LBB6_4045:                             ;   in Loop: Header=BB6_3373 Depth=2
	s_or_b32 exec_lo, exec_lo, s26
	s_and_saveexec_b32 s25, s11
	s_cbranch_execz .LBB6_4047
.LBB6_4046:                             ;   in Loop: Header=BB6_3373 Depth=2
	v_and_b32_e32 v135, 7, v181
	v_lshrrev_b16 v41, 3, v181
	s_delay_alu instid0(VALU_DEP_2) | instskip(NEXT) | instid1(VALU_DEP_2)
	v_clz_i32_u32_e32 v183, v135
	v_and_b32_e32 v41, 15, v41
	s_delay_alu instid0(VALU_DEP_2) | instskip(NEXT) | instid1(VALU_DEP_2)
	v_min_u32_e32 v183, 32, v183
	v_cmp_eq_u32_e32 vcc_lo, 0, v41
	s_delay_alu instid0(VALU_DEP_2) | instskip(SKIP_1) | instid1(VALU_DEP_1)
	v_subrev_nc_u32_e32 v40, 28, v183
	v_sub_nc_u32_e32 v183, 29, v183
	v_dual_cndmask_b32 v183, v41, v183 :: v_dual_lshlrev_b32 v40, v40, v181
	v_lshlrev_b32_e32 v181, 24, v181
	s_delay_alu instid0(VALU_DEP_2) | instskip(NEXT) | instid1(VALU_DEP_3)
	v_and_b32_e32 v40, 7, v40
	v_lshl_add_u32 v183, v183, 23, 0x3b800000
	s_delay_alu instid0(VALU_DEP_3) | instskip(NEXT) | instid1(VALU_DEP_3)
	v_and_b32_e32 v181, 0x80000000, v181
	v_cndmask_b32_e32 v135, v135, v40, vcc_lo
	s_delay_alu instid0(VALU_DEP_1) | instskip(NEXT) | instid1(VALU_DEP_1)
	v_lshlrev_b32_e32 v135, 20, v135
	v_or3_b32 v135, v181, v183, v135
.LBB6_4047:                             ;   in Loop: Header=BB6_3373 Depth=2
	s_or_b32 exec_lo, exec_lo, s25
	s_delay_alu instid0(VALU_DEP_1) | instskip(NEXT) | instid1(VALU_DEP_1)
	v_add_f32_e32 v181, v182, v135
	v_and_b32_e32 v135, 0x7f800000, v181
	s_delay_alu instid0(VALU_DEP_1)
	v_cmp_ne_u32_e32 vcc_lo, 0x7f800000, v135
	v_mov_b32_e32 v135, 0x80
	s_and_saveexec_b32 s25, vcc_lo
	s_cbranch_execz .LBB6_4055
; %bb.4048:                             ;   in Loop: Header=BB6_3373 Depth=2
	v_mov_b32_e32 v135, 0
	s_mov_b32 s26, exec_lo
	v_cmpx_ne_u32_e32 0, v181
	s_cbranch_execz .LBB6_4054
; %bb.4049:                             ;   in Loop: Header=BB6_3373 Depth=2
	v_bfe_u32 v135, v181, 23, 8
	s_delay_alu instid0(VALU_DEP_1) | instskip(SKIP_1) | instid1(VALU_DEP_2)
	v_sub_nc_u32_e32 v183, 0x78, v135
	v_cmp_gt_u32_e32 vcc_lo, 0x79, v135
	v_dual_cndmask_b32 v183, 0, v183 :: v_dual_and_b32 v182, 0x7fffff, v181
	s_delay_alu instid0(VALU_DEP_1) | instskip(SKIP_2) | instid1(VALU_DEP_4)
	v_or_b32_e32 v40, 0x800000, v182
	v_cmp_eq_u32_e32 vcc_lo, 0, v135
	v_add_nc_u32_e32 v135, 0xffffff89, v135
	v_cndmask_b32_e64 v183, v183, 0x77, vcc_lo
	s_delay_alu instid0(VALU_DEP_4) | instskip(NEXT) | instid1(VALU_DEP_3)
	v_cndmask_b32_e32 v182, v40, v182, vcc_lo
	v_cndmask_b32_e64 v135, v135, 0xffffff8a, vcc_lo
	s_delay_alu instid0(VALU_DEP_3) | instskip(NEXT) | instid1(VALU_DEP_3)
	v_lshl_add_u32 v40, 0x100000, v183, -1
	v_lshrrev_b32_e32 v41, v183, v182
	v_lshlrev_b32_e64 v43, v183, 0x80000
	s_delay_alu instid0(VALU_DEP_4) | instskip(NEXT) | instid1(VALU_DEP_4)
	v_add_nc_u32_e32 v183, v183, v135
	v_and_b32_e32 v182, v40, v182
	s_delay_alu instid0(VALU_DEP_4) | instskip(NEXT) | instid1(VALU_DEP_2)
	v_bfe_u32 v42, v41, 20, 1
	v_cmp_eq_u32_e64 s11, v182, v43
	s_delay_alu instid0(VALU_DEP_2) | instskip(NEXT) | instid1(VALU_DEP_1)
	v_add_nc_u32_e32 v40, -1, v42
	v_cndmask_b32_e64 v182, 0, v40, s11
	v_lshrrev_b32_e32 v40, 23, v41
	s_mov_b32 s11, exec_lo
	s_delay_alu instid0(VALU_DEP_2) | instskip(NEXT) | instid1(VALU_DEP_2)
	v_add_nc_u32_e32 v182, v182, v41
	v_xor_b32_e32 v40, 1, v40
	s_delay_alu instid0(VALU_DEP_2) | instskip(NEXT) | instid1(VALU_DEP_1)
	v_and_b32_e32 v135, 0xfffff, v182
	v_add_nc_u32_e32 v182, v135, v41
                                        ; implicit-def: $vgpr135
	s_delay_alu instid0(VALU_DEP_3)
	v_cmpx_ne_u32_e64 v183, v40
	s_xor_b32 s11, exec_lo, s11
; %bb.4050:                             ;   in Loop: Header=BB6_3373 Depth=2
	s_delay_alu instid0(VALU_DEP_2) | instskip(SKIP_2) | instid1(VALU_DEP_2)
	v_cmp_lt_u32_e32 vcc_lo, 0xffffff, v182
	v_sub_nc_u32_e32 v135, v183, v40
	v_cndmask_b32_e64 v183, 0, 1, vcc_lo
	v_add_co_ci_u32_e32 v135, vcc_lo, 0, v135, vcc_lo
	s_delay_alu instid0(VALU_DEP_2)
	v_lshrrev_b32_e32 v182, v183, v182
; %bb.4051:                             ;   in Loop: Header=BB6_3373 Depth=2
	s_and_not1_saveexec_b32 s11, s11
; %bb.4052:                             ;   in Loop: Header=BB6_3373 Depth=2
	s_delay_alu instid0(VALU_DEP_1)
	v_bfe_u32 v135, v182, 23, 1
; %bb.4053:                             ;   in Loop: Header=BB6_3373 Depth=2
	s_or_b32 exec_lo, exec_lo, s11
	v_lshrrev_b32_e32 v182, 20, v182
	s_delay_alu instid0(VALU_DEP_2) | instskip(SKIP_2) | instid1(VALU_DEP_2)
	v_cmp_gt_i32_e32 vcc_lo, 16, v135
	v_lshrrev_b32_e32 v181, 24, v181
	v_min_i32_e32 v183, 15, v135
	v_dual_cndmask_b32 v182, 7, v182 :: v_dual_and_b32 v181, 0x80, v181
	s_delay_alu instid0(VALU_DEP_2) | instskip(NEXT) | instid1(VALU_DEP_2)
	v_lshlrev_b32_e32 v183, 3, v183
	v_or_b32_e32 v135, v135, v182
	s_delay_alu instid0(VALU_DEP_1) | instskip(SKIP_1) | instid1(VALU_DEP_1)
	v_cmp_ne_u32_e32 vcc_lo, 0, v135
	v_and_b32_e32 v40, 7, v182
	v_or3_b32 v181, v183, v181, v40
	s_delay_alu instid0(VALU_DEP_1)
	v_cndmask_b32_e32 v135, 0, v181, vcc_lo
.LBB6_4054:                             ;   in Loop: Header=BB6_3373 Depth=2
	s_or_b32 exec_lo, exec_lo, s26
.LBB6_4055:                             ;   in Loop: Header=BB6_3373 Depth=2
	s_delay_alu instid0(SALU_CYCLE_1) | instskip(SKIP_3) | instid1(VALU_DEP_1)
	s_or_b32 exec_lo, exec_lo, s25
	v_and_b32_e32 v182, 0xff, v133
	s_mov_b32 s11, 0
	s_mov_b32 s26, exec_lo
                                        ; implicit-def: $sgpr25
	v_cmpx_lt_i16_e64 0x7f, v182
	s_xor_b32 s26, exec_lo, s26
	s_cbranch_execnz .LBB6_4552
; %bb.4056:                             ;   in Loop: Header=BB6_3373 Depth=2
	s_or_saveexec_b32 s26, s26
	v_mov_b32_e32 v181, s25
	s_xor_b32 exec_lo, exec_lo, s26
	s_cbranch_execnz .LBB6_4555
.LBB6_4057:                             ;   in Loop: Header=BB6_3373 Depth=2
	s_or_b32 exec_lo, exec_lo, s26
	s_and_saveexec_b32 s25, s11
	s_cbranch_execz .LBB6_4059
.LBB6_4058:                             ;   in Loop: Header=BB6_3373 Depth=2
	v_lshrrev_b16 v40, 3, v133
	s_delay_alu instid0(VALU_DEP_1) | instskip(NEXT) | instid1(VALU_DEP_1)
	v_and_b32_e32 v40, 15, v40
	v_cmp_eq_u32_e32 vcc_lo, 0, v40
	v_and_b32_e32 v181, 7, v133
	s_delay_alu instid0(VALU_DEP_1) | instskip(NEXT) | instid1(VALU_DEP_1)
	v_clz_i32_u32_e32 v182, v181
	v_min_u32_e32 v182, 32, v182
	s_delay_alu instid0(VALU_DEP_1) | instskip(SKIP_1) | instid1(VALU_DEP_1)
	v_subrev_nc_u32_e32 v183, 28, v182
	v_sub_nc_u32_e32 v182, 29, v182
	v_dual_cndmask_b32 v182, v40, v182 :: v_dual_lshlrev_b32 v183, v183, v133
	v_lshlrev_b32_e32 v133, 24, v133
	s_delay_alu instid0(VALU_DEP_2) | instskip(NEXT) | instid1(VALU_DEP_3)
	v_and_b32_e32 v183, 7, v183
	v_lshl_add_u32 v182, v182, 23, 0x3b800000
	s_delay_alu instid0(VALU_DEP_3) | instskip(NEXT) | instid1(VALU_DEP_3)
	v_and_b32_e32 v133, 0x80000000, v133
	v_cndmask_b32_e32 v181, v181, v183, vcc_lo
	s_delay_alu instid0(VALU_DEP_1) | instskip(NEXT) | instid1(VALU_DEP_1)
	v_lshlrev_b32_e32 v181, 20, v181
	v_or3_b32 v181, v133, v182, v181
.LBB6_4059:                             ;   in Loop: Header=BB6_3373 Depth=2
	s_or_b32 exec_lo, exec_lo, s25
	s_waitcnt vmcnt(13) lgkmcnt(13)
	v_and_b32_e32 v182, 0xff, v180
	s_mov_b32 s11, 0
	s_mov_b32 s26, exec_lo
                                        ; implicit-def: $sgpr25
	s_delay_alu instid0(VALU_DEP_1)
	v_cmpx_lt_i16_e64 0x7f, v182
	s_xor_b32 s26, exec_lo, s26
	s_cbranch_execnz .LBB6_4556
; %bb.4060:                             ;   in Loop: Header=BB6_3373 Depth=2
	s_or_saveexec_b32 s26, s26
	v_mov_b32_e32 v133, s25
	s_xor_b32 exec_lo, exec_lo, s26
	s_cbranch_execnz .LBB6_4559
.LBB6_4061:                             ;   in Loop: Header=BB6_3373 Depth=2
	s_or_b32 exec_lo, exec_lo, s26
	s_and_saveexec_b32 s25, s11
	s_cbranch_execz .LBB6_4063
.LBB6_4062:                             ;   in Loop: Header=BB6_3373 Depth=2
	v_lshrrev_b16 v40, 3, v180
	s_delay_alu instid0(VALU_DEP_1) | instskip(NEXT) | instid1(VALU_DEP_1)
	v_and_b32_e32 v40, 15, v40
	v_cmp_eq_u32_e32 vcc_lo, 0, v40
	v_and_b32_e32 v133, 7, v180
	s_delay_alu instid0(VALU_DEP_1) | instskip(NEXT) | instid1(VALU_DEP_1)
	v_clz_i32_u32_e32 v182, v133
	v_min_u32_e32 v182, 32, v182
	s_delay_alu instid0(VALU_DEP_1) | instskip(SKIP_1) | instid1(VALU_DEP_1)
	v_subrev_nc_u32_e32 v183, 28, v182
	v_sub_nc_u32_e32 v182, 29, v182
	v_dual_cndmask_b32 v182, v40, v182 :: v_dual_lshlrev_b32 v183, v183, v180
	v_lshlrev_b32_e32 v180, 24, v180
	s_delay_alu instid0(VALU_DEP_2) | instskip(NEXT) | instid1(VALU_DEP_3)
	v_and_b32_e32 v183, 7, v183
	v_lshl_add_u32 v182, v182, 23, 0x3b800000
	s_delay_alu instid0(VALU_DEP_2) | instskip(NEXT) | instid1(VALU_DEP_1)
	v_dual_cndmask_b32 v133, v133, v183 :: v_dual_and_b32 v180, 0x80000000, v180
	v_lshlrev_b32_e32 v133, 20, v133
	s_delay_alu instid0(VALU_DEP_1)
	v_or3_b32 v133, v180, v182, v133
.LBB6_4063:                             ;   in Loop: Header=BB6_3373 Depth=2
	s_or_b32 exec_lo, exec_lo, s25
	s_delay_alu instid0(VALU_DEP_1) | instskip(NEXT) | instid1(VALU_DEP_1)
	v_add_f32_e32 v180, v181, v133
	v_and_b32_e32 v133, 0x7f800000, v180
	s_delay_alu instid0(VALU_DEP_1)
	v_cmp_ne_u32_e32 vcc_lo, 0x7f800000, v133
	v_mov_b32_e32 v133, 0x80
	s_and_saveexec_b32 s25, vcc_lo
	s_cbranch_execz .LBB6_4071
; %bb.4064:                             ;   in Loop: Header=BB6_3373 Depth=2
	v_mov_b32_e32 v133, 0
	s_mov_b32 s26, exec_lo
	v_cmpx_ne_u32_e32 0, v180
	s_cbranch_execz .LBB6_4070
; %bb.4065:                             ;   in Loop: Header=BB6_3373 Depth=2
	v_bfe_u32 v133, v180, 23, 8
	s_delay_alu instid0(VALU_DEP_1) | instskip(SKIP_1) | instid1(VALU_DEP_2)
	v_sub_nc_u32_e32 v182, 0x78, v133
	v_cmp_gt_u32_e32 vcc_lo, 0x79, v133
	v_dual_cndmask_b32 v182, 0, v182 :: v_dual_and_b32 v181, 0x7fffff, v180
	s_delay_alu instid0(VALU_DEP_1) | instskip(SKIP_2) | instid1(VALU_DEP_4)
	v_or_b32_e32 v183, 0x800000, v181
	v_cmp_eq_u32_e32 vcc_lo, 0, v133
	v_add_nc_u32_e32 v133, 0xffffff89, v133
	v_cndmask_b32_e64 v182, v182, 0x77, vcc_lo
	s_delay_alu instid0(VALU_DEP_4) | instskip(NEXT) | instid1(VALU_DEP_3)
	v_cndmask_b32_e32 v181, v183, v181, vcc_lo
	v_cndmask_b32_e64 v133, v133, 0xffffff8a, vcc_lo
	s_delay_alu instid0(VALU_DEP_3) | instskip(NEXT) | instid1(VALU_DEP_3)
	v_lshl_add_u32 v183, 0x100000, v182, -1
	v_lshrrev_b32_e32 v40, v182, v181
	v_lshlrev_b32_e64 v42, v182, 0x80000
	s_delay_alu instid0(VALU_DEP_4) | instskip(NEXT) | instid1(VALU_DEP_4)
	v_add_nc_u32_e32 v182, v182, v133
	v_and_b32_e32 v181, v183, v181
	s_delay_alu instid0(VALU_DEP_4) | instskip(NEXT) | instid1(VALU_DEP_2)
	v_bfe_u32 v41, v40, 20, 1
	v_cmp_eq_u32_e64 s11, v181, v42
	s_delay_alu instid0(VALU_DEP_2) | instskip(NEXT) | instid1(VALU_DEP_1)
	v_add_nc_u32_e32 v183, -1, v41
	v_cndmask_b32_e64 v181, 0, v183, s11
	v_lshrrev_b32_e32 v183, 23, v40
	s_mov_b32 s11, exec_lo
	s_delay_alu instid0(VALU_DEP_2) | instskip(NEXT) | instid1(VALU_DEP_2)
	v_add_nc_u32_e32 v181, v181, v40
	v_xor_b32_e32 v183, 1, v183
	s_delay_alu instid0(VALU_DEP_2) | instskip(NEXT) | instid1(VALU_DEP_1)
	v_and_b32_e32 v133, 0xfffff, v181
	v_add_nc_u32_e32 v181, v133, v40
                                        ; implicit-def: $vgpr133
	s_delay_alu instid0(VALU_DEP_3)
	v_cmpx_ne_u32_e64 v182, v183
	s_xor_b32 s11, exec_lo, s11
; %bb.4066:                             ;   in Loop: Header=BB6_3373 Depth=2
	s_delay_alu instid0(VALU_DEP_2) | instskip(SKIP_2) | instid1(VALU_DEP_2)
	v_cmp_lt_u32_e32 vcc_lo, 0xffffff, v181
	v_sub_nc_u32_e32 v133, v182, v183
	v_cndmask_b32_e64 v182, 0, 1, vcc_lo
	v_add_co_ci_u32_e32 v133, vcc_lo, 0, v133, vcc_lo
	s_delay_alu instid0(VALU_DEP_2)
	v_lshrrev_b32_e32 v181, v182, v181
; %bb.4067:                             ;   in Loop: Header=BB6_3373 Depth=2
	s_and_not1_saveexec_b32 s11, s11
; %bb.4068:                             ;   in Loop: Header=BB6_3373 Depth=2
	s_delay_alu instid0(VALU_DEP_1)
	v_bfe_u32 v133, v181, 23, 1
; %bb.4069:                             ;   in Loop: Header=BB6_3373 Depth=2
	s_or_b32 exec_lo, exec_lo, s11
	v_lshrrev_b32_e32 v181, 20, v181
	s_delay_alu instid0(VALU_DEP_2) | instskip(SKIP_2) | instid1(VALU_DEP_2)
	v_cmp_gt_i32_e32 vcc_lo, 16, v133
	v_lshrrev_b32_e32 v180, 24, v180
	v_min_i32_e32 v182, 15, v133
	v_dual_cndmask_b32 v181, 7, v181 :: v_dual_and_b32 v180, 0x80, v180
	s_delay_alu instid0(VALU_DEP_1) | instskip(SKIP_1) | instid1(VALU_DEP_2)
	v_or_b32_e32 v133, v133, v181
	v_and_b32_e32 v183, 7, v181
	v_cmp_ne_u32_e32 vcc_lo, 0, v133
	v_lshlrev_b32_e32 v182, 3, v182
	s_delay_alu instid0(VALU_DEP_1) | instskip(NEXT) | instid1(VALU_DEP_1)
	v_or3_b32 v180, v182, v180, v183
	v_cndmask_b32_e32 v133, 0, v180, vcc_lo
.LBB6_4070:                             ;   in Loop: Header=BB6_3373 Depth=2
	s_or_b32 exec_lo, exec_lo, s26
.LBB6_4071:                             ;   in Loop: Header=BB6_3373 Depth=2
	s_delay_alu instid0(SALU_CYCLE_1) | instskip(SKIP_3) | instid1(VALU_DEP_1)
	s_or_b32 exec_lo, exec_lo, s25
	v_and_b32_e32 v181, 0xff, v131
	s_mov_b32 s11, 0
	s_mov_b32 s26, exec_lo
                                        ; implicit-def: $sgpr25
	v_cmpx_lt_i16_e64 0x7f, v181
	s_xor_b32 s26, exec_lo, s26
	s_cbranch_execnz .LBB6_4560
; %bb.4072:                             ;   in Loop: Header=BB6_3373 Depth=2
	s_or_saveexec_b32 s26, s26
	v_mov_b32_e32 v180, s25
	s_xor_b32 exec_lo, exec_lo, s26
	s_cbranch_execnz .LBB6_4563
.LBB6_4073:                             ;   in Loop: Header=BB6_3373 Depth=2
	s_or_b32 exec_lo, exec_lo, s26
	s_and_saveexec_b32 s25, s11
	s_cbranch_execz .LBB6_4075
.LBB6_4074:                             ;   in Loop: Header=BB6_3373 Depth=2
	v_lshrrev_b16 v183, 3, v131
	s_delay_alu instid0(VALU_DEP_1) | instskip(NEXT) | instid1(VALU_DEP_1)
	v_and_b32_e32 v183, 15, v183
	v_cmp_eq_u32_e32 vcc_lo, 0, v183
	v_and_b32_e32 v180, 7, v131
	s_delay_alu instid0(VALU_DEP_1) | instskip(NEXT) | instid1(VALU_DEP_1)
	v_clz_i32_u32_e32 v181, v180
	v_min_u32_e32 v181, 32, v181
	s_delay_alu instid0(VALU_DEP_1) | instskip(SKIP_1) | instid1(VALU_DEP_1)
	v_subrev_nc_u32_e32 v182, 28, v181
	v_sub_nc_u32_e32 v181, 29, v181
	v_dual_cndmask_b32 v181, v183, v181 :: v_dual_lshlrev_b32 v182, v182, v131
	v_lshlrev_b32_e32 v131, 24, v131
	s_delay_alu instid0(VALU_DEP_2) | instskip(NEXT) | instid1(VALU_DEP_3)
	v_and_b32_e32 v182, 7, v182
	v_lshl_add_u32 v181, v181, 23, 0x3b800000
	s_delay_alu instid0(VALU_DEP_2) | instskip(NEXT) | instid1(VALU_DEP_1)
	v_dual_cndmask_b32 v180, v180, v182 :: v_dual_and_b32 v131, 0x80000000, v131
	v_lshlrev_b32_e32 v180, 20, v180
	s_delay_alu instid0(VALU_DEP_1)
	v_or3_b32 v180, v131, v181, v180
.LBB6_4075:                             ;   in Loop: Header=BB6_3373 Depth=2
	s_or_b32 exec_lo, exec_lo, s25
	s_waitcnt vmcnt(12) lgkmcnt(12)
	v_and_b32_e32 v181, 0xff, v179
	s_mov_b32 s11, 0
	s_mov_b32 s26, exec_lo
                                        ; implicit-def: $sgpr25
	s_delay_alu instid0(VALU_DEP_1)
	v_cmpx_lt_i16_e64 0x7f, v181
	s_xor_b32 s26, exec_lo, s26
	s_cbranch_execnz .LBB6_4564
; %bb.4076:                             ;   in Loop: Header=BB6_3373 Depth=2
	s_or_saveexec_b32 s26, s26
	v_mov_b32_e32 v131, s25
	s_xor_b32 exec_lo, exec_lo, s26
	s_cbranch_execnz .LBB6_4567
.LBB6_4077:                             ;   in Loop: Header=BB6_3373 Depth=2
	s_or_b32 exec_lo, exec_lo, s26
	s_and_saveexec_b32 s25, s11
	s_cbranch_execz .LBB6_4079
.LBB6_4078:                             ;   in Loop: Header=BB6_3373 Depth=2
	v_and_b32_e32 v131, 7, v179
	v_lshrrev_b16 v183, 3, v179
	s_delay_alu instid0(VALU_DEP_2) | instskip(NEXT) | instid1(VALU_DEP_2)
	v_clz_i32_u32_e32 v181, v131
	v_and_b32_e32 v183, 15, v183
	s_delay_alu instid0(VALU_DEP_2) | instskip(NEXT) | instid1(VALU_DEP_2)
	v_min_u32_e32 v181, 32, v181
	v_cmp_eq_u32_e32 vcc_lo, 0, v183
	s_delay_alu instid0(VALU_DEP_2) | instskip(SKIP_1) | instid1(VALU_DEP_1)
	v_subrev_nc_u32_e32 v182, 28, v181
	v_sub_nc_u32_e32 v181, 29, v181
	v_dual_cndmask_b32 v181, v183, v181 :: v_dual_lshlrev_b32 v182, v182, v179
	v_lshlrev_b32_e32 v179, 24, v179
	s_delay_alu instid0(VALU_DEP_2) | instskip(NEXT) | instid1(VALU_DEP_3)
	v_and_b32_e32 v182, 7, v182
	v_lshl_add_u32 v181, v181, 23, 0x3b800000
	s_delay_alu instid0(VALU_DEP_3) | instskip(NEXT) | instid1(VALU_DEP_3)
	v_and_b32_e32 v179, 0x80000000, v179
	v_cndmask_b32_e32 v131, v131, v182, vcc_lo
	s_delay_alu instid0(VALU_DEP_1) | instskip(NEXT) | instid1(VALU_DEP_1)
	v_lshlrev_b32_e32 v131, 20, v131
	v_or3_b32 v131, v179, v181, v131
.LBB6_4079:                             ;   in Loop: Header=BB6_3373 Depth=2
	s_or_b32 exec_lo, exec_lo, s25
	s_delay_alu instid0(VALU_DEP_1) | instskip(NEXT) | instid1(VALU_DEP_1)
	v_add_f32_e32 v179, v180, v131
	v_and_b32_e32 v131, 0x7f800000, v179
	s_delay_alu instid0(VALU_DEP_1)
	v_cmp_ne_u32_e32 vcc_lo, 0x7f800000, v131
	v_mov_b32_e32 v131, 0x80
	s_and_saveexec_b32 s25, vcc_lo
	s_cbranch_execz .LBB6_4087
; %bb.4080:                             ;   in Loop: Header=BB6_3373 Depth=2
	v_mov_b32_e32 v131, 0
	s_mov_b32 s26, exec_lo
	v_cmpx_ne_u32_e32 0, v179
	s_cbranch_execz .LBB6_4086
; %bb.4081:                             ;   in Loop: Header=BB6_3373 Depth=2
	v_bfe_u32 v131, v179, 23, 8
	s_delay_alu instid0(VALU_DEP_1) | instskip(SKIP_1) | instid1(VALU_DEP_2)
	v_sub_nc_u32_e32 v181, 0x78, v131
	v_cmp_gt_u32_e32 vcc_lo, 0x79, v131
	v_dual_cndmask_b32 v181, 0, v181 :: v_dual_and_b32 v180, 0x7fffff, v179
	s_delay_alu instid0(VALU_DEP_1) | instskip(SKIP_2) | instid1(VALU_DEP_4)
	v_or_b32_e32 v182, 0x800000, v180
	v_cmp_eq_u32_e32 vcc_lo, 0, v131
	v_add_nc_u32_e32 v131, 0xffffff89, v131
	v_cndmask_b32_e64 v181, v181, 0x77, vcc_lo
	s_delay_alu instid0(VALU_DEP_4) | instskip(NEXT) | instid1(VALU_DEP_3)
	v_cndmask_b32_e32 v180, v182, v180, vcc_lo
	v_cndmask_b32_e64 v131, v131, 0xffffff8a, vcc_lo
	s_delay_alu instid0(VALU_DEP_3) | instskip(NEXT) | instid1(VALU_DEP_3)
	v_lshl_add_u32 v182, 0x100000, v181, -1
	v_lshrrev_b32_e32 v183, v181, v180
	v_lshlrev_b32_e64 v41, v181, 0x80000
	s_delay_alu instid0(VALU_DEP_4) | instskip(NEXT) | instid1(VALU_DEP_4)
	v_add_nc_u32_e32 v181, v181, v131
	v_and_b32_e32 v180, v182, v180
	s_delay_alu instid0(VALU_DEP_4) | instskip(NEXT) | instid1(VALU_DEP_2)
	v_bfe_u32 v40, v183, 20, 1
	v_cmp_eq_u32_e64 s11, v180, v41
	s_delay_alu instid0(VALU_DEP_2) | instskip(NEXT) | instid1(VALU_DEP_1)
	v_add_nc_u32_e32 v182, -1, v40
	v_cndmask_b32_e64 v180, 0, v182, s11
	v_lshrrev_b32_e32 v182, 23, v183
	s_mov_b32 s11, exec_lo
	s_delay_alu instid0(VALU_DEP_2) | instskip(NEXT) | instid1(VALU_DEP_2)
	v_add_nc_u32_e32 v180, v180, v183
	v_xor_b32_e32 v182, 1, v182
	s_delay_alu instid0(VALU_DEP_2) | instskip(NEXT) | instid1(VALU_DEP_1)
	v_and_b32_e32 v131, 0xfffff, v180
	v_add_nc_u32_e32 v180, v131, v183
                                        ; implicit-def: $vgpr131
	s_delay_alu instid0(VALU_DEP_3)
	v_cmpx_ne_u32_e64 v181, v182
	s_xor_b32 s11, exec_lo, s11
; %bb.4082:                             ;   in Loop: Header=BB6_3373 Depth=2
	s_delay_alu instid0(VALU_DEP_2) | instskip(SKIP_2) | instid1(VALU_DEP_2)
	v_cmp_lt_u32_e32 vcc_lo, 0xffffff, v180
	v_sub_nc_u32_e32 v131, v181, v182
	v_cndmask_b32_e64 v181, 0, 1, vcc_lo
	v_add_co_ci_u32_e32 v131, vcc_lo, 0, v131, vcc_lo
	s_delay_alu instid0(VALU_DEP_2)
	v_lshrrev_b32_e32 v180, v181, v180
; %bb.4083:                             ;   in Loop: Header=BB6_3373 Depth=2
	s_and_not1_saveexec_b32 s11, s11
; %bb.4084:                             ;   in Loop: Header=BB6_3373 Depth=2
	s_delay_alu instid0(VALU_DEP_1)
	v_bfe_u32 v131, v180, 23, 1
; %bb.4085:                             ;   in Loop: Header=BB6_3373 Depth=2
	s_or_b32 exec_lo, exec_lo, s11
	v_lshrrev_b32_e32 v180, 20, v180
	s_delay_alu instid0(VALU_DEP_2) | instskip(SKIP_2) | instid1(VALU_DEP_2)
	v_cmp_gt_i32_e32 vcc_lo, 16, v131
	v_lshrrev_b32_e32 v179, 24, v179
	v_min_i32_e32 v181, 15, v131
	v_dual_cndmask_b32 v180, 7, v180 :: v_dual_and_b32 v179, 0x80, v179
	s_delay_alu instid0(VALU_DEP_2) | instskip(NEXT) | instid1(VALU_DEP_2)
	v_lshlrev_b32_e32 v181, 3, v181
	v_or_b32_e32 v131, v131, v180
	s_delay_alu instid0(VALU_DEP_1) | instskip(SKIP_1) | instid1(VALU_DEP_1)
	v_cmp_ne_u32_e32 vcc_lo, 0, v131
	v_and_b32_e32 v182, 7, v180
	v_or3_b32 v179, v181, v179, v182
	s_delay_alu instid0(VALU_DEP_1)
	v_cndmask_b32_e32 v131, 0, v179, vcc_lo
.LBB6_4086:                             ;   in Loop: Header=BB6_3373 Depth=2
	s_or_b32 exec_lo, exec_lo, s26
.LBB6_4087:                             ;   in Loop: Header=BB6_3373 Depth=2
	s_delay_alu instid0(SALU_CYCLE_1) | instskip(SKIP_3) | instid1(VALU_DEP_1)
	s_or_b32 exec_lo, exec_lo, s25
	v_and_b32_e32 v180, 0xff, v130
	s_mov_b32 s11, 0
	s_mov_b32 s26, exec_lo
                                        ; implicit-def: $sgpr25
	v_cmpx_lt_i16_e64 0x7f, v180
	s_xor_b32 s26, exec_lo, s26
	s_cbranch_execnz .LBB6_4568
; %bb.4088:                             ;   in Loop: Header=BB6_3373 Depth=2
	s_or_saveexec_b32 s26, s26
	v_mov_b32_e32 v179, s25
	s_xor_b32 exec_lo, exec_lo, s26
	s_cbranch_execnz .LBB6_4571
.LBB6_4089:                             ;   in Loop: Header=BB6_3373 Depth=2
	s_or_b32 exec_lo, exec_lo, s26
	s_and_saveexec_b32 s25, s11
	s_cbranch_execz .LBB6_4091
.LBB6_4090:                             ;   in Loop: Header=BB6_3373 Depth=2
	v_lshrrev_b16 v182, 3, v130
	s_delay_alu instid0(VALU_DEP_1) | instskip(NEXT) | instid1(VALU_DEP_1)
	v_and_b32_e32 v182, 15, v182
	v_cmp_eq_u32_e32 vcc_lo, 0, v182
	v_and_b32_e32 v179, 7, v130
	s_delay_alu instid0(VALU_DEP_1) | instskip(NEXT) | instid1(VALU_DEP_1)
	v_clz_i32_u32_e32 v180, v179
	v_min_u32_e32 v180, 32, v180
	s_delay_alu instid0(VALU_DEP_1) | instskip(SKIP_1) | instid1(VALU_DEP_1)
	v_subrev_nc_u32_e32 v181, 28, v180
	v_sub_nc_u32_e32 v180, 29, v180
	v_dual_cndmask_b32 v180, v182, v180 :: v_dual_lshlrev_b32 v181, v181, v130
	v_lshlrev_b32_e32 v130, 24, v130
	s_delay_alu instid0(VALU_DEP_2) | instskip(NEXT) | instid1(VALU_DEP_3)
	v_and_b32_e32 v181, 7, v181
	v_lshl_add_u32 v180, v180, 23, 0x3b800000
	s_delay_alu instid0(VALU_DEP_2) | instskip(NEXT) | instid1(VALU_DEP_1)
	v_dual_cndmask_b32 v179, v179, v181 :: v_dual_and_b32 v130, 0x80000000, v130
	v_lshlrev_b32_e32 v179, 20, v179
	s_delay_alu instid0(VALU_DEP_1)
	v_or3_b32 v179, v130, v180, v179
.LBB6_4091:                             ;   in Loop: Header=BB6_3373 Depth=2
	s_or_b32 exec_lo, exec_lo, s25
	s_waitcnt vmcnt(11) lgkmcnt(11)
	v_and_b32_e32 v180, 0xff, v178
	s_mov_b32 s11, 0
	s_mov_b32 s26, exec_lo
                                        ; implicit-def: $sgpr25
	s_delay_alu instid0(VALU_DEP_1)
	v_cmpx_lt_i16_e64 0x7f, v180
	s_xor_b32 s26, exec_lo, s26
	s_cbranch_execnz .LBB6_4572
; %bb.4092:                             ;   in Loop: Header=BB6_3373 Depth=2
	s_or_saveexec_b32 s26, s26
	v_mov_b32_e32 v130, s25
	s_xor_b32 exec_lo, exec_lo, s26
	s_cbranch_execnz .LBB6_4575
.LBB6_4093:                             ;   in Loop: Header=BB6_3373 Depth=2
	s_or_b32 exec_lo, exec_lo, s26
	s_and_saveexec_b32 s25, s11
	s_cbranch_execz .LBB6_4095
.LBB6_4094:                             ;   in Loop: Header=BB6_3373 Depth=2
	v_and_b32_e32 v130, 7, v178
	v_lshrrev_b16 v182, 3, v178
	s_delay_alu instid0(VALU_DEP_2) | instskip(NEXT) | instid1(VALU_DEP_2)
	v_clz_i32_u32_e32 v180, v130
	v_and_b32_e32 v182, 15, v182
	s_delay_alu instid0(VALU_DEP_2) | instskip(NEXT) | instid1(VALU_DEP_2)
	v_min_u32_e32 v180, 32, v180
	v_cmp_eq_u32_e32 vcc_lo, 0, v182
	s_delay_alu instid0(VALU_DEP_2) | instskip(SKIP_1) | instid1(VALU_DEP_1)
	v_subrev_nc_u32_e32 v181, 28, v180
	v_sub_nc_u32_e32 v180, 29, v180
	v_dual_cndmask_b32 v180, v182, v180 :: v_dual_lshlrev_b32 v181, v181, v178
	v_lshlrev_b32_e32 v178, 24, v178
	s_delay_alu instid0(VALU_DEP_2) | instskip(NEXT) | instid1(VALU_DEP_3)
	v_and_b32_e32 v181, 7, v181
	v_lshl_add_u32 v180, v180, 23, 0x3b800000
	s_delay_alu instid0(VALU_DEP_3) | instskip(NEXT) | instid1(VALU_DEP_3)
	v_and_b32_e32 v178, 0x80000000, v178
	v_cndmask_b32_e32 v130, v130, v181, vcc_lo
	s_delay_alu instid0(VALU_DEP_1) | instskip(NEXT) | instid1(VALU_DEP_1)
	v_lshlrev_b32_e32 v130, 20, v130
	v_or3_b32 v130, v178, v180, v130
.LBB6_4095:                             ;   in Loop: Header=BB6_3373 Depth=2
	s_or_b32 exec_lo, exec_lo, s25
	s_delay_alu instid0(VALU_DEP_1) | instskip(NEXT) | instid1(VALU_DEP_1)
	v_add_f32_e32 v178, v179, v130
	v_and_b32_e32 v130, 0x7f800000, v178
	s_delay_alu instid0(VALU_DEP_1)
	v_cmp_ne_u32_e32 vcc_lo, 0x7f800000, v130
	v_mov_b32_e32 v130, 0x80
	s_and_saveexec_b32 s25, vcc_lo
	s_cbranch_execz .LBB6_4103
; %bb.4096:                             ;   in Loop: Header=BB6_3373 Depth=2
	v_mov_b32_e32 v130, 0
	s_mov_b32 s26, exec_lo
	v_cmpx_ne_u32_e32 0, v178
	s_cbranch_execz .LBB6_4102
; %bb.4097:                             ;   in Loop: Header=BB6_3373 Depth=2
	v_bfe_u32 v130, v178, 23, 8
	s_delay_alu instid0(VALU_DEP_1) | instskip(SKIP_1) | instid1(VALU_DEP_2)
	v_sub_nc_u32_e32 v180, 0x78, v130
	v_cmp_gt_u32_e32 vcc_lo, 0x79, v130
	v_dual_cndmask_b32 v180, 0, v180 :: v_dual_and_b32 v179, 0x7fffff, v178
	s_delay_alu instid0(VALU_DEP_1) | instskip(SKIP_2) | instid1(VALU_DEP_4)
	v_or_b32_e32 v181, 0x800000, v179
	v_cmp_eq_u32_e32 vcc_lo, 0, v130
	v_add_nc_u32_e32 v130, 0xffffff89, v130
	v_cndmask_b32_e64 v180, v180, 0x77, vcc_lo
	s_delay_alu instid0(VALU_DEP_4) | instskip(NEXT) | instid1(VALU_DEP_3)
	v_cndmask_b32_e32 v179, v181, v179, vcc_lo
	v_cndmask_b32_e64 v130, v130, 0xffffff8a, vcc_lo
	s_delay_alu instid0(VALU_DEP_3) | instskip(NEXT) | instid1(VALU_DEP_3)
	v_lshl_add_u32 v181, 0x100000, v180, -1
	v_lshrrev_b32_e32 v182, v180, v179
	v_lshlrev_b32_e64 v40, v180, 0x80000
	s_delay_alu instid0(VALU_DEP_4) | instskip(NEXT) | instid1(VALU_DEP_4)
	v_add_nc_u32_e32 v180, v180, v130
	v_and_b32_e32 v179, v181, v179
	s_delay_alu instid0(VALU_DEP_4) | instskip(NEXT) | instid1(VALU_DEP_2)
	v_bfe_u32 v183, v182, 20, 1
	v_cmp_eq_u32_e64 s11, v179, v40
	s_delay_alu instid0(VALU_DEP_2) | instskip(NEXT) | instid1(VALU_DEP_1)
	v_add_nc_u32_e32 v181, -1, v183
	v_cndmask_b32_e64 v179, 0, v181, s11
	v_lshrrev_b32_e32 v181, 23, v182
	s_mov_b32 s11, exec_lo
	s_delay_alu instid0(VALU_DEP_2) | instskip(NEXT) | instid1(VALU_DEP_2)
	v_add_nc_u32_e32 v179, v179, v182
	v_xor_b32_e32 v181, 1, v181
	s_delay_alu instid0(VALU_DEP_2) | instskip(NEXT) | instid1(VALU_DEP_1)
	v_and_b32_e32 v130, 0xfffff, v179
	v_add_nc_u32_e32 v179, v130, v182
                                        ; implicit-def: $vgpr130
	s_delay_alu instid0(VALU_DEP_3)
	v_cmpx_ne_u32_e64 v180, v181
	s_xor_b32 s11, exec_lo, s11
; %bb.4098:                             ;   in Loop: Header=BB6_3373 Depth=2
	s_delay_alu instid0(VALU_DEP_2) | instskip(SKIP_2) | instid1(VALU_DEP_2)
	v_cmp_lt_u32_e32 vcc_lo, 0xffffff, v179
	v_sub_nc_u32_e32 v130, v180, v181
	v_cndmask_b32_e64 v180, 0, 1, vcc_lo
	v_add_co_ci_u32_e32 v130, vcc_lo, 0, v130, vcc_lo
	s_delay_alu instid0(VALU_DEP_2)
	v_lshrrev_b32_e32 v179, v180, v179
; %bb.4099:                             ;   in Loop: Header=BB6_3373 Depth=2
	s_and_not1_saveexec_b32 s11, s11
; %bb.4100:                             ;   in Loop: Header=BB6_3373 Depth=2
	s_delay_alu instid0(VALU_DEP_1)
	v_bfe_u32 v130, v179, 23, 1
; %bb.4101:                             ;   in Loop: Header=BB6_3373 Depth=2
	s_or_b32 exec_lo, exec_lo, s11
	v_lshrrev_b32_e32 v179, 20, v179
	s_delay_alu instid0(VALU_DEP_2) | instskip(SKIP_2) | instid1(VALU_DEP_2)
	v_cmp_gt_i32_e32 vcc_lo, 16, v130
	v_lshrrev_b32_e32 v178, 24, v178
	v_min_i32_e32 v180, 15, v130
	v_dual_cndmask_b32 v179, 7, v179 :: v_dual_and_b32 v178, 0x80, v178
	s_delay_alu instid0(VALU_DEP_2) | instskip(NEXT) | instid1(VALU_DEP_2)
	v_lshlrev_b32_e32 v180, 3, v180
	v_or_b32_e32 v130, v130, v179
	s_delay_alu instid0(VALU_DEP_1) | instskip(SKIP_1) | instid1(VALU_DEP_1)
	v_cmp_ne_u32_e32 vcc_lo, 0, v130
	v_and_b32_e32 v181, 7, v179
	v_or3_b32 v178, v180, v178, v181
	s_delay_alu instid0(VALU_DEP_1)
	v_cndmask_b32_e32 v130, 0, v178, vcc_lo
.LBB6_4102:                             ;   in Loop: Header=BB6_3373 Depth=2
	s_or_b32 exec_lo, exec_lo, s26
.LBB6_4103:                             ;   in Loop: Header=BB6_3373 Depth=2
	s_delay_alu instid0(SALU_CYCLE_1) | instskip(SKIP_3) | instid1(VALU_DEP_1)
	s_or_b32 exec_lo, exec_lo, s25
	v_and_b32_e32 v179, 0xff, v128
	s_mov_b32 s11, 0
	s_mov_b32 s26, exec_lo
                                        ; implicit-def: $sgpr25
	v_cmpx_lt_i16_e64 0x7f, v179
	s_xor_b32 s26, exec_lo, s26
	s_cbranch_execnz .LBB6_4576
; %bb.4104:                             ;   in Loop: Header=BB6_3373 Depth=2
	s_or_saveexec_b32 s26, s26
	v_mov_b32_e32 v178, s25
	s_xor_b32 exec_lo, exec_lo, s26
	s_cbranch_execnz .LBB6_4579
.LBB6_4105:                             ;   in Loop: Header=BB6_3373 Depth=2
	s_or_b32 exec_lo, exec_lo, s26
	s_and_saveexec_b32 s25, s11
	s_cbranch_execz .LBB6_4107
.LBB6_4106:                             ;   in Loop: Header=BB6_3373 Depth=2
	v_lshrrev_b16 v181, 3, v128
	s_delay_alu instid0(VALU_DEP_1) | instskip(NEXT) | instid1(VALU_DEP_1)
	v_and_b32_e32 v181, 15, v181
	v_cmp_eq_u32_e32 vcc_lo, 0, v181
	v_and_b32_e32 v178, 7, v128
	s_delay_alu instid0(VALU_DEP_1) | instskip(NEXT) | instid1(VALU_DEP_1)
	v_clz_i32_u32_e32 v179, v178
	v_min_u32_e32 v179, 32, v179
	s_delay_alu instid0(VALU_DEP_1) | instskip(SKIP_1) | instid1(VALU_DEP_1)
	v_subrev_nc_u32_e32 v180, 28, v179
	v_sub_nc_u32_e32 v179, 29, v179
	v_dual_cndmask_b32 v179, v181, v179 :: v_dual_lshlrev_b32 v180, v180, v128
	v_lshlrev_b32_e32 v128, 24, v128
	s_delay_alu instid0(VALU_DEP_2) | instskip(NEXT) | instid1(VALU_DEP_3)
	v_and_b32_e32 v180, 7, v180
	v_lshl_add_u32 v179, v179, 23, 0x3b800000
	s_delay_alu instid0(VALU_DEP_3) | instskip(NEXT) | instid1(VALU_DEP_3)
	v_and_b32_e32 v128, 0x80000000, v128
	v_cndmask_b32_e32 v178, v178, v180, vcc_lo
	s_delay_alu instid0(VALU_DEP_1) | instskip(NEXT) | instid1(VALU_DEP_1)
	v_lshlrev_b32_e32 v178, 20, v178
	v_or3_b32 v178, v128, v179, v178
.LBB6_4107:                             ;   in Loop: Header=BB6_3373 Depth=2
	s_or_b32 exec_lo, exec_lo, s25
	s_waitcnt vmcnt(10) lgkmcnt(10)
	v_and_b32_e32 v179, 0xff, v177
	s_mov_b32 s11, 0
	s_mov_b32 s26, exec_lo
                                        ; implicit-def: $sgpr25
	s_delay_alu instid0(VALU_DEP_1)
	v_cmpx_lt_i16_e64 0x7f, v179
	s_xor_b32 s26, exec_lo, s26
	s_cbranch_execnz .LBB6_4580
; %bb.4108:                             ;   in Loop: Header=BB6_3373 Depth=2
	s_or_saveexec_b32 s26, s26
	v_mov_b32_e32 v128, s25
	s_xor_b32 exec_lo, exec_lo, s26
	s_cbranch_execnz .LBB6_4583
.LBB6_4109:                             ;   in Loop: Header=BB6_3373 Depth=2
	s_or_b32 exec_lo, exec_lo, s26
	s_and_saveexec_b32 s25, s11
	s_cbranch_execz .LBB6_4111
.LBB6_4110:                             ;   in Loop: Header=BB6_3373 Depth=2
	v_lshrrev_b16 v181, 3, v177
	s_delay_alu instid0(VALU_DEP_1) | instskip(NEXT) | instid1(VALU_DEP_1)
	v_and_b32_e32 v181, 15, v181
	v_cmp_eq_u32_e32 vcc_lo, 0, v181
	v_and_b32_e32 v128, 7, v177
	s_delay_alu instid0(VALU_DEP_1) | instskip(NEXT) | instid1(VALU_DEP_1)
	v_clz_i32_u32_e32 v179, v128
	v_min_u32_e32 v179, 32, v179
	s_delay_alu instid0(VALU_DEP_1) | instskip(SKIP_1) | instid1(VALU_DEP_1)
	v_subrev_nc_u32_e32 v180, 28, v179
	v_sub_nc_u32_e32 v179, 29, v179
	v_dual_cndmask_b32 v179, v181, v179 :: v_dual_lshlrev_b32 v180, v180, v177
	v_lshlrev_b32_e32 v177, 24, v177
	s_delay_alu instid0(VALU_DEP_2) | instskip(NEXT) | instid1(VALU_DEP_3)
	v_and_b32_e32 v180, 7, v180
	v_lshl_add_u32 v179, v179, 23, 0x3b800000
	s_delay_alu instid0(VALU_DEP_2) | instskip(NEXT) | instid1(VALU_DEP_1)
	v_dual_cndmask_b32 v128, v128, v180 :: v_dual_and_b32 v177, 0x80000000, v177
	v_lshlrev_b32_e32 v128, 20, v128
	s_delay_alu instid0(VALU_DEP_1)
	v_or3_b32 v128, v177, v179, v128
.LBB6_4111:                             ;   in Loop: Header=BB6_3373 Depth=2
	s_or_b32 exec_lo, exec_lo, s25
	s_delay_alu instid0(VALU_DEP_1) | instskip(NEXT) | instid1(VALU_DEP_1)
	v_add_f32_e32 v177, v178, v128
	v_and_b32_e32 v128, 0x7f800000, v177
	s_delay_alu instid0(VALU_DEP_1)
	v_cmp_ne_u32_e32 vcc_lo, 0x7f800000, v128
	v_mov_b32_e32 v128, 0x80
	s_and_saveexec_b32 s25, vcc_lo
	s_cbranch_execz .LBB6_4119
; %bb.4112:                             ;   in Loop: Header=BB6_3373 Depth=2
	v_mov_b32_e32 v128, 0
	s_mov_b32 s26, exec_lo
	v_cmpx_ne_u32_e32 0, v177
	s_cbranch_execz .LBB6_4118
; %bb.4113:                             ;   in Loop: Header=BB6_3373 Depth=2
	v_bfe_u32 v128, v177, 23, 8
	s_delay_alu instid0(VALU_DEP_1) | instskip(SKIP_1) | instid1(VALU_DEP_2)
	v_sub_nc_u32_e32 v179, 0x78, v128
	v_cmp_gt_u32_e32 vcc_lo, 0x79, v128
	v_dual_cndmask_b32 v179, 0, v179 :: v_dual_and_b32 v178, 0x7fffff, v177
	s_delay_alu instid0(VALU_DEP_1) | instskip(SKIP_2) | instid1(VALU_DEP_4)
	v_or_b32_e32 v180, 0x800000, v178
	v_cmp_eq_u32_e32 vcc_lo, 0, v128
	v_add_nc_u32_e32 v128, 0xffffff89, v128
	v_cndmask_b32_e64 v179, v179, 0x77, vcc_lo
	s_delay_alu instid0(VALU_DEP_2) | instskip(SKIP_1) | instid1(VALU_DEP_3)
	v_cndmask_b32_e64 v128, v128, 0xffffff8a, vcc_lo
	v_cndmask_b32_e32 v178, v180, v178, vcc_lo
	v_lshl_add_u32 v180, 0x100000, v179, -1
	v_lshlrev_b32_e64 v183, v179, 0x80000
	s_delay_alu instid0(VALU_DEP_3) | instskip(SKIP_1) | instid1(VALU_DEP_4)
	v_lshrrev_b32_e32 v181, v179, v178
	v_add_nc_u32_e32 v179, v179, v128
	v_and_b32_e32 v178, v180, v178
	s_delay_alu instid0(VALU_DEP_3) | instskip(NEXT) | instid1(VALU_DEP_2)
	v_bfe_u32 v182, v181, 20, 1
	v_cmp_eq_u32_e64 s11, v178, v183
	s_delay_alu instid0(VALU_DEP_2) | instskip(NEXT) | instid1(VALU_DEP_1)
	v_add_nc_u32_e32 v180, -1, v182
	v_cndmask_b32_e64 v178, 0, v180, s11
	v_lshrrev_b32_e32 v180, 23, v181
	s_mov_b32 s11, exec_lo
	s_delay_alu instid0(VALU_DEP_2) | instskip(NEXT) | instid1(VALU_DEP_2)
	v_add_nc_u32_e32 v178, v178, v181
	v_xor_b32_e32 v180, 1, v180
	s_delay_alu instid0(VALU_DEP_2) | instskip(NEXT) | instid1(VALU_DEP_1)
	v_and_b32_e32 v128, 0xfffff, v178
	v_add_nc_u32_e32 v178, v128, v181
                                        ; implicit-def: $vgpr128
	s_delay_alu instid0(VALU_DEP_3)
	v_cmpx_ne_u32_e64 v179, v180
	s_xor_b32 s11, exec_lo, s11
; %bb.4114:                             ;   in Loop: Header=BB6_3373 Depth=2
	s_delay_alu instid0(VALU_DEP_2) | instskip(SKIP_2) | instid1(VALU_DEP_2)
	v_cmp_lt_u32_e32 vcc_lo, 0xffffff, v178
	v_sub_nc_u32_e32 v128, v179, v180
	v_cndmask_b32_e64 v179, 0, 1, vcc_lo
	v_add_co_ci_u32_e32 v128, vcc_lo, 0, v128, vcc_lo
	s_delay_alu instid0(VALU_DEP_2)
	v_lshrrev_b32_e32 v178, v179, v178
; %bb.4115:                             ;   in Loop: Header=BB6_3373 Depth=2
	s_and_not1_saveexec_b32 s11, s11
; %bb.4116:                             ;   in Loop: Header=BB6_3373 Depth=2
	s_delay_alu instid0(VALU_DEP_1)
	v_bfe_u32 v128, v178, 23, 1
; %bb.4117:                             ;   in Loop: Header=BB6_3373 Depth=2
	s_or_b32 exec_lo, exec_lo, s11
	v_lshrrev_b32_e32 v178, 20, v178
	s_delay_alu instid0(VALU_DEP_2) | instskip(SKIP_2) | instid1(VALU_DEP_2)
	v_cmp_gt_i32_e32 vcc_lo, 16, v128
	v_lshrrev_b32_e32 v177, 24, v177
	v_min_i32_e32 v179, 15, v128
	v_dual_cndmask_b32 v178, 7, v178 :: v_dual_and_b32 v177, 0x80, v177
	s_delay_alu instid0(VALU_DEP_1) | instskip(SKIP_1) | instid1(VALU_DEP_2)
	v_or_b32_e32 v128, v128, v178
	v_and_b32_e32 v180, 7, v178
	v_cmp_ne_u32_e32 vcc_lo, 0, v128
	v_lshlrev_b32_e32 v179, 3, v179
	s_delay_alu instid0(VALU_DEP_1) | instskip(NEXT) | instid1(VALU_DEP_1)
	v_or3_b32 v177, v179, v177, v180
	v_cndmask_b32_e32 v128, 0, v177, vcc_lo
.LBB6_4118:                             ;   in Loop: Header=BB6_3373 Depth=2
	s_or_b32 exec_lo, exec_lo, s26
.LBB6_4119:                             ;   in Loop: Header=BB6_3373 Depth=2
	s_delay_alu instid0(SALU_CYCLE_1) | instskip(SKIP_3) | instid1(VALU_DEP_1)
	s_or_b32 exec_lo, exec_lo, s25
	v_and_b32_e32 v178, 0xff, v119
	s_mov_b32 s11, 0
	s_mov_b32 s26, exec_lo
                                        ; implicit-def: $sgpr25
	v_cmpx_lt_i16_e64 0x7f, v178
	s_xor_b32 s26, exec_lo, s26
	s_cbranch_execnz .LBB6_4584
; %bb.4120:                             ;   in Loop: Header=BB6_3373 Depth=2
	s_or_saveexec_b32 s26, s26
	v_mov_b32_e32 v177, s25
	s_xor_b32 exec_lo, exec_lo, s26
	s_cbranch_execnz .LBB6_4587
.LBB6_4121:                             ;   in Loop: Header=BB6_3373 Depth=2
	s_or_b32 exec_lo, exec_lo, s26
	s_and_saveexec_b32 s25, s11
	s_cbranch_execz .LBB6_4123
.LBB6_4122:                             ;   in Loop: Header=BB6_3373 Depth=2
	v_lshrrev_b16 v180, 3, v119
	s_delay_alu instid0(VALU_DEP_1) | instskip(NEXT) | instid1(VALU_DEP_1)
	v_and_b32_e32 v180, 15, v180
	v_cmp_eq_u32_e32 vcc_lo, 0, v180
	v_and_b32_e32 v177, 7, v119
	s_delay_alu instid0(VALU_DEP_1) | instskip(NEXT) | instid1(VALU_DEP_1)
	v_clz_i32_u32_e32 v178, v177
	v_min_u32_e32 v178, 32, v178
	s_delay_alu instid0(VALU_DEP_1) | instskip(SKIP_1) | instid1(VALU_DEP_1)
	v_subrev_nc_u32_e32 v179, 28, v178
	v_sub_nc_u32_e32 v178, 29, v178
	v_dual_cndmask_b32 v178, v180, v178 :: v_dual_lshlrev_b32 v179, v179, v119
	v_lshlrev_b32_e32 v119, 24, v119
	s_delay_alu instid0(VALU_DEP_2) | instskip(NEXT) | instid1(VALU_DEP_3)
	v_and_b32_e32 v179, 7, v179
	v_lshl_add_u32 v178, v178, 23, 0x3b800000
	s_delay_alu instid0(VALU_DEP_3) | instskip(NEXT) | instid1(VALU_DEP_3)
	v_and_b32_e32 v119, 0x80000000, v119
	v_cndmask_b32_e32 v177, v177, v179, vcc_lo
	s_delay_alu instid0(VALU_DEP_1) | instskip(NEXT) | instid1(VALU_DEP_1)
	v_lshlrev_b32_e32 v177, 20, v177
	v_or3_b32 v177, v119, v178, v177
.LBB6_4123:                             ;   in Loop: Header=BB6_3373 Depth=2
	s_or_b32 exec_lo, exec_lo, s25
	s_waitcnt vmcnt(9) lgkmcnt(9)
	v_and_b32_e32 v178, 0xff, v176
	s_mov_b32 s11, 0
	s_mov_b32 s26, exec_lo
                                        ; implicit-def: $sgpr25
	s_delay_alu instid0(VALU_DEP_1)
	v_cmpx_lt_i16_e64 0x7f, v178
	s_xor_b32 s26, exec_lo, s26
	s_cbranch_execnz .LBB6_4588
; %bb.4124:                             ;   in Loop: Header=BB6_3373 Depth=2
	s_or_saveexec_b32 s26, s26
	v_mov_b32_e32 v119, s25
	s_xor_b32 exec_lo, exec_lo, s26
	s_cbranch_execnz .LBB6_4591
.LBB6_4125:                             ;   in Loop: Header=BB6_3373 Depth=2
	s_or_b32 exec_lo, exec_lo, s26
	s_and_saveexec_b32 s25, s11
	s_cbranch_execz .LBB6_4127
.LBB6_4126:                             ;   in Loop: Header=BB6_3373 Depth=2
	v_lshrrev_b16 v180, 3, v176
	s_delay_alu instid0(VALU_DEP_1) | instskip(NEXT) | instid1(VALU_DEP_1)
	v_and_b32_e32 v180, 15, v180
	v_cmp_eq_u32_e32 vcc_lo, 0, v180
	v_and_b32_e32 v119, 7, v176
	s_delay_alu instid0(VALU_DEP_1) | instskip(NEXT) | instid1(VALU_DEP_1)
	v_clz_i32_u32_e32 v178, v119
	v_min_u32_e32 v178, 32, v178
	s_delay_alu instid0(VALU_DEP_1) | instskip(SKIP_1) | instid1(VALU_DEP_1)
	v_subrev_nc_u32_e32 v179, 28, v178
	v_sub_nc_u32_e32 v178, 29, v178
	v_dual_cndmask_b32 v178, v180, v178 :: v_dual_lshlrev_b32 v179, v179, v176
	v_lshlrev_b32_e32 v176, 24, v176
	s_delay_alu instid0(VALU_DEP_2) | instskip(NEXT) | instid1(VALU_DEP_3)
	v_and_b32_e32 v179, 7, v179
	v_lshl_add_u32 v178, v178, 23, 0x3b800000
	s_delay_alu instid0(VALU_DEP_2) | instskip(NEXT) | instid1(VALU_DEP_1)
	v_dual_cndmask_b32 v119, v119, v179 :: v_dual_and_b32 v176, 0x80000000, v176
	v_lshlrev_b32_e32 v119, 20, v119
	s_delay_alu instid0(VALU_DEP_1)
	v_or3_b32 v119, v176, v178, v119
.LBB6_4127:                             ;   in Loop: Header=BB6_3373 Depth=2
	s_or_b32 exec_lo, exec_lo, s25
	s_delay_alu instid0(VALU_DEP_1) | instskip(NEXT) | instid1(VALU_DEP_1)
	v_add_f32_e32 v176, v177, v119
	v_and_b32_e32 v119, 0x7f800000, v176
	s_delay_alu instid0(VALU_DEP_1)
	v_cmp_ne_u32_e32 vcc_lo, 0x7f800000, v119
	v_mov_b32_e32 v119, 0x80
	s_and_saveexec_b32 s25, vcc_lo
	s_cbranch_execz .LBB6_4135
; %bb.4128:                             ;   in Loop: Header=BB6_3373 Depth=2
	v_mov_b32_e32 v119, 0
	s_mov_b32 s26, exec_lo
	v_cmpx_ne_u32_e32 0, v176
	s_cbranch_execz .LBB6_4134
; %bb.4129:                             ;   in Loop: Header=BB6_3373 Depth=2
	v_bfe_u32 v119, v176, 23, 8
	s_delay_alu instid0(VALU_DEP_1) | instskip(SKIP_1) | instid1(VALU_DEP_2)
	v_sub_nc_u32_e32 v178, 0x78, v119
	v_cmp_gt_u32_e32 vcc_lo, 0x79, v119
	v_dual_cndmask_b32 v178, 0, v178 :: v_dual_and_b32 v177, 0x7fffff, v176
	s_delay_alu instid0(VALU_DEP_1) | instskip(SKIP_2) | instid1(VALU_DEP_4)
	v_or_b32_e32 v179, 0x800000, v177
	v_cmp_eq_u32_e32 vcc_lo, 0, v119
	v_add_nc_u32_e32 v119, 0xffffff89, v119
	v_cndmask_b32_e64 v178, v178, 0x77, vcc_lo
	s_delay_alu instid0(VALU_DEP_2) | instskip(SKIP_1) | instid1(VALU_DEP_3)
	v_cndmask_b32_e64 v119, v119, 0xffffff8a, vcc_lo
	v_cndmask_b32_e32 v177, v179, v177, vcc_lo
	v_lshl_add_u32 v179, 0x100000, v178, -1
	v_lshlrev_b32_e64 v182, v178, 0x80000
	s_delay_alu instid0(VALU_DEP_3) | instskip(SKIP_1) | instid1(VALU_DEP_4)
	v_lshrrev_b32_e32 v180, v178, v177
	v_add_nc_u32_e32 v178, v178, v119
	v_and_b32_e32 v177, v179, v177
	s_delay_alu instid0(VALU_DEP_3) | instskip(NEXT) | instid1(VALU_DEP_2)
	v_bfe_u32 v181, v180, 20, 1
	v_cmp_eq_u32_e64 s11, v177, v182
	s_delay_alu instid0(VALU_DEP_2) | instskip(NEXT) | instid1(VALU_DEP_1)
	v_add_nc_u32_e32 v179, -1, v181
	v_cndmask_b32_e64 v177, 0, v179, s11
	v_lshrrev_b32_e32 v179, 23, v180
	s_mov_b32 s11, exec_lo
	s_delay_alu instid0(VALU_DEP_2) | instskip(NEXT) | instid1(VALU_DEP_2)
	v_add_nc_u32_e32 v177, v177, v180
	v_xor_b32_e32 v179, 1, v179
	s_delay_alu instid0(VALU_DEP_2) | instskip(NEXT) | instid1(VALU_DEP_1)
	v_and_b32_e32 v119, 0xfffff, v177
	v_add_nc_u32_e32 v177, v119, v180
                                        ; implicit-def: $vgpr119
	s_delay_alu instid0(VALU_DEP_3)
	v_cmpx_ne_u32_e64 v178, v179
	s_xor_b32 s11, exec_lo, s11
; %bb.4130:                             ;   in Loop: Header=BB6_3373 Depth=2
	s_delay_alu instid0(VALU_DEP_2) | instskip(SKIP_2) | instid1(VALU_DEP_2)
	v_cmp_lt_u32_e32 vcc_lo, 0xffffff, v177
	v_sub_nc_u32_e32 v119, v178, v179
	v_cndmask_b32_e64 v178, 0, 1, vcc_lo
	v_add_co_ci_u32_e32 v119, vcc_lo, 0, v119, vcc_lo
	s_delay_alu instid0(VALU_DEP_2)
	v_lshrrev_b32_e32 v177, v178, v177
; %bb.4131:                             ;   in Loop: Header=BB6_3373 Depth=2
	s_and_not1_saveexec_b32 s11, s11
; %bb.4132:                             ;   in Loop: Header=BB6_3373 Depth=2
	s_delay_alu instid0(VALU_DEP_1)
	v_bfe_u32 v119, v177, 23, 1
; %bb.4133:                             ;   in Loop: Header=BB6_3373 Depth=2
	s_or_b32 exec_lo, exec_lo, s11
	v_lshrrev_b32_e32 v177, 20, v177
	s_delay_alu instid0(VALU_DEP_2) | instskip(SKIP_2) | instid1(VALU_DEP_2)
	v_cmp_gt_i32_e32 vcc_lo, 16, v119
	v_lshrrev_b32_e32 v176, 24, v176
	v_min_i32_e32 v178, 15, v119
	v_dual_cndmask_b32 v177, 7, v177 :: v_dual_and_b32 v176, 0x80, v176
	s_delay_alu instid0(VALU_DEP_1) | instskip(SKIP_1) | instid1(VALU_DEP_2)
	v_or_b32_e32 v119, v119, v177
	v_and_b32_e32 v179, 7, v177
	v_cmp_ne_u32_e32 vcc_lo, 0, v119
	v_lshlrev_b32_e32 v178, 3, v178
	s_delay_alu instid0(VALU_DEP_1) | instskip(NEXT) | instid1(VALU_DEP_1)
	v_or3_b32 v176, v178, v176, v179
	v_cndmask_b32_e32 v119, 0, v176, vcc_lo
.LBB6_4134:                             ;   in Loop: Header=BB6_3373 Depth=2
	s_or_b32 exec_lo, exec_lo, s26
.LBB6_4135:                             ;   in Loop: Header=BB6_3373 Depth=2
	s_delay_alu instid0(SALU_CYCLE_1) | instskip(SKIP_3) | instid1(VALU_DEP_1)
	s_or_b32 exec_lo, exec_lo, s25
	v_and_b32_e32 v177, 0xff, v117
	s_mov_b32 s11, 0
	s_mov_b32 s26, exec_lo
                                        ; implicit-def: $sgpr25
	v_cmpx_lt_i16_e64 0x7f, v177
	s_xor_b32 s26, exec_lo, s26
	s_cbranch_execnz .LBB6_4592
; %bb.4136:                             ;   in Loop: Header=BB6_3373 Depth=2
	s_or_saveexec_b32 s26, s26
	v_mov_b32_e32 v176, s25
	s_xor_b32 exec_lo, exec_lo, s26
	s_cbranch_execnz .LBB6_4595
.LBB6_4137:                             ;   in Loop: Header=BB6_3373 Depth=2
	s_or_b32 exec_lo, exec_lo, s26
	s_and_saveexec_b32 s25, s11
	s_cbranch_execz .LBB6_4139
.LBB6_4138:                             ;   in Loop: Header=BB6_3373 Depth=2
	v_and_b32_e32 v176, 7, v117
	v_lshrrev_b16 v179, 3, v117
	s_delay_alu instid0(VALU_DEP_2) | instskip(NEXT) | instid1(VALU_DEP_1)
	v_clz_i32_u32_e32 v177, v176
	v_min_u32_e32 v177, 32, v177
	s_delay_alu instid0(VALU_DEP_1) | instskip(SKIP_1) | instid1(VALU_DEP_2)
	v_subrev_nc_u32_e32 v178, 28, v177
	v_sub_nc_u32_e32 v177, 29, v177
	v_lshlrev_b32_e32 v178, v178, v117
	v_lshlrev_b32_e32 v117, 24, v117
	s_delay_alu instid0(VALU_DEP_2) | instskip(SKIP_1) | instid1(VALU_DEP_3)
	v_and_b32_e32 v178, 7, v178
	v_and_b32_e32 v179, 15, v179
	;; [unrolled: 1-line block ×3, first 2 shown]
	s_delay_alu instid0(VALU_DEP_2) | instskip(NEXT) | instid1(VALU_DEP_4)
	v_cmp_eq_u32_e32 vcc_lo, 0, v179
	v_dual_cndmask_b32 v176, v176, v178 :: v_dual_cndmask_b32 v177, v179, v177
	s_delay_alu instid0(VALU_DEP_1) | instskip(NEXT) | instid1(VALU_DEP_2)
	v_lshlrev_b32_e32 v176, 20, v176
	v_lshl_add_u32 v177, v177, 23, 0x3b800000
	s_delay_alu instid0(VALU_DEP_1)
	v_or3_b32 v176, v117, v177, v176
.LBB6_4139:                             ;   in Loop: Header=BB6_3373 Depth=2
	s_or_b32 exec_lo, exec_lo, s25
	s_waitcnt vmcnt(8) lgkmcnt(8)
	v_and_b32_e32 v177, 0xff, v167
	s_mov_b32 s11, 0
	s_mov_b32 s26, exec_lo
                                        ; implicit-def: $sgpr25
	s_delay_alu instid0(VALU_DEP_1)
	v_cmpx_lt_i16_e64 0x7f, v177
	s_xor_b32 s26, exec_lo, s26
	s_cbranch_execnz .LBB6_4596
; %bb.4140:                             ;   in Loop: Header=BB6_3373 Depth=2
	s_or_saveexec_b32 s26, s26
	v_mov_b32_e32 v117, s25
	s_xor_b32 exec_lo, exec_lo, s26
	s_cbranch_execnz .LBB6_4599
.LBB6_4141:                             ;   in Loop: Header=BB6_3373 Depth=2
	s_or_b32 exec_lo, exec_lo, s26
	s_and_saveexec_b32 s25, s11
	s_cbranch_execz .LBB6_4143
.LBB6_4142:                             ;   in Loop: Header=BB6_3373 Depth=2
	v_and_b32_e32 v117, 7, v167
	v_lshrrev_b16 v179, 3, v167
	s_delay_alu instid0(VALU_DEP_2) | instskip(NEXT) | instid1(VALU_DEP_2)
	v_clz_i32_u32_e32 v177, v117
	v_and_b32_e32 v179, 15, v179
	s_delay_alu instid0(VALU_DEP_2) | instskip(NEXT) | instid1(VALU_DEP_2)
	v_min_u32_e32 v177, 32, v177
	v_cmp_eq_u32_e32 vcc_lo, 0, v179
	s_delay_alu instid0(VALU_DEP_2) | instskip(SKIP_1) | instid1(VALU_DEP_1)
	v_subrev_nc_u32_e32 v178, 28, v177
	v_sub_nc_u32_e32 v177, 29, v177
	v_dual_cndmask_b32 v177, v179, v177 :: v_dual_lshlrev_b32 v178, v178, v167
	v_lshlrev_b32_e32 v167, 24, v167
	s_delay_alu instid0(VALU_DEP_2) | instskip(NEXT) | instid1(VALU_DEP_3)
	v_and_b32_e32 v178, 7, v178
	v_lshl_add_u32 v177, v177, 23, 0x3b800000
	s_delay_alu instid0(VALU_DEP_3) | instskip(NEXT) | instid1(VALU_DEP_3)
	v_and_b32_e32 v167, 0x80000000, v167
	v_cndmask_b32_e32 v117, v117, v178, vcc_lo
	s_delay_alu instid0(VALU_DEP_1) | instskip(NEXT) | instid1(VALU_DEP_1)
	v_lshlrev_b32_e32 v117, 20, v117
	v_or3_b32 v117, v167, v177, v117
.LBB6_4143:                             ;   in Loop: Header=BB6_3373 Depth=2
	s_or_b32 exec_lo, exec_lo, s25
	s_delay_alu instid0(VALU_DEP_1) | instskip(NEXT) | instid1(VALU_DEP_1)
	v_add_f32_e32 v167, v176, v117
	v_and_b32_e32 v117, 0x7f800000, v167
	s_delay_alu instid0(VALU_DEP_1)
	v_cmp_ne_u32_e32 vcc_lo, 0x7f800000, v117
	v_mov_b32_e32 v117, 0x80
	s_and_saveexec_b32 s25, vcc_lo
	s_cbranch_execz .LBB6_4151
; %bb.4144:                             ;   in Loop: Header=BB6_3373 Depth=2
	v_mov_b32_e32 v117, 0
	s_mov_b32 s26, exec_lo
	v_cmpx_ne_u32_e32 0, v167
	s_cbranch_execz .LBB6_4150
; %bb.4145:                             ;   in Loop: Header=BB6_3373 Depth=2
	v_bfe_u32 v117, v167, 23, 8
	s_delay_alu instid0(VALU_DEP_1) | instskip(SKIP_1) | instid1(VALU_DEP_2)
	v_sub_nc_u32_e32 v177, 0x78, v117
	v_cmp_gt_u32_e32 vcc_lo, 0x79, v117
	v_dual_cndmask_b32 v177, 0, v177 :: v_dual_and_b32 v176, 0x7fffff, v167
	s_delay_alu instid0(VALU_DEP_1) | instskip(SKIP_2) | instid1(VALU_DEP_4)
	v_or_b32_e32 v178, 0x800000, v176
	v_cmp_eq_u32_e32 vcc_lo, 0, v117
	v_add_nc_u32_e32 v117, 0xffffff89, v117
	v_cndmask_b32_e64 v177, v177, 0x77, vcc_lo
	s_delay_alu instid0(VALU_DEP_4) | instskip(NEXT) | instid1(VALU_DEP_3)
	v_cndmask_b32_e32 v176, v178, v176, vcc_lo
	v_cndmask_b32_e64 v117, v117, 0xffffff8a, vcc_lo
	s_delay_alu instid0(VALU_DEP_3) | instskip(NEXT) | instid1(VALU_DEP_3)
	v_lshl_add_u32 v178, 0x100000, v177, -1
	v_lshrrev_b32_e32 v179, v177, v176
	v_lshlrev_b32_e64 v181, v177, 0x80000
	s_delay_alu instid0(VALU_DEP_4) | instskip(NEXT) | instid1(VALU_DEP_4)
	v_add_nc_u32_e32 v177, v177, v117
	v_and_b32_e32 v176, v178, v176
	s_delay_alu instid0(VALU_DEP_4) | instskip(NEXT) | instid1(VALU_DEP_2)
	v_bfe_u32 v180, v179, 20, 1
	v_cmp_eq_u32_e64 s11, v176, v181
	s_delay_alu instid0(VALU_DEP_2) | instskip(NEXT) | instid1(VALU_DEP_1)
	v_add_nc_u32_e32 v178, -1, v180
	v_cndmask_b32_e64 v176, 0, v178, s11
	v_lshrrev_b32_e32 v178, 23, v179
	s_mov_b32 s11, exec_lo
	s_delay_alu instid0(VALU_DEP_2) | instskip(NEXT) | instid1(VALU_DEP_2)
	v_add_nc_u32_e32 v176, v176, v179
	v_xor_b32_e32 v178, 1, v178
	s_delay_alu instid0(VALU_DEP_2) | instskip(NEXT) | instid1(VALU_DEP_1)
	v_and_b32_e32 v117, 0xfffff, v176
	v_add_nc_u32_e32 v176, v117, v179
                                        ; implicit-def: $vgpr117
	s_delay_alu instid0(VALU_DEP_3)
	v_cmpx_ne_u32_e64 v177, v178
	s_xor_b32 s11, exec_lo, s11
; %bb.4146:                             ;   in Loop: Header=BB6_3373 Depth=2
	s_delay_alu instid0(VALU_DEP_2) | instskip(SKIP_2) | instid1(VALU_DEP_2)
	v_cmp_lt_u32_e32 vcc_lo, 0xffffff, v176
	v_sub_nc_u32_e32 v117, v177, v178
	v_cndmask_b32_e64 v177, 0, 1, vcc_lo
	v_add_co_ci_u32_e32 v117, vcc_lo, 0, v117, vcc_lo
	s_delay_alu instid0(VALU_DEP_2)
	v_lshrrev_b32_e32 v176, v177, v176
; %bb.4147:                             ;   in Loop: Header=BB6_3373 Depth=2
	s_and_not1_saveexec_b32 s11, s11
; %bb.4148:                             ;   in Loop: Header=BB6_3373 Depth=2
	s_delay_alu instid0(VALU_DEP_1)
	v_bfe_u32 v117, v176, 23, 1
; %bb.4149:                             ;   in Loop: Header=BB6_3373 Depth=2
	s_or_b32 exec_lo, exec_lo, s11
	v_lshrrev_b32_e32 v176, 20, v176
	s_delay_alu instid0(VALU_DEP_2) | instskip(SKIP_2) | instid1(VALU_DEP_2)
	v_cmp_gt_i32_e32 vcc_lo, 16, v117
	v_lshrrev_b32_e32 v167, 24, v167
	v_min_i32_e32 v177, 15, v117
	v_dual_cndmask_b32 v176, 7, v176 :: v_dual_and_b32 v167, 0x80, v167
	s_delay_alu instid0(VALU_DEP_2) | instskip(NEXT) | instid1(VALU_DEP_2)
	v_lshlrev_b32_e32 v177, 3, v177
	v_or_b32_e32 v117, v117, v176
	s_delay_alu instid0(VALU_DEP_1) | instskip(SKIP_1) | instid1(VALU_DEP_1)
	v_cmp_ne_u32_e32 vcc_lo, 0, v117
	v_and_b32_e32 v178, 7, v176
	v_or3_b32 v167, v177, v167, v178
	s_delay_alu instid0(VALU_DEP_1)
	v_cndmask_b32_e32 v117, 0, v167, vcc_lo
.LBB6_4150:                             ;   in Loop: Header=BB6_3373 Depth=2
	s_or_b32 exec_lo, exec_lo, s26
.LBB6_4151:                             ;   in Loop: Header=BB6_3373 Depth=2
	s_delay_alu instid0(SALU_CYCLE_1) | instskip(SKIP_3) | instid1(VALU_DEP_1)
	s_or_b32 exec_lo, exec_lo, s25
	v_and_b32_e32 v176, 0xff, v115
	s_mov_b32 s11, 0
	s_mov_b32 s26, exec_lo
                                        ; implicit-def: $sgpr25
	v_cmpx_lt_i16_e64 0x7f, v176
	s_xor_b32 s26, exec_lo, s26
	s_cbranch_execnz .LBB6_4600
; %bb.4152:                             ;   in Loop: Header=BB6_3373 Depth=2
	s_or_saveexec_b32 s26, s26
	v_mov_b32_e32 v167, s25
	s_xor_b32 exec_lo, exec_lo, s26
	s_cbranch_execnz .LBB6_4603
.LBB6_4153:                             ;   in Loop: Header=BB6_3373 Depth=2
	s_or_b32 exec_lo, exec_lo, s26
	s_and_saveexec_b32 s25, s11
	s_cbranch_execz .LBB6_4155
.LBB6_4154:                             ;   in Loop: Header=BB6_3373 Depth=2
	v_lshrrev_b16 v178, 3, v115
	s_delay_alu instid0(VALU_DEP_1) | instskip(NEXT) | instid1(VALU_DEP_1)
	v_and_b32_e32 v178, 15, v178
	v_cmp_eq_u32_e32 vcc_lo, 0, v178
	v_and_b32_e32 v167, 7, v115
	s_delay_alu instid0(VALU_DEP_1) | instskip(NEXT) | instid1(VALU_DEP_1)
	v_clz_i32_u32_e32 v176, v167
	v_min_u32_e32 v176, 32, v176
	s_delay_alu instid0(VALU_DEP_1) | instskip(SKIP_1) | instid1(VALU_DEP_1)
	v_subrev_nc_u32_e32 v177, 28, v176
	v_sub_nc_u32_e32 v176, 29, v176
	v_dual_cndmask_b32 v176, v178, v176 :: v_dual_lshlrev_b32 v177, v177, v115
	v_lshlrev_b32_e32 v115, 24, v115
	s_delay_alu instid0(VALU_DEP_2) | instskip(NEXT) | instid1(VALU_DEP_3)
	v_and_b32_e32 v177, 7, v177
	v_lshl_add_u32 v176, v176, 23, 0x3b800000
	s_delay_alu instid0(VALU_DEP_3) | instskip(NEXT) | instid1(VALU_DEP_3)
	v_and_b32_e32 v115, 0x80000000, v115
	v_cndmask_b32_e32 v167, v167, v177, vcc_lo
	s_delay_alu instid0(VALU_DEP_1) | instskip(NEXT) | instid1(VALU_DEP_1)
	v_lshlrev_b32_e32 v167, 20, v167
	v_or3_b32 v167, v115, v176, v167
.LBB6_4155:                             ;   in Loop: Header=BB6_3373 Depth=2
	s_or_b32 exec_lo, exec_lo, s25
	s_waitcnt vmcnt(7) lgkmcnt(7)
	v_and_b32_e32 v176, 0xff, v163
	s_mov_b32 s11, 0
	s_mov_b32 s26, exec_lo
                                        ; implicit-def: $sgpr25
	s_delay_alu instid0(VALU_DEP_1)
	v_cmpx_lt_i16_e64 0x7f, v176
	s_xor_b32 s26, exec_lo, s26
	s_cbranch_execnz .LBB6_4604
; %bb.4156:                             ;   in Loop: Header=BB6_3373 Depth=2
	s_or_saveexec_b32 s26, s26
	v_mov_b32_e32 v115, s25
	s_xor_b32 exec_lo, exec_lo, s26
	s_cbranch_execnz .LBB6_4607
.LBB6_4157:                             ;   in Loop: Header=BB6_3373 Depth=2
	s_or_b32 exec_lo, exec_lo, s26
	s_and_saveexec_b32 s25, s11
	s_cbranch_execz .LBB6_4159
.LBB6_4158:                             ;   in Loop: Header=BB6_3373 Depth=2
	v_lshrrev_b16 v178, 3, v163
	s_delay_alu instid0(VALU_DEP_1) | instskip(NEXT) | instid1(VALU_DEP_1)
	v_and_b32_e32 v178, 15, v178
	v_cmp_eq_u32_e32 vcc_lo, 0, v178
	v_and_b32_e32 v115, 7, v163
	s_delay_alu instid0(VALU_DEP_1) | instskip(NEXT) | instid1(VALU_DEP_1)
	v_clz_i32_u32_e32 v176, v115
	v_min_u32_e32 v176, 32, v176
	s_delay_alu instid0(VALU_DEP_1) | instskip(SKIP_1) | instid1(VALU_DEP_1)
	v_subrev_nc_u32_e32 v177, 28, v176
	v_sub_nc_u32_e32 v176, 29, v176
	v_dual_cndmask_b32 v176, v178, v176 :: v_dual_lshlrev_b32 v177, v177, v163
	v_lshlrev_b32_e32 v163, 24, v163
	s_delay_alu instid0(VALU_DEP_2) | instskip(NEXT) | instid1(VALU_DEP_3)
	v_and_b32_e32 v177, 7, v177
	v_lshl_add_u32 v176, v176, 23, 0x3b800000
	s_delay_alu instid0(VALU_DEP_3) | instskip(NEXT) | instid1(VALU_DEP_3)
	v_and_b32_e32 v163, 0x80000000, v163
	v_cndmask_b32_e32 v115, v115, v177, vcc_lo
	s_delay_alu instid0(VALU_DEP_1) | instskip(NEXT) | instid1(VALU_DEP_1)
	v_lshlrev_b32_e32 v115, 20, v115
	v_or3_b32 v115, v163, v176, v115
.LBB6_4159:                             ;   in Loop: Header=BB6_3373 Depth=2
	s_or_b32 exec_lo, exec_lo, s25
	s_delay_alu instid0(VALU_DEP_1) | instskip(NEXT) | instid1(VALU_DEP_1)
	v_add_f32_e32 v163, v167, v115
	v_and_b32_e32 v115, 0x7f800000, v163
	s_delay_alu instid0(VALU_DEP_1)
	v_cmp_ne_u32_e32 vcc_lo, 0x7f800000, v115
	v_mov_b32_e32 v115, 0x80
	s_and_saveexec_b32 s25, vcc_lo
	s_cbranch_execz .LBB6_4167
; %bb.4160:                             ;   in Loop: Header=BB6_3373 Depth=2
	v_mov_b32_e32 v115, 0
	s_mov_b32 s26, exec_lo
	v_cmpx_ne_u32_e32 0, v163
	s_cbranch_execz .LBB6_4166
; %bb.4161:                             ;   in Loop: Header=BB6_3373 Depth=2
	v_bfe_u32 v115, v163, 23, 8
	s_delay_alu instid0(VALU_DEP_1) | instskip(SKIP_1) | instid1(VALU_DEP_2)
	v_sub_nc_u32_e32 v176, 0x78, v115
	v_cmp_gt_u32_e32 vcc_lo, 0x79, v115
	v_dual_cndmask_b32 v176, 0, v176 :: v_dual_and_b32 v167, 0x7fffff, v163
	s_delay_alu instid0(VALU_DEP_1) | instskip(SKIP_2) | instid1(VALU_DEP_4)
	v_or_b32_e32 v177, 0x800000, v167
	v_cmp_eq_u32_e32 vcc_lo, 0, v115
	v_add_nc_u32_e32 v115, 0xffffff89, v115
	v_cndmask_b32_e64 v176, v176, 0x77, vcc_lo
	s_delay_alu instid0(VALU_DEP_4) | instskip(NEXT) | instid1(VALU_DEP_3)
	v_cndmask_b32_e32 v167, v177, v167, vcc_lo
	v_cndmask_b32_e64 v115, v115, 0xffffff8a, vcc_lo
	s_delay_alu instid0(VALU_DEP_3) | instskip(NEXT) | instid1(VALU_DEP_3)
	v_lshl_add_u32 v177, 0x100000, v176, -1
	v_lshrrev_b32_e32 v178, v176, v167
	v_lshlrev_b32_e64 v180, v176, 0x80000
	s_delay_alu instid0(VALU_DEP_4) | instskip(NEXT) | instid1(VALU_DEP_4)
	v_add_nc_u32_e32 v176, v176, v115
	v_and_b32_e32 v167, v177, v167
	s_delay_alu instid0(VALU_DEP_4) | instskip(NEXT) | instid1(VALU_DEP_2)
	v_bfe_u32 v179, v178, 20, 1
	v_cmp_eq_u32_e64 s11, v167, v180
	s_delay_alu instid0(VALU_DEP_2) | instskip(NEXT) | instid1(VALU_DEP_1)
	v_add_nc_u32_e32 v177, -1, v179
	v_cndmask_b32_e64 v167, 0, v177, s11
	v_lshrrev_b32_e32 v177, 23, v178
	s_mov_b32 s11, exec_lo
	s_delay_alu instid0(VALU_DEP_2) | instskip(NEXT) | instid1(VALU_DEP_2)
	v_add_nc_u32_e32 v167, v167, v178
	v_xor_b32_e32 v177, 1, v177
	s_delay_alu instid0(VALU_DEP_2) | instskip(NEXT) | instid1(VALU_DEP_1)
	v_and_b32_e32 v115, 0xfffff, v167
	v_add_nc_u32_e32 v167, v115, v178
                                        ; implicit-def: $vgpr115
	s_delay_alu instid0(VALU_DEP_3)
	v_cmpx_ne_u32_e64 v176, v177
	s_xor_b32 s11, exec_lo, s11
; %bb.4162:                             ;   in Loop: Header=BB6_3373 Depth=2
	s_delay_alu instid0(VALU_DEP_2) | instskip(SKIP_2) | instid1(VALU_DEP_2)
	v_cmp_lt_u32_e32 vcc_lo, 0xffffff, v167
	v_sub_nc_u32_e32 v115, v176, v177
	v_cndmask_b32_e64 v176, 0, 1, vcc_lo
	v_add_co_ci_u32_e32 v115, vcc_lo, 0, v115, vcc_lo
	s_delay_alu instid0(VALU_DEP_2)
	v_lshrrev_b32_e32 v167, v176, v167
; %bb.4163:                             ;   in Loop: Header=BB6_3373 Depth=2
	s_and_not1_saveexec_b32 s11, s11
; %bb.4164:                             ;   in Loop: Header=BB6_3373 Depth=2
	s_delay_alu instid0(VALU_DEP_1)
	v_bfe_u32 v115, v167, 23, 1
; %bb.4165:                             ;   in Loop: Header=BB6_3373 Depth=2
	s_or_b32 exec_lo, exec_lo, s11
	v_lshrrev_b32_e32 v167, 20, v167
	s_delay_alu instid0(VALU_DEP_2) | instskip(SKIP_2) | instid1(VALU_DEP_4)
	v_cmp_gt_i32_e32 vcc_lo, 16, v115
	v_lshrrev_b32_e32 v163, 24, v163
	v_min_i32_e32 v176, 15, v115
	v_cndmask_b32_e32 v167, 7, v167, vcc_lo
	s_delay_alu instid0(VALU_DEP_3) | instskip(NEXT) | instid1(VALU_DEP_3)
	v_and_b32_e32 v163, 0x80, v163
	v_lshlrev_b32_e32 v176, 3, v176
	s_delay_alu instid0(VALU_DEP_3) | instskip(SKIP_1) | instid1(VALU_DEP_2)
	v_and_b32_e32 v177, 7, v167
	v_or_b32_e32 v115, v115, v167
	v_or3_b32 v163, v176, v163, v177
	s_delay_alu instid0(VALU_DEP_2) | instskip(NEXT) | instid1(VALU_DEP_2)
	v_cmp_ne_u32_e32 vcc_lo, 0, v115
	v_cndmask_b32_e32 v115, 0, v163, vcc_lo
.LBB6_4166:                             ;   in Loop: Header=BB6_3373 Depth=2
	s_or_b32 exec_lo, exec_lo, s26
.LBB6_4167:                             ;   in Loop: Header=BB6_3373 Depth=2
	s_delay_alu instid0(SALU_CYCLE_1) | instskip(SKIP_3) | instid1(VALU_DEP_1)
	s_or_b32 exec_lo, exec_lo, s25
	v_and_b32_e32 v167, 0xff, v114
	s_mov_b32 s11, 0
	s_mov_b32 s26, exec_lo
                                        ; implicit-def: $sgpr25
	v_cmpx_lt_i16_e64 0x7f, v167
	s_xor_b32 s26, exec_lo, s26
	s_cbranch_execnz .LBB6_4608
; %bb.4168:                             ;   in Loop: Header=BB6_3373 Depth=2
	s_or_saveexec_b32 s26, s26
	v_mov_b32_e32 v163, s25
	s_xor_b32 exec_lo, exec_lo, s26
	s_cbranch_execnz .LBB6_4611
.LBB6_4169:                             ;   in Loop: Header=BB6_3373 Depth=2
	s_or_b32 exec_lo, exec_lo, s26
	s_and_saveexec_b32 s25, s11
	s_cbranch_execz .LBB6_4171
.LBB6_4170:                             ;   in Loop: Header=BB6_3373 Depth=2
	v_and_b32_e32 v163, 7, v114
	v_lshrrev_b16 v177, 3, v114
	s_delay_alu instid0(VALU_DEP_2) | instskip(NEXT) | instid1(VALU_DEP_2)
	v_clz_i32_u32_e32 v167, v163
	v_and_b32_e32 v177, 15, v177
	s_delay_alu instid0(VALU_DEP_2) | instskip(NEXT) | instid1(VALU_DEP_2)
	v_min_u32_e32 v167, 32, v167
	v_cmp_eq_u32_e32 vcc_lo, 0, v177
	s_delay_alu instid0(VALU_DEP_2) | instskip(SKIP_1) | instid1(VALU_DEP_1)
	v_subrev_nc_u32_e32 v176, 28, v167
	v_sub_nc_u32_e32 v167, 29, v167
	v_dual_cndmask_b32 v167, v177, v167 :: v_dual_lshlrev_b32 v176, v176, v114
	s_delay_alu instid0(VALU_DEP_1) | instskip(SKIP_1) | instid1(VALU_DEP_3)
	v_and_b32_e32 v176, 7, v176
	v_lshlrev_b32_e32 v114, 24, v114
	v_lshl_add_u32 v167, v167, 23, 0x3b800000
	s_delay_alu instid0(VALU_DEP_2) | instskip(NEXT) | instid1(VALU_DEP_1)
	v_dual_cndmask_b32 v163, v163, v176 :: v_dual_and_b32 v114, 0x80000000, v114
	v_lshlrev_b32_e32 v163, 20, v163
	s_delay_alu instid0(VALU_DEP_1)
	v_or3_b32 v163, v114, v167, v163
.LBB6_4171:                             ;   in Loop: Header=BB6_3373 Depth=2
	s_or_b32 exec_lo, exec_lo, s25
	s_waitcnt vmcnt(6) lgkmcnt(6)
	v_and_b32_e32 v167, 0xff, v150
	s_mov_b32 s11, 0
	s_mov_b32 s26, exec_lo
                                        ; implicit-def: $sgpr25
	s_delay_alu instid0(VALU_DEP_1)
	v_cmpx_lt_i16_e64 0x7f, v167
	s_xor_b32 s26, exec_lo, s26
	s_cbranch_execnz .LBB6_4612
; %bb.4172:                             ;   in Loop: Header=BB6_3373 Depth=2
	s_or_saveexec_b32 s26, s26
	v_mov_b32_e32 v114, s25
	s_xor_b32 exec_lo, exec_lo, s26
	s_cbranch_execnz .LBB6_4615
.LBB6_4173:                             ;   in Loop: Header=BB6_3373 Depth=2
	s_or_b32 exec_lo, exec_lo, s26
	s_and_saveexec_b32 s25, s11
	s_cbranch_execz .LBB6_4175
.LBB6_4174:                             ;   in Loop: Header=BB6_3373 Depth=2
	v_lshrrev_b16 v177, 3, v150
	s_delay_alu instid0(VALU_DEP_1) | instskip(NEXT) | instid1(VALU_DEP_1)
	v_and_b32_e32 v177, 15, v177
	v_cmp_eq_u32_e32 vcc_lo, 0, v177
	v_and_b32_e32 v114, 7, v150
	s_delay_alu instid0(VALU_DEP_1) | instskip(NEXT) | instid1(VALU_DEP_1)
	v_clz_i32_u32_e32 v167, v114
	v_min_u32_e32 v167, 32, v167
	s_delay_alu instid0(VALU_DEP_1) | instskip(SKIP_1) | instid1(VALU_DEP_1)
	v_subrev_nc_u32_e32 v176, 28, v167
	v_sub_nc_u32_e32 v167, 29, v167
	v_dual_cndmask_b32 v167, v177, v167 :: v_dual_lshlrev_b32 v176, v176, v150
	v_lshlrev_b32_e32 v150, 24, v150
	s_delay_alu instid0(VALU_DEP_2) | instskip(NEXT) | instid1(VALU_DEP_3)
	v_and_b32_e32 v176, 7, v176
	v_lshl_add_u32 v167, v167, 23, 0x3b800000
	s_delay_alu instid0(VALU_DEP_3) | instskip(NEXT) | instid1(VALU_DEP_3)
	v_and_b32_e32 v150, 0x80000000, v150
	v_cndmask_b32_e32 v114, v114, v176, vcc_lo
	s_delay_alu instid0(VALU_DEP_1) | instskip(NEXT) | instid1(VALU_DEP_1)
	v_lshlrev_b32_e32 v114, 20, v114
	v_or3_b32 v114, v150, v167, v114
.LBB6_4175:                             ;   in Loop: Header=BB6_3373 Depth=2
	s_or_b32 exec_lo, exec_lo, s25
	s_delay_alu instid0(VALU_DEP_1) | instskip(NEXT) | instid1(VALU_DEP_1)
	v_add_f32_e32 v150, v163, v114
	v_and_b32_e32 v114, 0x7f800000, v150
	s_delay_alu instid0(VALU_DEP_1)
	v_cmp_ne_u32_e32 vcc_lo, 0x7f800000, v114
	v_mov_b32_e32 v114, 0x80
	s_and_saveexec_b32 s25, vcc_lo
	s_cbranch_execz .LBB6_4183
; %bb.4176:                             ;   in Loop: Header=BB6_3373 Depth=2
	v_mov_b32_e32 v114, 0
	s_mov_b32 s26, exec_lo
	v_cmpx_ne_u32_e32 0, v150
	s_cbranch_execz .LBB6_4182
; %bb.4177:                             ;   in Loop: Header=BB6_3373 Depth=2
	v_bfe_u32 v114, v150, 23, 8
	v_and_b32_e32 v163, 0x7fffff, v150
	s_delay_alu instid0(VALU_DEP_2) | instskip(SKIP_1) | instid1(VALU_DEP_3)
	v_sub_nc_u32_e32 v167, 0x78, v114
	v_cmp_gt_u32_e32 vcc_lo, 0x79, v114
	v_or_b32_e32 v176, 0x800000, v163
	s_delay_alu instid0(VALU_DEP_3) | instskip(SKIP_2) | instid1(VALU_DEP_3)
	v_cndmask_b32_e32 v167, 0, v167, vcc_lo
	v_cmp_eq_u32_e32 vcc_lo, 0, v114
	v_add_nc_u32_e32 v114, 0xffffff89, v114
	v_cndmask_b32_e64 v167, v167, 0x77, vcc_lo
	v_cndmask_b32_e32 v163, v176, v163, vcc_lo
	s_delay_alu instid0(VALU_DEP_3) | instskip(NEXT) | instid1(VALU_DEP_3)
	v_cndmask_b32_e64 v114, v114, 0xffffff8a, vcc_lo
	v_lshl_add_u32 v176, 0x100000, v167, -1
	s_delay_alu instid0(VALU_DEP_3) | instskip(SKIP_1) | instid1(VALU_DEP_4)
	v_lshrrev_b32_e32 v177, v167, v163
	v_lshlrev_b32_e64 v179, v167, 0x80000
	v_add_nc_u32_e32 v167, v167, v114
	s_delay_alu instid0(VALU_DEP_4) | instskip(NEXT) | instid1(VALU_DEP_4)
	v_and_b32_e32 v163, v176, v163
	v_bfe_u32 v178, v177, 20, 1
	s_delay_alu instid0(VALU_DEP_2) | instskip(NEXT) | instid1(VALU_DEP_2)
	v_cmp_eq_u32_e64 s11, v163, v179
	v_add_nc_u32_e32 v176, -1, v178
	s_delay_alu instid0(VALU_DEP_1) | instskip(SKIP_2) | instid1(VALU_DEP_2)
	v_cndmask_b32_e64 v163, 0, v176, s11
	v_lshrrev_b32_e32 v176, 23, v177
	s_mov_b32 s11, exec_lo
	v_add_nc_u32_e32 v163, v163, v177
	s_delay_alu instid0(VALU_DEP_2) | instskip(NEXT) | instid1(VALU_DEP_2)
	v_xor_b32_e32 v176, 1, v176
	v_and_b32_e32 v114, 0xfffff, v163
	s_delay_alu instid0(VALU_DEP_1) | instskip(NEXT) | instid1(VALU_DEP_3)
	v_add_nc_u32_e32 v163, v114, v177
                                        ; implicit-def: $vgpr114
	v_cmpx_ne_u32_e64 v167, v176
	s_xor_b32 s11, exec_lo, s11
; %bb.4178:                             ;   in Loop: Header=BB6_3373 Depth=2
	s_delay_alu instid0(VALU_DEP_2) | instskip(SKIP_2) | instid1(VALU_DEP_2)
	v_cmp_lt_u32_e32 vcc_lo, 0xffffff, v163
	v_sub_nc_u32_e32 v114, v167, v176
	v_cndmask_b32_e64 v167, 0, 1, vcc_lo
	v_add_co_ci_u32_e32 v114, vcc_lo, 0, v114, vcc_lo
	s_delay_alu instid0(VALU_DEP_2)
	v_lshrrev_b32_e32 v163, v167, v163
; %bb.4179:                             ;   in Loop: Header=BB6_3373 Depth=2
	s_and_not1_saveexec_b32 s11, s11
; %bb.4180:                             ;   in Loop: Header=BB6_3373 Depth=2
	s_delay_alu instid0(VALU_DEP_1)
	v_bfe_u32 v114, v163, 23, 1
; %bb.4181:                             ;   in Loop: Header=BB6_3373 Depth=2
	s_or_b32 exec_lo, exec_lo, s11
	v_lshrrev_b32_e32 v163, 20, v163
	s_delay_alu instid0(VALU_DEP_2) | instskip(SKIP_2) | instid1(VALU_DEP_2)
	v_cmp_gt_i32_e32 vcc_lo, 16, v114
	v_lshrrev_b32_e32 v150, 24, v150
	v_min_i32_e32 v167, 15, v114
	v_dual_cndmask_b32 v163, 7, v163 :: v_dual_and_b32 v150, 0x80, v150
	s_delay_alu instid0(VALU_DEP_1) | instskip(SKIP_1) | instid1(VALU_DEP_2)
	v_or_b32_e32 v114, v114, v163
	v_and_b32_e32 v176, 7, v163
	v_cmp_ne_u32_e32 vcc_lo, 0, v114
	v_lshlrev_b32_e32 v167, 3, v167
	s_delay_alu instid0(VALU_DEP_1) | instskip(NEXT) | instid1(VALU_DEP_1)
	v_or3_b32 v150, v167, v150, v176
	v_cndmask_b32_e32 v114, 0, v150, vcc_lo
.LBB6_4182:                             ;   in Loop: Header=BB6_3373 Depth=2
	s_or_b32 exec_lo, exec_lo, s26
.LBB6_4183:                             ;   in Loop: Header=BB6_3373 Depth=2
	s_delay_alu instid0(SALU_CYCLE_1) | instskip(SKIP_3) | instid1(VALU_DEP_1)
	s_or_b32 exec_lo, exec_lo, s25
	v_and_b32_e32 v163, 0xff, v70
	s_mov_b32 s11, 0
	s_mov_b32 s26, exec_lo
                                        ; implicit-def: $sgpr25
	v_cmpx_lt_i16_e64 0x7f, v163
	s_xor_b32 s26, exec_lo, s26
	s_cbranch_execnz .LBB6_4616
; %bb.4184:                             ;   in Loop: Header=BB6_3373 Depth=2
	s_or_saveexec_b32 s26, s26
	v_mov_b32_e32 v150, s25
	s_xor_b32 exec_lo, exec_lo, s26
	s_cbranch_execnz .LBB6_4619
.LBB6_4185:                             ;   in Loop: Header=BB6_3373 Depth=2
	s_or_b32 exec_lo, exec_lo, s26
	s_and_saveexec_b32 s25, s11
	s_cbranch_execz .LBB6_4187
.LBB6_4186:                             ;   in Loop: Header=BB6_3373 Depth=2
	v_lshrrev_b16 v176, 3, v70
	s_delay_alu instid0(VALU_DEP_1) | instskip(NEXT) | instid1(VALU_DEP_1)
	v_and_b32_e32 v176, 15, v176
	v_cmp_eq_u32_e32 vcc_lo, 0, v176
	v_and_b32_e32 v150, 7, v70
	s_delay_alu instid0(VALU_DEP_1) | instskip(NEXT) | instid1(VALU_DEP_1)
	v_clz_i32_u32_e32 v163, v150
	v_min_u32_e32 v163, 32, v163
	s_delay_alu instid0(VALU_DEP_1) | instskip(SKIP_1) | instid1(VALU_DEP_2)
	v_subrev_nc_u32_e32 v167, 28, v163
	v_sub_nc_u32_e32 v163, 29, v163
	v_lshlrev_b32_e32 v167, v167, v70
	s_delay_alu instid0(VALU_DEP_2) | instskip(NEXT) | instid1(VALU_DEP_2)
	v_dual_cndmask_b32 v163, v176, v163 :: v_dual_lshlrev_b32 v70, 24, v70
	v_and_b32_e32 v167, 7, v167
	s_delay_alu instid0(VALU_DEP_2) | instskip(NEXT) | instid1(VALU_DEP_3)
	v_lshl_add_u32 v163, v163, 23, 0x3b800000
	v_and_b32_e32 v70, 0x80000000, v70
	s_delay_alu instid0(VALU_DEP_3) | instskip(NEXT) | instid1(VALU_DEP_1)
	v_cndmask_b32_e32 v150, v150, v167, vcc_lo
	v_lshlrev_b32_e32 v150, 20, v150
	s_delay_alu instid0(VALU_DEP_1)
	v_or3_b32 v150, v70, v163, v150
.LBB6_4187:                             ;   in Loop: Header=BB6_3373 Depth=2
	s_or_b32 exec_lo, exec_lo, s25
	s_waitcnt vmcnt(5) lgkmcnt(5)
	v_and_b32_e32 v163, 0xff, v145
	s_mov_b32 s11, 0
	s_mov_b32 s26, exec_lo
                                        ; implicit-def: $sgpr25
	s_delay_alu instid0(VALU_DEP_1)
	v_cmpx_lt_i16_e64 0x7f, v163
	s_xor_b32 s26, exec_lo, s26
	s_cbranch_execnz .LBB6_4620
; %bb.4188:                             ;   in Loop: Header=BB6_3373 Depth=2
	s_or_saveexec_b32 s26, s26
	v_mov_b32_e32 v70, s25
	s_xor_b32 exec_lo, exec_lo, s26
	s_cbranch_execnz .LBB6_4623
.LBB6_4189:                             ;   in Loop: Header=BB6_3373 Depth=2
	s_or_b32 exec_lo, exec_lo, s26
	s_and_saveexec_b32 s25, s11
	s_cbranch_execz .LBB6_4191
.LBB6_4190:                             ;   in Loop: Header=BB6_3373 Depth=2
	v_lshrrev_b16 v176, 3, v145
	s_delay_alu instid0(VALU_DEP_1) | instskip(NEXT) | instid1(VALU_DEP_1)
	v_and_b32_e32 v176, 15, v176
	v_cmp_eq_u32_e32 vcc_lo, 0, v176
	v_and_b32_e32 v70, 7, v145
	s_delay_alu instid0(VALU_DEP_1) | instskip(NEXT) | instid1(VALU_DEP_1)
	v_clz_i32_u32_e32 v163, v70
	v_min_u32_e32 v163, 32, v163
	s_delay_alu instid0(VALU_DEP_1) | instskip(SKIP_1) | instid1(VALU_DEP_2)
	v_subrev_nc_u32_e32 v167, 28, v163
	v_sub_nc_u32_e32 v163, 29, v163
	v_lshlrev_b32_e32 v167, v167, v145
	s_delay_alu instid0(VALU_DEP_2) | instskip(NEXT) | instid1(VALU_DEP_2)
	v_cndmask_b32_e32 v163, v176, v163, vcc_lo
	v_and_b32_e32 v167, 7, v167
	v_lshlrev_b32_e32 v145, 24, v145
	s_delay_alu instid0(VALU_DEP_3) | instskip(NEXT) | instid1(VALU_DEP_2)
	v_lshl_add_u32 v163, v163, 23, 0x3b800000
	v_dual_cndmask_b32 v70, v70, v167 :: v_dual_and_b32 v145, 0x80000000, v145
	s_delay_alu instid0(VALU_DEP_1) | instskip(NEXT) | instid1(VALU_DEP_1)
	v_lshlrev_b32_e32 v70, 20, v70
	v_or3_b32 v70, v145, v163, v70
.LBB6_4191:                             ;   in Loop: Header=BB6_3373 Depth=2
	s_or_b32 exec_lo, exec_lo, s25
	s_delay_alu instid0(VALU_DEP_1) | instskip(NEXT) | instid1(VALU_DEP_1)
	v_add_f32_e32 v145, v150, v70
	v_and_b32_e32 v70, 0x7f800000, v145
	s_delay_alu instid0(VALU_DEP_1)
	v_cmp_ne_u32_e32 vcc_lo, 0x7f800000, v70
	v_mov_b32_e32 v70, 0x80
	s_and_saveexec_b32 s25, vcc_lo
	s_cbranch_execz .LBB6_4199
; %bb.4192:                             ;   in Loop: Header=BB6_3373 Depth=2
	v_mov_b32_e32 v70, 0
	s_mov_b32 s26, exec_lo
	v_cmpx_ne_u32_e32 0, v145
	s_cbranch_execz .LBB6_4198
; %bb.4193:                             ;   in Loop: Header=BB6_3373 Depth=2
	v_bfe_u32 v70, v145, 23, 8
	s_delay_alu instid0(VALU_DEP_1) | instskip(SKIP_1) | instid1(VALU_DEP_2)
	v_sub_nc_u32_e32 v163, 0x78, v70
	v_cmp_gt_u32_e32 vcc_lo, 0x79, v70
	v_dual_cndmask_b32 v163, 0, v163 :: v_dual_and_b32 v150, 0x7fffff, v145
	s_delay_alu instid0(VALU_DEP_1) | instskip(SKIP_2) | instid1(VALU_DEP_4)
	v_or_b32_e32 v167, 0x800000, v150
	v_cmp_eq_u32_e32 vcc_lo, 0, v70
	v_add_nc_u32_e32 v70, 0xffffff89, v70
	v_cndmask_b32_e64 v163, v163, 0x77, vcc_lo
	s_delay_alu instid0(VALU_DEP_4) | instskip(NEXT) | instid1(VALU_DEP_3)
	v_cndmask_b32_e32 v150, v167, v150, vcc_lo
	v_cndmask_b32_e64 v70, v70, 0xffffff8a, vcc_lo
	s_delay_alu instid0(VALU_DEP_3) | instskip(NEXT) | instid1(VALU_DEP_3)
	v_lshl_add_u32 v167, 0x100000, v163, -1
	v_lshrrev_b32_e32 v176, v163, v150
	v_lshlrev_b32_e64 v178, v163, 0x80000
	s_delay_alu instid0(VALU_DEP_4) | instskip(NEXT) | instid1(VALU_DEP_4)
	v_add_nc_u32_e32 v163, v163, v70
	v_and_b32_e32 v150, v167, v150
	s_delay_alu instid0(VALU_DEP_4) | instskip(NEXT) | instid1(VALU_DEP_2)
	v_bfe_u32 v177, v176, 20, 1
	v_cmp_eq_u32_e64 s11, v150, v178
	s_delay_alu instid0(VALU_DEP_2) | instskip(NEXT) | instid1(VALU_DEP_1)
	v_add_nc_u32_e32 v167, -1, v177
	v_cndmask_b32_e64 v150, 0, v167, s11
	v_lshrrev_b32_e32 v167, 23, v176
	s_mov_b32 s11, exec_lo
	s_delay_alu instid0(VALU_DEP_2) | instskip(NEXT) | instid1(VALU_DEP_2)
	v_add_nc_u32_e32 v150, v150, v176
	v_xor_b32_e32 v167, 1, v167
	s_delay_alu instid0(VALU_DEP_2) | instskip(NEXT) | instid1(VALU_DEP_1)
	v_and_b32_e32 v70, 0xfffff, v150
	v_add_nc_u32_e32 v150, v70, v176
                                        ; implicit-def: $vgpr70
	s_delay_alu instid0(VALU_DEP_3)
	v_cmpx_ne_u32_e64 v163, v167
	s_xor_b32 s11, exec_lo, s11
; %bb.4194:                             ;   in Loop: Header=BB6_3373 Depth=2
	s_delay_alu instid0(VALU_DEP_2) | instskip(SKIP_2) | instid1(VALU_DEP_2)
	v_cmp_lt_u32_e32 vcc_lo, 0xffffff, v150
	v_sub_nc_u32_e32 v70, v163, v167
	v_cndmask_b32_e64 v163, 0, 1, vcc_lo
	v_add_co_ci_u32_e32 v70, vcc_lo, 0, v70, vcc_lo
	s_delay_alu instid0(VALU_DEP_2)
	v_lshrrev_b32_e32 v150, v163, v150
; %bb.4195:                             ;   in Loop: Header=BB6_3373 Depth=2
	s_and_not1_saveexec_b32 s11, s11
; %bb.4196:                             ;   in Loop: Header=BB6_3373 Depth=2
	s_delay_alu instid0(VALU_DEP_1)
	v_bfe_u32 v70, v150, 23, 1
; %bb.4197:                             ;   in Loop: Header=BB6_3373 Depth=2
	s_or_b32 exec_lo, exec_lo, s11
	v_lshrrev_b32_e32 v150, 20, v150
	s_delay_alu instid0(VALU_DEP_2) | instskip(SKIP_2) | instid1(VALU_DEP_2)
	v_cmp_gt_i32_e32 vcc_lo, 16, v70
	v_lshrrev_b32_e32 v145, 24, v145
	v_min_i32_e32 v163, 15, v70
	v_dual_cndmask_b32 v150, 7, v150 :: v_dual_and_b32 v145, 0x80, v145
	s_delay_alu instid0(VALU_DEP_2) | instskip(NEXT) | instid1(VALU_DEP_2)
	v_lshlrev_b32_e32 v163, 3, v163
	v_or_b32_e32 v70, v70, v150
	s_delay_alu instid0(VALU_DEP_1) | instskip(SKIP_1) | instid1(VALU_DEP_1)
	v_cmp_ne_u32_e32 vcc_lo, 0, v70
	v_and_b32_e32 v167, 7, v150
	v_or3_b32 v145, v163, v145, v167
	s_delay_alu instid0(VALU_DEP_1)
	v_cndmask_b32_e32 v70, 0, v145, vcc_lo
.LBB6_4198:                             ;   in Loop: Header=BB6_3373 Depth=2
	s_or_b32 exec_lo, exec_lo, s26
.LBB6_4199:                             ;   in Loop: Header=BB6_3373 Depth=2
	s_delay_alu instid0(SALU_CYCLE_1) | instskip(SKIP_3) | instid1(VALU_DEP_1)
	s_or_b32 exec_lo, exec_lo, s25
	v_and_b32_e32 v150, 0xff, v68
	s_mov_b32 s11, 0
	s_mov_b32 s26, exec_lo
                                        ; implicit-def: $sgpr25
	v_cmpx_lt_i16_e64 0x7f, v150
	s_xor_b32 s26, exec_lo, s26
	s_cbranch_execnz .LBB6_4624
; %bb.4200:                             ;   in Loop: Header=BB6_3373 Depth=2
	s_or_saveexec_b32 s26, s26
	v_mov_b32_e32 v145, s25
	s_xor_b32 exec_lo, exec_lo, s26
	s_cbranch_execnz .LBB6_4627
.LBB6_4201:                             ;   in Loop: Header=BB6_3373 Depth=2
	s_or_b32 exec_lo, exec_lo, s26
	s_and_saveexec_b32 s25, s11
	s_cbranch_execz .LBB6_4203
.LBB6_4202:                             ;   in Loop: Header=BB6_3373 Depth=2
	v_lshrrev_b16 v167, 3, v68
	s_delay_alu instid0(VALU_DEP_1) | instskip(NEXT) | instid1(VALU_DEP_1)
	v_and_b32_e32 v167, 15, v167
	v_cmp_eq_u32_e32 vcc_lo, 0, v167
	v_and_b32_e32 v145, 7, v68
	s_delay_alu instid0(VALU_DEP_1) | instskip(NEXT) | instid1(VALU_DEP_1)
	v_clz_i32_u32_e32 v150, v145
	v_min_u32_e32 v150, 32, v150
	s_delay_alu instid0(VALU_DEP_1) | instskip(SKIP_1) | instid1(VALU_DEP_2)
	v_subrev_nc_u32_e32 v163, 28, v150
	v_sub_nc_u32_e32 v150, 29, v150
	v_lshlrev_b32_e32 v163, v163, v68
	s_delay_alu instid0(VALU_DEP_1) | instskip(SKIP_1) | instid1(VALU_DEP_2)
	v_dual_cndmask_b32 v150, v167, v150 :: v_dual_and_b32 v163, 7, v163
	v_lshlrev_b32_e32 v68, 24, v68
	v_lshl_add_u32 v150, v150, 23, 0x3b800000
	s_delay_alu instid0(VALU_DEP_2) | instskip(NEXT) | instid1(VALU_DEP_1)
	v_dual_cndmask_b32 v145, v145, v163 :: v_dual_and_b32 v68, 0x80000000, v68
	v_lshlrev_b32_e32 v145, 20, v145
	s_delay_alu instid0(VALU_DEP_1)
	v_or3_b32 v145, v68, v150, v145
.LBB6_4203:                             ;   in Loop: Header=BB6_3373 Depth=2
	s_or_b32 exec_lo, exec_lo, s25
	s_waitcnt vmcnt(4) lgkmcnt(4)
	v_and_b32_e32 v150, 0xff, v132
	s_mov_b32 s11, 0
	s_mov_b32 s26, exec_lo
                                        ; implicit-def: $sgpr25
	s_delay_alu instid0(VALU_DEP_1)
	v_cmpx_lt_i16_e64 0x7f, v150
	s_xor_b32 s26, exec_lo, s26
	s_cbranch_execnz .LBB6_4628
; %bb.4204:                             ;   in Loop: Header=BB6_3373 Depth=2
	s_or_saveexec_b32 s26, s26
	v_mov_b32_e32 v68, s25
	s_xor_b32 exec_lo, exec_lo, s26
	s_cbranch_execnz .LBB6_4631
.LBB6_4205:                             ;   in Loop: Header=BB6_3373 Depth=2
	s_or_b32 exec_lo, exec_lo, s26
	s_and_saveexec_b32 s25, s11
	s_cbranch_execz .LBB6_4207
.LBB6_4206:                             ;   in Loop: Header=BB6_3373 Depth=2
	v_and_b32_e32 v68, 7, v132
	v_lshrrev_b16 v167, 3, v132
	s_delay_alu instid0(VALU_DEP_2) | instskip(NEXT) | instid1(VALU_DEP_2)
	v_clz_i32_u32_e32 v150, v68
	v_and_b32_e32 v167, 15, v167
	s_delay_alu instid0(VALU_DEP_2) | instskip(NEXT) | instid1(VALU_DEP_2)
	v_min_u32_e32 v150, 32, v150
	v_cmp_eq_u32_e32 vcc_lo, 0, v167
	s_delay_alu instid0(VALU_DEP_2) | instskip(SKIP_1) | instid1(VALU_DEP_2)
	v_subrev_nc_u32_e32 v163, 28, v150
	v_sub_nc_u32_e32 v150, 29, v150
	v_lshlrev_b32_e32 v163, v163, v132
	v_lshlrev_b32_e32 v132, 24, v132
	s_delay_alu instid0(VALU_DEP_2) | instskip(NEXT) | instid1(VALU_DEP_2)
	v_dual_cndmask_b32 v150, v167, v150 :: v_dual_and_b32 v163, 7, v163
	v_and_b32_e32 v132, 0x80000000, v132
	s_delay_alu instid0(VALU_DEP_2) | instskip(NEXT) | instid1(VALU_DEP_3)
	v_lshl_add_u32 v150, v150, 23, 0x3b800000
	v_cndmask_b32_e32 v68, v68, v163, vcc_lo
	s_delay_alu instid0(VALU_DEP_1) | instskip(NEXT) | instid1(VALU_DEP_1)
	v_lshlrev_b32_e32 v68, 20, v68
	v_or3_b32 v68, v132, v150, v68
.LBB6_4207:                             ;   in Loop: Header=BB6_3373 Depth=2
	s_or_b32 exec_lo, exec_lo, s25
	s_delay_alu instid0(VALU_DEP_1) | instskip(NEXT) | instid1(VALU_DEP_1)
	v_add_f32_e32 v132, v145, v68
	v_and_b32_e32 v68, 0x7f800000, v132
	s_delay_alu instid0(VALU_DEP_1)
	v_cmp_ne_u32_e32 vcc_lo, 0x7f800000, v68
	v_mov_b32_e32 v68, 0x80
	s_and_saveexec_b32 s25, vcc_lo
	s_cbranch_execz .LBB6_4215
; %bb.4208:                             ;   in Loop: Header=BB6_3373 Depth=2
	v_mov_b32_e32 v68, 0
	s_mov_b32 s26, exec_lo
	v_cmpx_ne_u32_e32 0, v132
	s_cbranch_execz .LBB6_4214
; %bb.4209:                             ;   in Loop: Header=BB6_3373 Depth=2
	v_bfe_u32 v68, v132, 23, 8
	s_delay_alu instid0(VALU_DEP_1) | instskip(SKIP_1) | instid1(VALU_DEP_2)
	v_sub_nc_u32_e32 v150, 0x78, v68
	v_cmp_gt_u32_e32 vcc_lo, 0x79, v68
	v_dual_cndmask_b32 v150, 0, v150 :: v_dual_and_b32 v145, 0x7fffff, v132
	s_delay_alu instid0(VALU_DEP_1) | instskip(SKIP_2) | instid1(VALU_DEP_4)
	v_or_b32_e32 v163, 0x800000, v145
	v_cmp_eq_u32_e32 vcc_lo, 0, v68
	v_add_nc_u32_e32 v68, 0xffffff89, v68
	v_cndmask_b32_e64 v150, v150, 0x77, vcc_lo
	s_delay_alu instid0(VALU_DEP_4) | instskip(NEXT) | instid1(VALU_DEP_3)
	v_cndmask_b32_e32 v145, v163, v145, vcc_lo
	v_cndmask_b32_e64 v68, v68, 0xffffff8a, vcc_lo
	s_delay_alu instid0(VALU_DEP_3) | instskip(NEXT) | instid1(VALU_DEP_3)
	v_lshl_add_u32 v163, 0x100000, v150, -1
	v_lshrrev_b32_e32 v167, v150, v145
	v_lshlrev_b32_e64 v177, v150, 0x80000
	s_delay_alu instid0(VALU_DEP_4) | instskip(NEXT) | instid1(VALU_DEP_4)
	v_add_nc_u32_e32 v150, v150, v68
	v_and_b32_e32 v145, v163, v145
	s_delay_alu instid0(VALU_DEP_4) | instskip(NEXT) | instid1(VALU_DEP_2)
	v_bfe_u32 v176, v167, 20, 1
	v_cmp_eq_u32_e64 s11, v145, v177
	s_delay_alu instid0(VALU_DEP_2) | instskip(NEXT) | instid1(VALU_DEP_1)
	v_add_nc_u32_e32 v163, -1, v176
	v_cndmask_b32_e64 v145, 0, v163, s11
	v_lshrrev_b32_e32 v163, 23, v167
	s_mov_b32 s11, exec_lo
	s_delay_alu instid0(VALU_DEP_2) | instskip(NEXT) | instid1(VALU_DEP_2)
	v_add_nc_u32_e32 v145, v145, v167
	v_xor_b32_e32 v163, 1, v163
	s_delay_alu instid0(VALU_DEP_2) | instskip(NEXT) | instid1(VALU_DEP_1)
	v_and_b32_e32 v68, 0xfffff, v145
	v_add_nc_u32_e32 v145, v68, v167
                                        ; implicit-def: $vgpr68
	s_delay_alu instid0(VALU_DEP_3)
	v_cmpx_ne_u32_e64 v150, v163
	s_xor_b32 s11, exec_lo, s11
; %bb.4210:                             ;   in Loop: Header=BB6_3373 Depth=2
	s_delay_alu instid0(VALU_DEP_2) | instskip(SKIP_2) | instid1(VALU_DEP_2)
	v_cmp_lt_u32_e32 vcc_lo, 0xffffff, v145
	v_sub_nc_u32_e32 v68, v150, v163
	v_cndmask_b32_e64 v150, 0, 1, vcc_lo
	v_add_co_ci_u32_e32 v68, vcc_lo, 0, v68, vcc_lo
	s_delay_alu instid0(VALU_DEP_2)
	v_lshrrev_b32_e32 v145, v150, v145
; %bb.4211:                             ;   in Loop: Header=BB6_3373 Depth=2
	s_and_not1_saveexec_b32 s11, s11
; %bb.4212:                             ;   in Loop: Header=BB6_3373 Depth=2
	s_delay_alu instid0(VALU_DEP_1)
	v_bfe_u32 v68, v145, 23, 1
; %bb.4213:                             ;   in Loop: Header=BB6_3373 Depth=2
	s_or_b32 exec_lo, exec_lo, s11
	v_lshrrev_b32_e32 v145, 20, v145
	s_delay_alu instid0(VALU_DEP_2) | instskip(SKIP_2) | instid1(VALU_DEP_2)
	v_cmp_gt_i32_e32 vcc_lo, 16, v68
	v_lshrrev_b32_e32 v132, 24, v132
	v_min_i32_e32 v150, 15, v68
	v_dual_cndmask_b32 v145, 7, v145 :: v_dual_and_b32 v132, 0x80, v132
	s_delay_alu instid0(VALU_DEP_2) | instskip(NEXT) | instid1(VALU_DEP_2)
	v_lshlrev_b32_e32 v150, 3, v150
	v_or_b32_e32 v68, v68, v145
	s_delay_alu instid0(VALU_DEP_1) | instskip(SKIP_1) | instid1(VALU_DEP_1)
	v_cmp_ne_u32_e32 vcc_lo, 0, v68
	v_and_b32_e32 v163, 7, v145
	v_or3_b32 v132, v150, v132, v163
	s_delay_alu instid0(VALU_DEP_1)
	v_cndmask_b32_e32 v68, 0, v132, vcc_lo
.LBB6_4214:                             ;   in Loop: Header=BB6_3373 Depth=2
	s_or_b32 exec_lo, exec_lo, s26
.LBB6_4215:                             ;   in Loop: Header=BB6_3373 Depth=2
	s_delay_alu instid0(SALU_CYCLE_1) | instskip(SKIP_3) | instid1(VALU_DEP_1)
	s_or_b32 exec_lo, exec_lo, s25
	v_and_b32_e32 v145, 0xff, v67
	s_mov_b32 s11, 0
	s_mov_b32 s26, exec_lo
                                        ; implicit-def: $sgpr25
	v_cmpx_lt_i16_e64 0x7f, v145
	s_xor_b32 s26, exec_lo, s26
	s_cbranch_execnz .LBB6_4632
; %bb.4216:                             ;   in Loop: Header=BB6_3373 Depth=2
	s_or_saveexec_b32 s26, s26
	v_mov_b32_e32 v132, s25
	s_xor_b32 exec_lo, exec_lo, s26
	s_cbranch_execnz .LBB6_4635
.LBB6_4217:                             ;   in Loop: Header=BB6_3373 Depth=2
	s_or_b32 exec_lo, exec_lo, s26
	s_and_saveexec_b32 s25, s11
	s_cbranch_execz .LBB6_4219
.LBB6_4218:                             ;   in Loop: Header=BB6_3373 Depth=2
	v_lshrrev_b16 v163, 3, v67
	s_delay_alu instid0(VALU_DEP_1) | instskip(NEXT) | instid1(VALU_DEP_1)
	v_and_b32_e32 v163, 15, v163
	v_cmp_eq_u32_e32 vcc_lo, 0, v163
	v_and_b32_e32 v132, 7, v67
	s_delay_alu instid0(VALU_DEP_1) | instskip(NEXT) | instid1(VALU_DEP_1)
	v_clz_i32_u32_e32 v145, v132
	v_min_u32_e32 v145, 32, v145
	s_delay_alu instid0(VALU_DEP_1) | instskip(SKIP_1) | instid1(VALU_DEP_1)
	v_subrev_nc_u32_e32 v150, 28, v145
	v_sub_nc_u32_e32 v145, 29, v145
	v_dual_cndmask_b32 v145, v163, v145 :: v_dual_lshlrev_b32 v150, v150, v67
	v_lshlrev_b32_e32 v67, 24, v67
	s_delay_alu instid0(VALU_DEP_2) | instskip(NEXT) | instid1(VALU_DEP_3)
	v_and_b32_e32 v150, 7, v150
	v_lshl_add_u32 v145, v145, 23, 0x3b800000
	s_delay_alu instid0(VALU_DEP_2) | instskip(NEXT) | instid1(VALU_DEP_1)
	v_dual_cndmask_b32 v132, v132, v150 :: v_dual_and_b32 v67, 0x80000000, v67
	v_lshlrev_b32_e32 v132, 20, v132
	s_delay_alu instid0(VALU_DEP_1)
	v_or3_b32 v132, v67, v145, v132
.LBB6_4219:                             ;   in Loop: Header=BB6_3373 Depth=2
	s_or_b32 exec_lo, exec_lo, s25
	s_waitcnt vmcnt(3) lgkmcnt(3)
	v_and_b32_e32 v145, 0xff, v118
	s_mov_b32 s11, 0
	s_mov_b32 s26, exec_lo
                                        ; implicit-def: $sgpr25
	s_delay_alu instid0(VALU_DEP_1)
	v_cmpx_lt_i16_e64 0x7f, v145
	s_xor_b32 s26, exec_lo, s26
	s_cbranch_execnz .LBB6_4636
; %bb.4220:                             ;   in Loop: Header=BB6_3373 Depth=2
	s_or_saveexec_b32 s26, s26
	v_mov_b32_e32 v67, s25
	s_xor_b32 exec_lo, exec_lo, s26
	s_cbranch_execnz .LBB6_4639
.LBB6_4221:                             ;   in Loop: Header=BB6_3373 Depth=2
	s_or_b32 exec_lo, exec_lo, s26
	s_and_saveexec_b32 s25, s11
	s_cbranch_execz .LBB6_4223
.LBB6_4222:                             ;   in Loop: Header=BB6_3373 Depth=2
	v_and_b32_e32 v67, 7, v118
	v_lshrrev_b16 v163, 3, v118
	s_delay_alu instid0(VALU_DEP_2) | instskip(NEXT) | instid1(VALU_DEP_2)
	v_clz_i32_u32_e32 v145, v67
	v_and_b32_e32 v163, 15, v163
	s_delay_alu instid0(VALU_DEP_2) | instskip(NEXT) | instid1(VALU_DEP_2)
	v_min_u32_e32 v145, 32, v145
	v_cmp_eq_u32_e32 vcc_lo, 0, v163
	s_delay_alu instid0(VALU_DEP_2) | instskip(SKIP_1) | instid1(VALU_DEP_1)
	v_subrev_nc_u32_e32 v150, 28, v145
	v_sub_nc_u32_e32 v145, 29, v145
	v_dual_cndmask_b32 v145, v163, v145 :: v_dual_lshlrev_b32 v150, v150, v118
	v_lshlrev_b32_e32 v118, 24, v118
	s_delay_alu instid0(VALU_DEP_2) | instskip(NEXT) | instid1(VALU_DEP_3)
	v_and_b32_e32 v150, 7, v150
	v_lshl_add_u32 v145, v145, 23, 0x3b800000
	s_delay_alu instid0(VALU_DEP_3) | instskip(NEXT) | instid1(VALU_DEP_3)
	v_and_b32_e32 v118, 0x80000000, v118
	v_cndmask_b32_e32 v67, v67, v150, vcc_lo
	s_delay_alu instid0(VALU_DEP_1) | instskip(NEXT) | instid1(VALU_DEP_1)
	v_lshlrev_b32_e32 v67, 20, v67
	v_or3_b32 v67, v118, v145, v67
.LBB6_4223:                             ;   in Loop: Header=BB6_3373 Depth=2
	s_or_b32 exec_lo, exec_lo, s25
	s_delay_alu instid0(VALU_DEP_1) | instskip(NEXT) | instid1(VALU_DEP_1)
	v_add_f32_e32 v118, v132, v67
	v_and_b32_e32 v67, 0x7f800000, v118
	s_delay_alu instid0(VALU_DEP_1)
	v_cmp_ne_u32_e32 vcc_lo, 0x7f800000, v67
	v_mov_b32_e32 v67, 0x80
	s_and_saveexec_b32 s25, vcc_lo
	s_cbranch_execz .LBB6_4231
; %bb.4224:                             ;   in Loop: Header=BB6_3373 Depth=2
	v_mov_b32_e32 v67, 0
	s_mov_b32 s26, exec_lo
	v_cmpx_ne_u32_e32 0, v118
	s_cbranch_execz .LBB6_4230
; %bb.4225:                             ;   in Loop: Header=BB6_3373 Depth=2
	v_bfe_u32 v67, v118, 23, 8
	s_delay_alu instid0(VALU_DEP_1) | instskip(SKIP_1) | instid1(VALU_DEP_2)
	v_sub_nc_u32_e32 v145, 0x78, v67
	v_cmp_gt_u32_e32 vcc_lo, 0x79, v67
	v_dual_cndmask_b32 v145, 0, v145 :: v_dual_and_b32 v132, 0x7fffff, v118
	s_delay_alu instid0(VALU_DEP_1) | instskip(SKIP_2) | instid1(VALU_DEP_4)
	v_or_b32_e32 v150, 0x800000, v132
	v_cmp_eq_u32_e32 vcc_lo, 0, v67
	v_add_nc_u32_e32 v67, 0xffffff89, v67
	v_cndmask_b32_e64 v145, v145, 0x77, vcc_lo
	s_delay_alu instid0(VALU_DEP_4) | instskip(NEXT) | instid1(VALU_DEP_3)
	v_cndmask_b32_e32 v132, v150, v132, vcc_lo
	v_cndmask_b32_e64 v67, v67, 0xffffff8a, vcc_lo
	s_delay_alu instid0(VALU_DEP_3) | instskip(NEXT) | instid1(VALU_DEP_3)
	v_lshl_add_u32 v150, 0x100000, v145, -1
	v_lshrrev_b32_e32 v163, v145, v132
	v_lshlrev_b32_e64 v176, v145, 0x80000
	s_delay_alu instid0(VALU_DEP_4) | instskip(NEXT) | instid1(VALU_DEP_4)
	v_add_nc_u32_e32 v145, v145, v67
	v_and_b32_e32 v132, v150, v132
	s_delay_alu instid0(VALU_DEP_4) | instskip(NEXT) | instid1(VALU_DEP_2)
	v_bfe_u32 v167, v163, 20, 1
	v_cmp_eq_u32_e64 s11, v132, v176
	s_delay_alu instid0(VALU_DEP_2) | instskip(NEXT) | instid1(VALU_DEP_1)
	v_add_nc_u32_e32 v150, -1, v167
	v_cndmask_b32_e64 v132, 0, v150, s11
	v_lshrrev_b32_e32 v150, 23, v163
	s_mov_b32 s11, exec_lo
	s_delay_alu instid0(VALU_DEP_2) | instskip(NEXT) | instid1(VALU_DEP_2)
	v_add_nc_u32_e32 v132, v132, v163
	v_xor_b32_e32 v150, 1, v150
	s_delay_alu instid0(VALU_DEP_2) | instskip(NEXT) | instid1(VALU_DEP_1)
	v_and_b32_e32 v67, 0xfffff, v132
	v_add_nc_u32_e32 v132, v67, v163
                                        ; implicit-def: $vgpr67
	s_delay_alu instid0(VALU_DEP_3)
	v_cmpx_ne_u32_e64 v145, v150
	s_xor_b32 s11, exec_lo, s11
; %bb.4226:                             ;   in Loop: Header=BB6_3373 Depth=2
	s_delay_alu instid0(VALU_DEP_2) | instskip(SKIP_2) | instid1(VALU_DEP_2)
	v_cmp_lt_u32_e32 vcc_lo, 0xffffff, v132
	v_sub_nc_u32_e32 v67, v145, v150
	v_cndmask_b32_e64 v145, 0, 1, vcc_lo
	v_add_co_ci_u32_e32 v67, vcc_lo, 0, v67, vcc_lo
	s_delay_alu instid0(VALU_DEP_2)
	v_lshrrev_b32_e32 v132, v145, v132
; %bb.4227:                             ;   in Loop: Header=BB6_3373 Depth=2
	s_and_not1_saveexec_b32 s11, s11
; %bb.4228:                             ;   in Loop: Header=BB6_3373 Depth=2
	s_delay_alu instid0(VALU_DEP_1)
	v_bfe_u32 v67, v132, 23, 1
; %bb.4229:                             ;   in Loop: Header=BB6_3373 Depth=2
	s_or_b32 exec_lo, exec_lo, s11
	v_lshrrev_b32_e32 v132, 20, v132
	s_delay_alu instid0(VALU_DEP_2) | instskip(SKIP_2) | instid1(VALU_DEP_2)
	v_cmp_gt_i32_e32 vcc_lo, 16, v67
	v_min_i32_e32 v145, 15, v67
	v_lshrrev_b32_e32 v118, 24, v118
	v_dual_cndmask_b32 v132, 7, v132 :: v_dual_lshlrev_b32 v145, 3, v145
	s_delay_alu instid0(VALU_DEP_2) | instskip(NEXT) | instid1(VALU_DEP_2)
	v_and_b32_e32 v118, 0x80, v118
	v_or_b32_e32 v67, v67, v132
	s_delay_alu instid0(VALU_DEP_1) | instskip(SKIP_1) | instid1(VALU_DEP_1)
	v_cmp_ne_u32_e32 vcc_lo, 0, v67
	v_and_b32_e32 v150, 7, v132
	v_or3_b32 v118, v145, v118, v150
	s_delay_alu instid0(VALU_DEP_1)
	v_cndmask_b32_e32 v67, 0, v118, vcc_lo
.LBB6_4230:                             ;   in Loop: Header=BB6_3373 Depth=2
	s_or_b32 exec_lo, exec_lo, s26
.LBB6_4231:                             ;   in Loop: Header=BB6_3373 Depth=2
	s_delay_alu instid0(SALU_CYCLE_1) | instskip(SKIP_3) | instid1(VALU_DEP_1)
	s_or_b32 exec_lo, exec_lo, s25
	v_and_b32_e32 v132, 0xff, v25
	s_mov_b32 s11, 0
	s_mov_b32 s26, exec_lo
                                        ; implicit-def: $sgpr25
	v_cmpx_lt_i16_e64 0x7f, v132
	s_xor_b32 s26, exec_lo, s26
	s_cbranch_execnz .LBB6_4640
; %bb.4232:                             ;   in Loop: Header=BB6_3373 Depth=2
	s_or_saveexec_b32 s26, s26
	v_mov_b32_e32 v118, s25
	s_xor_b32 exec_lo, exec_lo, s26
	s_cbranch_execnz .LBB6_4643
.LBB6_4233:                             ;   in Loop: Header=BB6_3373 Depth=2
	s_or_b32 exec_lo, exec_lo, s26
	s_and_saveexec_b32 s25, s11
	s_cbranch_execz .LBB6_4235
.LBB6_4234:                             ;   in Loop: Header=BB6_3373 Depth=2
	v_and_b32_e32 v118, 7, v25
	v_lshrrev_b16 v150, 3, v25
	s_delay_alu instid0(VALU_DEP_2) | instskip(NEXT) | instid1(VALU_DEP_2)
	v_clz_i32_u32_e32 v132, v118
	v_and_b32_e32 v150, 15, v150
	s_delay_alu instid0(VALU_DEP_2) | instskip(NEXT) | instid1(VALU_DEP_2)
	v_min_u32_e32 v132, 32, v132
	v_cmp_eq_u32_e32 vcc_lo, 0, v150
	s_delay_alu instid0(VALU_DEP_2) | instskip(SKIP_1) | instid1(VALU_DEP_1)
	v_subrev_nc_u32_e32 v145, 28, v132
	v_sub_nc_u32_e32 v132, 29, v132
	v_dual_cndmask_b32 v132, v150, v132 :: v_dual_lshlrev_b32 v145, v145, v25
	v_lshlrev_b32_e32 v25, 24, v25
	s_delay_alu instid0(VALU_DEP_2) | instskip(NEXT) | instid1(VALU_DEP_3)
	v_and_b32_e32 v145, 7, v145
	v_lshl_add_u32 v132, v132, 23, 0x3b800000
	s_delay_alu instid0(VALU_DEP_3) | instskip(NEXT) | instid1(VALU_DEP_3)
	v_and_b32_e32 v25, 0x80000000, v25
	v_cndmask_b32_e32 v118, v118, v145, vcc_lo
	s_delay_alu instid0(VALU_DEP_1) | instskip(NEXT) | instid1(VALU_DEP_1)
	v_lshlrev_b32_e32 v118, 20, v118
	v_or3_b32 v118, v25, v132, v118
.LBB6_4235:                             ;   in Loop: Header=BB6_3373 Depth=2
	s_or_b32 exec_lo, exec_lo, s25
	s_waitcnt vmcnt(2) lgkmcnt(2)
	v_and_b32_e32 v132, 0xff, v71
	s_mov_b32 s11, 0
	s_mov_b32 s26, exec_lo
                                        ; implicit-def: $sgpr25
	s_delay_alu instid0(VALU_DEP_1)
	v_cmpx_lt_i16_e64 0x7f, v132
	s_xor_b32 s26, exec_lo, s26
	s_cbranch_execnz .LBB6_4644
; %bb.4236:                             ;   in Loop: Header=BB6_3373 Depth=2
	s_or_saveexec_b32 s26, s26
	v_mov_b32_e32 v25, s25
	s_xor_b32 exec_lo, exec_lo, s26
	s_cbranch_execnz .LBB6_4647
.LBB6_4237:                             ;   in Loop: Header=BB6_3373 Depth=2
	s_or_b32 exec_lo, exec_lo, s26
	s_and_saveexec_b32 s25, s11
	s_cbranch_execz .LBB6_4239
.LBB6_4238:                             ;   in Loop: Header=BB6_3373 Depth=2
	v_lshrrev_b16 v150, 3, v71
	s_delay_alu instid0(VALU_DEP_1) | instskip(NEXT) | instid1(VALU_DEP_1)
	v_and_b32_e32 v150, 15, v150
	v_cmp_eq_u32_e32 vcc_lo, 0, v150
	v_and_b32_e32 v25, 7, v71
	s_delay_alu instid0(VALU_DEP_1) | instskip(NEXT) | instid1(VALU_DEP_1)
	v_clz_i32_u32_e32 v132, v25
	v_min_u32_e32 v132, 32, v132
	s_delay_alu instid0(VALU_DEP_1) | instskip(SKIP_1) | instid1(VALU_DEP_1)
	v_subrev_nc_u32_e32 v145, 28, v132
	v_sub_nc_u32_e32 v132, 29, v132
	v_dual_cndmask_b32 v132, v150, v132 :: v_dual_lshlrev_b32 v145, v145, v71
	v_lshlrev_b32_e32 v71, 24, v71
	s_delay_alu instid0(VALU_DEP_2) | instskip(NEXT) | instid1(VALU_DEP_3)
	v_and_b32_e32 v145, 7, v145
	v_lshl_add_u32 v132, v132, 23, 0x3b800000
	s_delay_alu instid0(VALU_DEP_3) | instskip(NEXT) | instid1(VALU_DEP_3)
	v_and_b32_e32 v71, 0x80000000, v71
	v_cndmask_b32_e32 v25, v25, v145, vcc_lo
	s_delay_alu instid0(VALU_DEP_1) | instskip(NEXT) | instid1(VALU_DEP_1)
	v_lshlrev_b32_e32 v25, 20, v25
	v_or3_b32 v25, v71, v132, v25
.LBB6_4239:                             ;   in Loop: Header=BB6_3373 Depth=2
	s_or_b32 exec_lo, exec_lo, s25
	s_delay_alu instid0(VALU_DEP_1) | instskip(NEXT) | instid1(VALU_DEP_1)
	v_add_f32_e32 v71, v118, v25
	v_and_b32_e32 v25, 0x7f800000, v71
	s_delay_alu instid0(VALU_DEP_1)
	v_cmp_ne_u32_e32 vcc_lo, 0x7f800000, v25
	v_mov_b32_e32 v25, 0x80
	s_and_saveexec_b32 s25, vcc_lo
	s_cbranch_execz .LBB6_4247
; %bb.4240:                             ;   in Loop: Header=BB6_3373 Depth=2
	v_mov_b32_e32 v25, 0
	s_mov_b32 s26, exec_lo
	v_cmpx_ne_u32_e32 0, v71
	s_cbranch_execz .LBB6_4246
; %bb.4241:                             ;   in Loop: Header=BB6_3373 Depth=2
	v_bfe_u32 v25, v71, 23, 8
	v_and_b32_e32 v118, 0x7fffff, v71
	s_delay_alu instid0(VALU_DEP_2) | instskip(SKIP_1) | instid1(VALU_DEP_3)
	v_sub_nc_u32_e32 v132, 0x78, v25
	v_cmp_gt_u32_e32 vcc_lo, 0x79, v25
	v_or_b32_e32 v145, 0x800000, v118
	s_delay_alu instid0(VALU_DEP_3) | instskip(SKIP_2) | instid1(VALU_DEP_3)
	v_cndmask_b32_e32 v132, 0, v132, vcc_lo
	v_cmp_eq_u32_e32 vcc_lo, 0, v25
	v_add_nc_u32_e32 v25, 0xffffff89, v25
	v_cndmask_b32_e64 v132, v132, 0x77, vcc_lo
	v_cndmask_b32_e32 v118, v145, v118, vcc_lo
	s_delay_alu instid0(VALU_DEP_3) | instskip(NEXT) | instid1(VALU_DEP_3)
	v_cndmask_b32_e64 v25, v25, 0xffffff8a, vcc_lo
	v_lshl_add_u32 v145, 0x100000, v132, -1
	s_delay_alu instid0(VALU_DEP_3) | instskip(SKIP_1) | instid1(VALU_DEP_4)
	v_lshrrev_b32_e32 v150, v132, v118
	v_lshlrev_b32_e64 v167, v132, 0x80000
	v_add_nc_u32_e32 v132, v132, v25
	s_delay_alu instid0(VALU_DEP_4) | instskip(NEXT) | instid1(VALU_DEP_4)
	v_and_b32_e32 v118, v145, v118
	v_bfe_u32 v163, v150, 20, 1
	s_delay_alu instid0(VALU_DEP_2) | instskip(NEXT) | instid1(VALU_DEP_2)
	v_cmp_eq_u32_e64 s11, v118, v167
	v_add_nc_u32_e32 v145, -1, v163
	s_delay_alu instid0(VALU_DEP_1) | instskip(SKIP_2) | instid1(VALU_DEP_2)
	v_cndmask_b32_e64 v118, 0, v145, s11
	v_lshrrev_b32_e32 v145, 23, v150
	s_mov_b32 s11, exec_lo
	v_add_nc_u32_e32 v118, v118, v150
	s_delay_alu instid0(VALU_DEP_2) | instskip(NEXT) | instid1(VALU_DEP_2)
	v_xor_b32_e32 v145, 1, v145
	v_and_b32_e32 v25, 0xfffff, v118
	s_delay_alu instid0(VALU_DEP_1) | instskip(NEXT) | instid1(VALU_DEP_3)
	v_add_nc_u32_e32 v118, v25, v150
                                        ; implicit-def: $vgpr25
	v_cmpx_ne_u32_e64 v132, v145
	s_xor_b32 s11, exec_lo, s11
; %bb.4242:                             ;   in Loop: Header=BB6_3373 Depth=2
	s_delay_alu instid0(VALU_DEP_2) | instskip(SKIP_2) | instid1(VALU_DEP_2)
	v_cmp_lt_u32_e32 vcc_lo, 0xffffff, v118
	v_sub_nc_u32_e32 v25, v132, v145
	v_cndmask_b32_e64 v132, 0, 1, vcc_lo
	v_add_co_ci_u32_e32 v25, vcc_lo, 0, v25, vcc_lo
	s_delay_alu instid0(VALU_DEP_2)
	v_lshrrev_b32_e32 v118, v132, v118
; %bb.4243:                             ;   in Loop: Header=BB6_3373 Depth=2
	s_and_not1_saveexec_b32 s11, s11
; %bb.4244:                             ;   in Loop: Header=BB6_3373 Depth=2
	s_delay_alu instid0(VALU_DEP_1)
	v_bfe_u32 v25, v118, 23, 1
; %bb.4245:                             ;   in Loop: Header=BB6_3373 Depth=2
	s_or_b32 exec_lo, exec_lo, s11
	v_lshrrev_b32_e32 v118, 20, v118
	s_delay_alu instid0(VALU_DEP_2) | instskip(SKIP_2) | instid1(VALU_DEP_2)
	v_cmp_gt_i32_e32 vcc_lo, 16, v25
	v_lshrrev_b32_e32 v71, 24, v71
	v_min_i32_e32 v132, 15, v25
	v_dual_cndmask_b32 v118, 7, v118 :: v_dual_and_b32 v71, 0x80, v71
	s_delay_alu instid0(VALU_DEP_1) | instskip(SKIP_1) | instid1(VALU_DEP_2)
	v_or_b32_e32 v25, v25, v118
	v_and_b32_e32 v145, 7, v118
	v_cmp_ne_u32_e32 vcc_lo, 0, v25
	v_lshlrev_b32_e32 v132, 3, v132
	s_delay_alu instid0(VALU_DEP_1) | instskip(NEXT) | instid1(VALU_DEP_1)
	v_or3_b32 v71, v132, v71, v145
	v_cndmask_b32_e32 v25, 0, v71, vcc_lo
.LBB6_4246:                             ;   in Loop: Header=BB6_3373 Depth=2
	s_or_b32 exec_lo, exec_lo, s26
.LBB6_4247:                             ;   in Loop: Header=BB6_3373 Depth=2
	s_delay_alu instid0(SALU_CYCLE_1) | instskip(SKIP_3) | instid1(VALU_DEP_1)
	s_or_b32 exec_lo, exec_lo, s25
	v_and_b32_e32 v118, 0xff, v23
	s_mov_b32 s11, 0
	s_mov_b32 s26, exec_lo
                                        ; implicit-def: $sgpr25
	v_cmpx_lt_i16_e32 0x7f, v118
	s_xor_b32 s26, exec_lo, s26
	s_cbranch_execnz .LBB6_4648
; %bb.4248:                             ;   in Loop: Header=BB6_3373 Depth=2
	s_or_saveexec_b32 s26, s26
	v_mov_b32_e32 v71, s25
	s_xor_b32 exec_lo, exec_lo, s26
	s_cbranch_execnz .LBB6_4651
.LBB6_4249:                             ;   in Loop: Header=BB6_3373 Depth=2
	s_or_b32 exec_lo, exec_lo, s26
	s_and_saveexec_b32 s25, s11
	s_cbranch_execz .LBB6_4251
.LBB6_4250:                             ;   in Loop: Header=BB6_3373 Depth=2
	v_lshrrev_b16 v145, 3, v23
	s_delay_alu instid0(VALU_DEP_1) | instskip(NEXT) | instid1(VALU_DEP_1)
	v_and_b32_e32 v145, 15, v145
	v_cmp_eq_u32_e32 vcc_lo, 0, v145
	v_and_b32_e32 v71, 7, v23
	s_delay_alu instid0(VALU_DEP_1) | instskip(NEXT) | instid1(VALU_DEP_1)
	v_clz_i32_u32_e32 v118, v71
	v_min_u32_e32 v118, 32, v118
	s_delay_alu instid0(VALU_DEP_1) | instskip(SKIP_1) | instid1(VALU_DEP_2)
	v_subrev_nc_u32_e32 v132, 28, v118
	v_sub_nc_u32_e32 v118, 29, v118
	v_lshlrev_b32_e32 v132, v132, v23
	s_delay_alu instid0(VALU_DEP_2) | instskip(NEXT) | instid1(VALU_DEP_2)
	v_dual_cndmask_b32 v118, v145, v118 :: v_dual_lshlrev_b32 v23, 24, v23
	v_and_b32_e32 v132, 7, v132
	s_delay_alu instid0(VALU_DEP_2) | instskip(NEXT) | instid1(VALU_DEP_3)
	v_lshl_add_u32 v118, v118, 23, 0x3b800000
	v_and_b32_e32 v23, 0x80000000, v23
	s_delay_alu instid0(VALU_DEP_3) | instskip(NEXT) | instid1(VALU_DEP_1)
	v_cndmask_b32_e32 v71, v71, v132, vcc_lo
	v_lshlrev_b32_e32 v71, 20, v71
	s_delay_alu instid0(VALU_DEP_1)
	v_or3_b32 v71, v23, v118, v71
.LBB6_4251:                             ;   in Loop: Header=BB6_3373 Depth=2
	s_or_b32 exec_lo, exec_lo, s25
	s_waitcnt vmcnt(1) lgkmcnt(1)
	v_and_b32_e32 v118, 0xff, v66
	s_mov_b32 s11, 0
	s_mov_b32 s26, exec_lo
                                        ; implicit-def: $sgpr25
	s_delay_alu instid0(VALU_DEP_1)
	v_cmpx_lt_i16_e32 0x7f, v118
	s_xor_b32 s26, exec_lo, s26
	s_cbranch_execnz .LBB6_4652
; %bb.4252:                             ;   in Loop: Header=BB6_3373 Depth=2
	s_or_saveexec_b32 s26, s26
	v_mov_b32_e32 v23, s25
	s_xor_b32 exec_lo, exec_lo, s26
	s_cbranch_execnz .LBB6_4655
.LBB6_4253:                             ;   in Loop: Header=BB6_3373 Depth=2
	s_or_b32 exec_lo, exec_lo, s26
	s_and_saveexec_b32 s25, s11
	s_cbranch_execz .LBB6_4255
.LBB6_4254:                             ;   in Loop: Header=BB6_3373 Depth=2
	v_and_b32_e32 v23, 7, v66
	v_lshrrev_b16 v145, 3, v66
	s_delay_alu instid0(VALU_DEP_2) | instskip(NEXT) | instid1(VALU_DEP_2)
	v_clz_i32_u32_e32 v118, v23
	v_and_b32_e32 v145, 15, v145
	s_delay_alu instid0(VALU_DEP_2) | instskip(NEXT) | instid1(VALU_DEP_2)
	v_min_u32_e32 v118, 32, v118
	v_cmp_eq_u32_e32 vcc_lo, 0, v145
	s_delay_alu instid0(VALU_DEP_2) | instskip(SKIP_1) | instid1(VALU_DEP_2)
	v_subrev_nc_u32_e32 v132, 28, v118
	v_sub_nc_u32_e32 v118, 29, v118
	v_lshlrev_b32_e32 v132, v132, v66
	s_delay_alu instid0(VALU_DEP_1) | instskip(NEXT) | instid1(VALU_DEP_1)
	v_and_b32_e32 v132, 7, v132
	v_dual_cndmask_b32 v23, v23, v132 :: v_dual_lshlrev_b32 v66, 24, v66
	s_delay_alu instid0(VALU_DEP_4) | instskip(NEXT) | instid1(VALU_DEP_2)
	v_cndmask_b32_e32 v118, v145, v118, vcc_lo
	v_and_b32_e32 v66, 0x80000000, v66
	s_delay_alu instid0(VALU_DEP_3) | instskip(NEXT) | instid1(VALU_DEP_3)
	v_lshlrev_b32_e32 v23, 20, v23
	v_lshl_add_u32 v118, v118, 23, 0x3b800000
	s_delay_alu instid0(VALU_DEP_1)
	v_or3_b32 v23, v66, v118, v23
.LBB6_4255:                             ;   in Loop: Header=BB6_3373 Depth=2
	s_or_b32 exec_lo, exec_lo, s25
	s_delay_alu instid0(VALU_DEP_1) | instskip(NEXT) | instid1(VALU_DEP_1)
	v_add_f32_e32 v66, v71, v23
	v_and_b32_e32 v23, 0x7f800000, v66
	s_delay_alu instid0(VALU_DEP_1)
	v_cmp_ne_u32_e32 vcc_lo, 0x7f800000, v23
	v_mov_b32_e32 v23, 0x80
	s_and_saveexec_b32 s25, vcc_lo
	s_cbranch_execz .LBB6_4263
; %bb.4256:                             ;   in Loop: Header=BB6_3373 Depth=2
	v_mov_b32_e32 v23, 0
	s_mov_b32 s26, exec_lo
	v_cmpx_ne_u32_e32 0, v66
	s_cbranch_execz .LBB6_4262
; %bb.4257:                             ;   in Loop: Header=BB6_3373 Depth=2
	v_bfe_u32 v23, v66, 23, 8
	v_and_b32_e32 v71, 0x7fffff, v66
	s_delay_alu instid0(VALU_DEP_2) | instskip(SKIP_1) | instid1(VALU_DEP_3)
	v_sub_nc_u32_e32 v118, 0x78, v23
	v_cmp_gt_u32_e32 vcc_lo, 0x79, v23
	v_or_b32_e32 v132, 0x800000, v71
	s_delay_alu instid0(VALU_DEP_3) | instskip(SKIP_2) | instid1(VALU_DEP_4)
	v_cndmask_b32_e32 v118, 0, v118, vcc_lo
	v_cmp_eq_u32_e32 vcc_lo, 0, v23
	v_add_nc_u32_e32 v23, 0xffffff89, v23
	v_cndmask_b32_e32 v71, v132, v71, vcc_lo
	s_delay_alu instid0(VALU_DEP_4) | instskip(NEXT) | instid1(VALU_DEP_3)
	v_cndmask_b32_e64 v118, v118, 0x77, vcc_lo
	v_cndmask_b32_e64 v23, v23, 0xffffff8a, vcc_lo
	s_delay_alu instid0(VALU_DEP_2) | instskip(SKIP_2) | instid1(VALU_DEP_4)
	v_lshrrev_b32_e32 v145, v118, v71
	v_lshl_add_u32 v132, 0x100000, v118, -1
	v_lshlrev_b32_e64 v163, v118, 0x80000
	v_add_nc_u32_e32 v118, v118, v23
	s_delay_alu instid0(VALU_DEP_4) | instskip(NEXT) | instid1(VALU_DEP_4)
	v_bfe_u32 v150, v145, 20, 1
	v_and_b32_e32 v71, v132, v71
	s_delay_alu instid0(VALU_DEP_2) | instskip(NEXT) | instid1(VALU_DEP_2)
	v_add_nc_u32_e32 v132, -1, v150
	v_cmp_eq_u32_e64 s11, v71, v163
	s_delay_alu instid0(VALU_DEP_1) | instskip(SKIP_2) | instid1(VALU_DEP_2)
	v_cndmask_b32_e64 v71, 0, v132, s11
	v_lshrrev_b32_e32 v132, 23, v145
	s_mov_b32 s11, exec_lo
	v_add_nc_u32_e32 v71, v71, v145
	s_delay_alu instid0(VALU_DEP_2) | instskip(NEXT) | instid1(VALU_DEP_2)
	v_xor_b32_e32 v132, 1, v132
	v_and_b32_e32 v23, 0xfffff, v71
	s_delay_alu instid0(VALU_DEP_1) | instskip(NEXT) | instid1(VALU_DEP_3)
	v_add_nc_u32_e32 v71, v23, v145
                                        ; implicit-def: $vgpr23
	v_cmpx_ne_u32_e64 v118, v132
	s_xor_b32 s11, exec_lo, s11
; %bb.4258:                             ;   in Loop: Header=BB6_3373 Depth=2
	s_delay_alu instid0(VALU_DEP_2) | instskip(SKIP_2) | instid1(VALU_DEP_2)
	v_cmp_lt_u32_e32 vcc_lo, 0xffffff, v71
	v_sub_nc_u32_e32 v23, v118, v132
	v_cndmask_b32_e64 v118, 0, 1, vcc_lo
	v_add_co_ci_u32_e32 v23, vcc_lo, 0, v23, vcc_lo
	s_delay_alu instid0(VALU_DEP_2)
	v_lshrrev_b32_e32 v71, v118, v71
; %bb.4259:                             ;   in Loop: Header=BB6_3373 Depth=2
	s_and_not1_saveexec_b32 s11, s11
; %bb.4260:                             ;   in Loop: Header=BB6_3373 Depth=2
	s_delay_alu instid0(VALU_DEP_1)
	v_bfe_u32 v23, v71, 23, 1
; %bb.4261:                             ;   in Loop: Header=BB6_3373 Depth=2
	s_or_b32 exec_lo, exec_lo, s11
	v_lshrrev_b32_e32 v71, 20, v71
	s_delay_alu instid0(VALU_DEP_2) | instskip(SKIP_2) | instid1(VALU_DEP_2)
	v_cmp_gt_i32_e32 vcc_lo, 16, v23
	v_lshrrev_b32_e32 v66, 24, v66
	v_min_i32_e32 v118, 15, v23
	v_dual_cndmask_b32 v71, 7, v71 :: v_dual_and_b32 v66, 0x80, v66
	s_delay_alu instid0(VALU_DEP_2) | instskip(NEXT) | instid1(VALU_DEP_2)
	v_lshlrev_b32_e32 v118, 3, v118
	v_or_b32_e32 v23, v23, v71
	s_delay_alu instid0(VALU_DEP_1) | instskip(SKIP_1) | instid1(VALU_DEP_1)
	v_cmp_ne_u32_e32 vcc_lo, 0, v23
	v_and_b32_e32 v132, 7, v71
	v_or3_b32 v66, v118, v66, v132
	s_delay_alu instid0(VALU_DEP_1)
	v_cndmask_b32_e32 v23, 0, v66, vcc_lo
.LBB6_4262:                             ;   in Loop: Header=BB6_3373 Depth=2
	s_or_b32 exec_lo, exec_lo, s26
.LBB6_4263:                             ;   in Loop: Header=BB6_3373 Depth=2
	s_delay_alu instid0(SALU_CYCLE_1) | instskip(SKIP_3) | instid1(VALU_DEP_1)
	s_or_b32 exec_lo, exec_lo, s25
	v_and_b32_e32 v71, 0xff, v17
	s_mov_b32 s11, 0
	s_mov_b32 s26, exec_lo
                                        ; implicit-def: $sgpr25
	v_cmpx_lt_i16_e32 0x7f, v71
	s_xor_b32 s26, exec_lo, s26
	s_cbranch_execnz .LBB6_4656
; %bb.4264:                             ;   in Loop: Header=BB6_3373 Depth=2
	s_or_saveexec_b32 s26, s26
	v_mov_b32_e32 v66, s25
	s_xor_b32 exec_lo, exec_lo, s26
	s_cbranch_execnz .LBB6_4659
.LBB6_4265:                             ;   in Loop: Header=BB6_3373 Depth=2
	s_or_b32 exec_lo, exec_lo, s26
	s_and_saveexec_b32 s25, s11
	s_cbranch_execz .LBB6_4267
.LBB6_4266:                             ;   in Loop: Header=BB6_3373 Depth=2
	v_lshrrev_b16 v132, 3, v17
	s_delay_alu instid0(VALU_DEP_1) | instskip(NEXT) | instid1(VALU_DEP_1)
	v_and_b32_e32 v132, 15, v132
	v_cmp_eq_u32_e32 vcc_lo, 0, v132
	v_and_b32_e32 v66, 7, v17
	s_delay_alu instid0(VALU_DEP_1) | instskip(NEXT) | instid1(VALU_DEP_1)
	v_clz_i32_u32_e32 v71, v66
	v_min_u32_e32 v71, 32, v71
	s_delay_alu instid0(VALU_DEP_1) | instskip(SKIP_1) | instid1(VALU_DEP_1)
	v_subrev_nc_u32_e32 v118, 28, v71
	v_sub_nc_u32_e32 v71, 29, v71
	v_dual_cndmask_b32 v71, v132, v71 :: v_dual_lshlrev_b32 v118, v118, v17
	s_delay_alu instid0(VALU_DEP_1) | instskip(SKIP_1) | instid1(VALU_DEP_3)
	v_and_b32_e32 v118, 7, v118
	v_lshlrev_b32_e32 v17, 24, v17
	v_lshl_add_u32 v71, v71, 23, 0x3b800000
	s_delay_alu instid0(VALU_DEP_2) | instskip(NEXT) | instid1(VALU_DEP_1)
	v_dual_cndmask_b32 v66, v66, v118 :: v_dual_and_b32 v17, 0x80000000, v17
	v_lshlrev_b32_e32 v66, 20, v66
	s_delay_alu instid0(VALU_DEP_1)
	v_or3_b32 v66, v17, v71, v66
.LBB6_4267:                             ;   in Loop: Header=BB6_3373 Depth=2
	s_or_b32 exec_lo, exec_lo, s25
	s_waitcnt vmcnt(0) lgkmcnt(0)
	v_and_b32_e32 v71, 0xff, v16
	s_mov_b32 s11, 0
	s_mov_b32 s26, exec_lo
                                        ; implicit-def: $sgpr25
	s_delay_alu instid0(VALU_DEP_1)
	v_cmpx_lt_i16_e32 0x7f, v71
	s_xor_b32 s26, exec_lo, s26
	s_cbranch_execnz .LBB6_4660
; %bb.4268:                             ;   in Loop: Header=BB6_3373 Depth=2
	s_or_saveexec_b32 s26, s26
	v_mov_b32_e32 v17, s25
	s_xor_b32 exec_lo, exec_lo, s26
	s_cbranch_execnz .LBB6_4663
.LBB6_4269:                             ;   in Loop: Header=BB6_3373 Depth=2
	s_or_b32 exec_lo, exec_lo, s26
	s_and_saveexec_b32 s25, s11
	s_cbranch_execz .LBB6_4271
.LBB6_4270:                             ;   in Loop: Header=BB6_3373 Depth=2
	v_and_b32_e32 v17, 7, v16
	v_lshrrev_b16 v132, 3, v16
	s_delay_alu instid0(VALU_DEP_2) | instskip(NEXT) | instid1(VALU_DEP_2)
	v_clz_i32_u32_e32 v71, v17
	v_and_b32_e32 v132, 15, v132
	s_delay_alu instid0(VALU_DEP_2) | instskip(NEXT) | instid1(VALU_DEP_2)
	v_min_u32_e32 v71, 32, v71
	v_cmp_eq_u32_e32 vcc_lo, 0, v132
	s_delay_alu instid0(VALU_DEP_2) | instskip(SKIP_1) | instid1(VALU_DEP_1)
	v_subrev_nc_u32_e32 v118, 28, v71
	v_sub_nc_u32_e32 v71, 29, v71
	v_dual_cndmask_b32 v71, v132, v71 :: v_dual_lshlrev_b32 v118, v118, v16
	v_lshlrev_b32_e32 v16, 24, v16
	s_delay_alu instid0(VALU_DEP_2) | instskip(NEXT) | instid1(VALU_DEP_3)
	v_and_b32_e32 v118, 7, v118
	v_lshl_add_u32 v71, v71, 23, 0x3b800000
	s_delay_alu instid0(VALU_DEP_2) | instskip(NEXT) | instid1(VALU_DEP_1)
	v_dual_cndmask_b32 v17, v17, v118 :: v_dual_and_b32 v16, 0x80000000, v16
	v_lshlrev_b32_e32 v17, 20, v17
	s_delay_alu instid0(VALU_DEP_1)
	v_or3_b32 v17, v16, v71, v17
.LBB6_4271:                             ;   in Loop: Header=BB6_3373 Depth=2
	s_or_b32 exec_lo, exec_lo, s25
	s_delay_alu instid0(VALU_DEP_1) | instskip(NEXT) | instid1(VALU_DEP_1)
	v_add_f32_e32 v17, v66, v17
	v_and_b32_e32 v16, 0x7f800000, v17
	s_delay_alu instid0(VALU_DEP_1)
	v_cmp_ne_u32_e32 vcc_lo, 0x7f800000, v16
	v_mov_b32_e32 v16, 0x80
	s_and_saveexec_b32 s25, vcc_lo
	s_cbranch_execz .LBB6_4279
; %bb.4272:                             ;   in Loop: Header=BB6_3373 Depth=2
	v_mov_b32_e32 v16, 0
	s_mov_b32 s26, exec_lo
	v_cmpx_ne_u32_e32 0, v17
	s_cbranch_execz .LBB6_4278
; %bb.4273:                             ;   in Loop: Header=BB6_3373 Depth=2
	v_bfe_u32 v16, v17, 23, 8
	s_delay_alu instid0(VALU_DEP_1) | instskip(SKIP_1) | instid1(VALU_DEP_2)
	v_sub_nc_u32_e32 v71, 0x78, v16
	v_cmp_gt_u32_e32 vcc_lo, 0x79, v16
	v_dual_cndmask_b32 v71, 0, v71 :: v_dual_and_b32 v66, 0x7fffff, v17
	s_delay_alu instid0(VALU_DEP_1) | instskip(SKIP_2) | instid1(VALU_DEP_4)
	v_or_b32_e32 v118, 0x800000, v66
	v_cmp_eq_u32_e32 vcc_lo, 0, v16
	v_add_nc_u32_e32 v16, 0xffffff89, v16
	v_cndmask_b32_e64 v71, v71, 0x77, vcc_lo
	s_delay_alu instid0(VALU_DEP_2) | instskip(SKIP_1) | instid1(VALU_DEP_3)
	v_cndmask_b32_e64 v16, v16, 0xffffff8a, vcc_lo
	v_cndmask_b32_e32 v66, v118, v66, vcc_lo
	v_lshl_add_u32 v118, 0x100000, v71, -1
	v_lshlrev_b32_e64 v150, v71, 0x80000
	s_delay_alu instid0(VALU_DEP_3) | instskip(SKIP_1) | instid1(VALU_DEP_4)
	v_lshrrev_b32_e32 v132, v71, v66
	v_add_nc_u32_e32 v71, v71, v16
	v_and_b32_e32 v66, v118, v66
	s_delay_alu instid0(VALU_DEP_3) | instskip(NEXT) | instid1(VALU_DEP_2)
	v_bfe_u32 v145, v132, 20, 1
	v_cmp_eq_u32_e64 s11, v66, v150
	s_delay_alu instid0(VALU_DEP_2) | instskip(NEXT) | instid1(VALU_DEP_1)
	v_add_nc_u32_e32 v118, -1, v145
	v_cndmask_b32_e64 v66, 0, v118, s11
	v_lshrrev_b32_e32 v118, 23, v132
	s_mov_b32 s11, exec_lo
	s_delay_alu instid0(VALU_DEP_2) | instskip(NEXT) | instid1(VALU_DEP_2)
	v_add_nc_u32_e32 v66, v66, v132
	v_xor_b32_e32 v118, 1, v118
	s_delay_alu instid0(VALU_DEP_2) | instskip(NEXT) | instid1(VALU_DEP_1)
	v_and_b32_e32 v16, 0xfffff, v66
	v_add_nc_u32_e32 v66, v16, v132
                                        ; implicit-def: $vgpr16
	s_delay_alu instid0(VALU_DEP_3)
	v_cmpx_ne_u32_e64 v71, v118
	s_xor_b32 s11, exec_lo, s11
; %bb.4274:                             ;   in Loop: Header=BB6_3373 Depth=2
	s_delay_alu instid0(VALU_DEP_2) | instskip(SKIP_2) | instid1(VALU_DEP_2)
	v_cmp_lt_u32_e32 vcc_lo, 0xffffff, v66
	v_sub_nc_u32_e32 v16, v71, v118
	v_cndmask_b32_e64 v71, 0, 1, vcc_lo
	v_add_co_ci_u32_e32 v16, vcc_lo, 0, v16, vcc_lo
	s_delay_alu instid0(VALU_DEP_2)
	v_lshrrev_b32_e32 v66, v71, v66
; %bb.4275:                             ;   in Loop: Header=BB6_3373 Depth=2
	s_and_not1_saveexec_b32 s11, s11
; %bb.4276:                             ;   in Loop: Header=BB6_3373 Depth=2
	s_delay_alu instid0(VALU_DEP_1)
	v_bfe_u32 v16, v66, 23, 1
; %bb.4277:                             ;   in Loop: Header=BB6_3373 Depth=2
	s_or_b32 exec_lo, exec_lo, s11
	v_lshrrev_b32_e32 v66, 20, v66
	s_delay_alu instid0(VALU_DEP_2) | instskip(SKIP_2) | instid1(VALU_DEP_2)
	v_cmp_gt_i32_e32 vcc_lo, 16, v16
	v_lshrrev_b32_e32 v17, 24, v17
	v_min_i32_e32 v71, 15, v16
	v_dual_cndmask_b32 v66, 7, v66 :: v_dual_and_b32 v17, 0x80, v17
	s_delay_alu instid0(VALU_DEP_1) | instskip(SKIP_1) | instid1(VALU_DEP_2)
	v_or_b32_e32 v16, v16, v66
	v_and_b32_e32 v118, 7, v66
	v_cmp_ne_u32_e32 vcc_lo, 0, v16
	v_lshlrev_b32_e32 v71, 3, v71
	s_delay_alu instid0(VALU_DEP_1) | instskip(NEXT) | instid1(VALU_DEP_1)
	v_or3_b32 v17, v71, v17, v118
	v_cndmask_b32_e32 v16, 0, v17, vcc_lo
.LBB6_4278:                             ;   in Loop: Header=BB6_3373 Depth=2
	s_or_b32 exec_lo, exec_lo, s26
.LBB6_4279:                             ;   in Loop: Header=BB6_3373 Depth=2
	s_delay_alu instid0(SALU_CYCLE_1)
	s_or_b32 exec_lo, exec_lo, s25
	v_add_co_u32 v176, vcc_lo, 0xfffffc20, v14
	v_add_co_ci_u32_e32 v177, vcc_lo, -1, v15, vcc_lo
	v_sub_nc_u32_e32 v21, v21, v83
	flat_store_b8 v[176:177], v24 glc slc dlc
	v_add_co_u32 v176, vcc_lo, 0xfffffc40, v14
	v_add_co_ci_u32_e32 v177, vcc_lo, -1, v15, vcc_lo
	v_add_co_u32 v178, vcc_lo, 0xfffffc60, v14
	v_add_co_ci_u32_e32 v179, vcc_lo, -1, v15, vcc_lo
	v_add_co_u32 v180, vcc_lo, 0xfffffc80, v14
	v_add_co_ci_u32_e32 v181, vcc_lo, -1, v15, vcc_lo
	v_add_co_u32 v182, vcc_lo, 0xfffffca0, v14
	v_add_co_ci_u32_e32 v183, vcc_lo, -1, v15, vcc_lo
	v_add_co_u32 v40, vcc_lo, 0xfffffcc0, v14
	v_add_co_ci_u32_e32 v41, vcc_lo, -1, v15, vcc_lo
	flat_store_b8 v[176:177], v69 glc slc dlc
	flat_store_b8 v[178:179], v116 glc slc dlc
	;; [unrolled: 1-line block ×5, first 2 shown]
	v_add_co_u32 v176, vcc_lo, 0xfffffce0, v14
	v_add_co_ci_u32_e32 v177, vcc_lo, -1, v15, vcc_lo
	v_add_co_u32 v178, vcc_lo, 0xfffffd00, v14
	v_add_co_ci_u32_e32 v179, vcc_lo, -1, v15, vcc_lo
	;; [unrolled: 2-line block ×5, first 2 shown]
	flat_store_b8 v[176:177], v160 glc slc dlc
	flat_store_b8 v[178:179], v165 glc slc dlc
	;; [unrolled: 1-line block ×5, first 2 shown]
	v_add_co_u32 v162, vcc_lo, 0xfffffd80, v14
	v_add_co_ci_u32_e32 v163, vcc_lo, -1, v15, vcc_lo
	v_add_co_u32 v164, vcc_lo, 0xfffffda0, v14
	v_add_co_ci_u32_e32 v165, vcc_lo, -1, v15, vcc_lo
	;; [unrolled: 2-line block ×5, first 2 shown]
	v_add_co_u32 v145, vcc_lo, 0xfffffe20, v14
	flat_store_b8 v[162:163], v161 glc slc dlc
	flat_store_b8 v[164:165], v151 glc slc dlc
	flat_store_b8 v[166:167], v149 glc slc dlc
	flat_store_b8 v[176:177], v148 glc slc dlc
	flat_store_b8 v[178:179], v146 glc slc dlc
	v_add_co_ci_u32_e32 v146, vcc_lo, -1, v15, vcc_lo
	v_add_co_u32 v147, vcc_lo, 0xfffffe40, v14
	v_add_co_ci_u32_e32 v148, vcc_lo, -1, v15, vcc_lo
	v_add_co_u32 v149, vcc_lo, 0xfffffe60, v14
	;; [unrolled: 2-line block ×5, first 2 shown]
	flat_store_b8 v[145:146], v144 glc slc dlc
	flat_store_b8 v[147:148], v135 glc slc dlc
	flat_store_b8 v[149:150], v133 glc slc dlc
	flat_store_b8 v[160:161], v131 glc slc dlc
	flat_store_b8 v[162:163], v130 glc slc dlc
	v_add_co_ci_u32_e32 v130, vcc_lo, -1, v15, vcc_lo
	v_add_co_u32 v131, vcc_lo, 0xfffffee0, v14
	v_add_co_ci_u32_e32 v132, vcc_lo, -1, v15, vcc_lo
	v_add_co_u32 v133, vcc_lo, 0xffffff00, v14
	;; [unrolled: 2-line block ×4, first 2 shown]
	v_add_co_ci_u32_e32 v147, vcc_lo, -1, v15, vcc_lo
	flat_store_b8 v[129:130], v128 glc slc dlc
	flat_store_b8 v[131:132], v119 glc slc dlc
	flat_store_b8 v[133:134], v117 glc slc dlc
	flat_store_b8 v[144:145], v115 glc slc dlc
	flat_store_b8 v[146:147], v114 glc slc dlc
	v_add_co_u32 v114, vcc_lo, 0xffffff60, v14
	v_add_co_ci_u32_e32 v115, vcc_lo, -1, v15, vcc_lo
	v_add_co_u32 v116, vcc_lo, 0xffffff80, v14
	v_add_co_ci_u32_e32 v117, vcc_lo, -1, v15, vcc_lo
	;; [unrolled: 2-line block ×5, first 2 shown]
	v_add_co_u32 v10, vcc_lo, v10, v102
	v_add_co_ci_u32_e32 v11, vcc_lo, v11, v103, vcc_lo
	v_add_co_u32 v12, vcc_lo, v12, v102
	v_add_co_ci_u32_e32 v13, vcc_lo, v13, v103, vcc_lo
	flat_store_b8 v[114:115], v70 glc slc dlc
	flat_store_b8 v[116:117], v68 glc slc dlc
	;; [unrolled: 1-line block ×6, first 2 shown]
	v_cmp_gt_i32_e32 vcc_lo, 1, v21
	v_add_co_u32 v14, s11, v14, v102
	s_delay_alu instid0(VALU_DEP_1) | instskip(SKIP_1) | instid1(SALU_CYCLE_1)
	v_add_co_ci_u32_e64 v15, s11, v15, v103, s11
	s_or_b32 s24, vcc_lo, s24
	s_and_not1_b32 exec_lo, exec_lo, s24
	s_cbranch_execnz .LBB6_3373
	s_branch .LBB6_4664
.LBB6_4280:                             ;   in Loop: Header=BB6_3373 Depth=2
	s_mov_b32 s11, -1
	s_mov_b32 s27, exec_lo
                                        ; implicit-def: $sgpr25
	v_cmpx_eq_u16_e32 0x80, v16
; %bb.4281:                             ;   in Loop: Header=BB6_3373 Depth=2
	s_mov_b32 s25, 0x7f800001
	s_xor_b32 s11, exec_lo, -1
; %bb.4282:                             ;   in Loop: Header=BB6_3373 Depth=2
	s_or_b32 exec_lo, exec_lo, s27
	s_delay_alu instid0(SALU_CYCLE_1)
	s_and_b32 s11, s11, exec_lo
	s_or_saveexec_b32 s26, s26
	v_mov_b32_e32 v23, s25
	s_xor_b32 exec_lo, exec_lo, s26
	s_cbranch_execz .LBB6_3385
.LBB6_4283:                             ;   in Loop: Header=BB6_3373 Depth=2
	v_cmp_ne_u16_e32 vcc_lo, 0, v16
	v_mov_b32_e32 v23, 0
	s_and_not1_b32 s11, s11, exec_lo
	s_and_b32 s25, vcc_lo, exec_lo
	s_delay_alu instid0(SALU_CYCLE_1)
	s_or_b32 s11, s11, s25
	s_or_b32 exec_lo, exec_lo, s26
	s_and_saveexec_b32 s25, s11
	s_cbranch_execnz .LBB6_3386
	s_branch .LBB6_3387
.LBB6_4284:                             ;   in Loop: Header=BB6_3373 Depth=2
	s_mov_b32 s11, -1
	s_mov_b32 s27, exec_lo
                                        ; implicit-def: $sgpr25
	v_cmpx_eq_u16_e32 0x80, v16
; %bb.4285:                             ;   in Loop: Header=BB6_3373 Depth=2
	s_mov_b32 s25, 0x7f800001
	s_xor_b32 s11, exec_lo, -1
; %bb.4286:                             ;   in Loop: Header=BB6_3373 Depth=2
	s_or_b32 exec_lo, exec_lo, s27
	s_delay_alu instid0(SALU_CYCLE_1)
	s_and_b32 s11, s11, exec_lo
	s_or_saveexec_b32 s26, s26
	v_mov_b32_e32 v23, s25
	s_xor_b32 exec_lo, exec_lo, s26
	s_cbranch_execz .LBB6_3397
.LBB6_4287:                             ;   in Loop: Header=BB6_3373 Depth=2
	v_cmp_ne_u16_e32 vcc_lo, 0, v16
	v_mov_b32_e32 v23, 0
	s_and_not1_b32 s11, s11, exec_lo
	s_and_b32 s25, vcc_lo, exec_lo
	s_delay_alu instid0(SALU_CYCLE_1)
	s_or_b32 s11, s11, s25
	s_or_b32 exec_lo, exec_lo, s26
	s_and_saveexec_b32 s25, s11
	s_cbranch_execnz .LBB6_3398
	s_branch .LBB6_3399
.LBB6_4288:                             ;   in Loop: Header=BB6_3373 Depth=2
	s_mov_b32 s11, -1
	s_mov_b32 s27, exec_lo
                                        ; implicit-def: $sgpr25
	v_cmpx_eq_u16_e32 0x80, v16
; %bb.4289:                             ;   in Loop: Header=BB6_3373 Depth=2
	s_mov_b32 s25, 0x7f800001
	s_xor_b32 s11, exec_lo, -1
; %bb.4290:                             ;   in Loop: Header=BB6_3373 Depth=2
	s_or_b32 exec_lo, exec_lo, s27
	s_delay_alu instid0(SALU_CYCLE_1)
	s_and_b32 s11, s11, exec_lo
	s_or_saveexec_b32 s26, s26
	v_mov_b32_e32 v23, s25
	s_xor_b32 exec_lo, exec_lo, s26
	s_cbranch_execz .LBB6_3409
.LBB6_4291:                             ;   in Loop: Header=BB6_3373 Depth=2
	v_cmp_ne_u16_e32 vcc_lo, 0, v16
	v_mov_b32_e32 v23, 0
	s_and_not1_b32 s11, s11, exec_lo
	s_and_b32 s25, vcc_lo, exec_lo
	s_delay_alu instid0(SALU_CYCLE_1)
	s_or_b32 s11, s11, s25
	s_or_b32 exec_lo, exec_lo, s26
	s_and_saveexec_b32 s25, s11
	s_cbranch_execnz .LBB6_3410
	s_branch .LBB6_3411
.LBB6_4292:                             ;   in Loop: Header=BB6_3373 Depth=2
	s_mov_b32 s11, -1
	s_mov_b32 s27, exec_lo
                                        ; implicit-def: $sgpr25
	v_cmpx_eq_u16_e32 0x80, v16
; %bb.4293:                             ;   in Loop: Header=BB6_3373 Depth=2
	s_mov_b32 s25, 0x7f800001
	s_xor_b32 s11, exec_lo, -1
; %bb.4294:                             ;   in Loop: Header=BB6_3373 Depth=2
	s_or_b32 exec_lo, exec_lo, s27
	s_delay_alu instid0(SALU_CYCLE_1)
	s_and_b32 s11, s11, exec_lo
	s_or_saveexec_b32 s26, s26
	v_mov_b32_e32 v23, s25
	s_xor_b32 exec_lo, exec_lo, s26
	s_cbranch_execz .LBB6_3421
.LBB6_4295:                             ;   in Loop: Header=BB6_3373 Depth=2
	v_cmp_ne_u16_e32 vcc_lo, 0, v16
	v_mov_b32_e32 v23, 0
	s_and_not1_b32 s11, s11, exec_lo
	s_and_b32 s25, vcc_lo, exec_lo
	s_delay_alu instid0(SALU_CYCLE_1)
	s_or_b32 s11, s11, s25
	s_or_b32 exec_lo, exec_lo, s26
	s_and_saveexec_b32 s25, s11
	s_cbranch_execnz .LBB6_3422
	s_branch .LBB6_3423
.LBB6_4296:                             ;   in Loop: Header=BB6_3373 Depth=2
	s_mov_b32 s11, -1
	s_mov_b32 s27, exec_lo
                                        ; implicit-def: $sgpr25
	v_cmpx_eq_u16_e32 0x80, v16
; %bb.4297:                             ;   in Loop: Header=BB6_3373 Depth=2
	s_mov_b32 s25, 0x7f800001
	s_xor_b32 s11, exec_lo, -1
; %bb.4298:                             ;   in Loop: Header=BB6_3373 Depth=2
	s_or_b32 exec_lo, exec_lo, s27
	s_delay_alu instid0(SALU_CYCLE_1)
	s_and_b32 s11, s11, exec_lo
	s_or_saveexec_b32 s26, s26
	v_mov_b32_e32 v23, s25
	s_xor_b32 exec_lo, exec_lo, s26
	s_cbranch_execz .LBB6_3433
.LBB6_4299:                             ;   in Loop: Header=BB6_3373 Depth=2
	v_cmp_ne_u16_e32 vcc_lo, 0, v16
	v_mov_b32_e32 v23, 0
	s_and_not1_b32 s11, s11, exec_lo
	s_and_b32 s25, vcc_lo, exec_lo
	s_delay_alu instid0(SALU_CYCLE_1)
	s_or_b32 s11, s11, s25
	s_or_b32 exec_lo, exec_lo, s26
	s_and_saveexec_b32 s25, s11
	s_cbranch_execnz .LBB6_3434
	s_branch .LBB6_3435
.LBB6_4300:                             ;   in Loop: Header=BB6_3373 Depth=2
	s_mov_b32 s11, -1
	s_mov_b32 s27, exec_lo
                                        ; implicit-def: $sgpr25
	v_cmpx_eq_u16_e32 0x80, v16
; %bb.4301:                             ;   in Loop: Header=BB6_3373 Depth=2
	s_mov_b32 s25, 0x7f800001
	s_xor_b32 s11, exec_lo, -1
; %bb.4302:                             ;   in Loop: Header=BB6_3373 Depth=2
	s_or_b32 exec_lo, exec_lo, s27
	s_delay_alu instid0(SALU_CYCLE_1)
	s_and_b32 s11, s11, exec_lo
	s_or_saveexec_b32 s26, s26
	v_mov_b32_e32 v23, s25
	s_xor_b32 exec_lo, exec_lo, s26
	s_cbranch_execz .LBB6_3445
.LBB6_4303:                             ;   in Loop: Header=BB6_3373 Depth=2
	v_cmp_ne_u16_e32 vcc_lo, 0, v16
	v_mov_b32_e32 v23, 0
	s_and_not1_b32 s11, s11, exec_lo
	s_and_b32 s25, vcc_lo, exec_lo
	s_delay_alu instid0(SALU_CYCLE_1)
	s_or_b32 s11, s11, s25
	s_or_b32 exec_lo, exec_lo, s26
	s_and_saveexec_b32 s25, s11
	s_cbranch_execnz .LBB6_3446
	s_branch .LBB6_3447
.LBB6_4304:                             ;   in Loop: Header=BB6_3373 Depth=2
	s_mov_b32 s11, -1
	s_mov_b32 s27, exec_lo
                                        ; implicit-def: $sgpr25
	v_cmpx_eq_u16_e32 0x80, v16
; %bb.4305:                             ;   in Loop: Header=BB6_3373 Depth=2
	s_mov_b32 s25, 0x7f800001
	s_xor_b32 s11, exec_lo, -1
; %bb.4306:                             ;   in Loop: Header=BB6_3373 Depth=2
	s_or_b32 exec_lo, exec_lo, s27
	s_delay_alu instid0(SALU_CYCLE_1)
	s_and_b32 s11, s11, exec_lo
	s_or_saveexec_b32 s26, s26
	v_mov_b32_e32 v23, s25
	s_xor_b32 exec_lo, exec_lo, s26
	s_cbranch_execz .LBB6_3457
.LBB6_4307:                             ;   in Loop: Header=BB6_3373 Depth=2
	v_cmp_ne_u16_e32 vcc_lo, 0, v16
	v_mov_b32_e32 v23, 0
	s_and_not1_b32 s11, s11, exec_lo
	s_and_b32 s25, vcc_lo, exec_lo
	s_delay_alu instid0(SALU_CYCLE_1)
	s_or_b32 s11, s11, s25
	s_or_b32 exec_lo, exec_lo, s26
	s_and_saveexec_b32 s25, s11
	s_cbranch_execnz .LBB6_3458
	s_branch .LBB6_3459
.LBB6_4308:                             ;   in Loop: Header=BB6_3373 Depth=2
	s_mov_b32 s11, -1
	s_mov_b32 s27, exec_lo
                                        ; implicit-def: $sgpr25
	v_cmpx_eq_u16_e32 0x80, v16
; %bb.4309:                             ;   in Loop: Header=BB6_3373 Depth=2
	s_mov_b32 s25, 0x7f800001
	s_xor_b32 s11, exec_lo, -1
; %bb.4310:                             ;   in Loop: Header=BB6_3373 Depth=2
	s_or_b32 exec_lo, exec_lo, s27
	s_delay_alu instid0(SALU_CYCLE_1)
	s_and_b32 s11, s11, exec_lo
	s_or_saveexec_b32 s26, s26
	v_mov_b32_e32 v23, s25
	s_xor_b32 exec_lo, exec_lo, s26
	s_cbranch_execz .LBB6_3469
.LBB6_4311:                             ;   in Loop: Header=BB6_3373 Depth=2
	v_cmp_ne_u16_e32 vcc_lo, 0, v16
	v_mov_b32_e32 v23, 0
	s_and_not1_b32 s11, s11, exec_lo
	s_and_b32 s25, vcc_lo, exec_lo
	s_delay_alu instid0(SALU_CYCLE_1)
	s_or_b32 s11, s11, s25
	s_or_b32 exec_lo, exec_lo, s26
	s_and_saveexec_b32 s25, s11
	s_cbranch_execnz .LBB6_3470
	s_branch .LBB6_3471
.LBB6_4312:                             ;   in Loop: Header=BB6_3373 Depth=2
	s_mov_b32 s11, -1
	s_mov_b32 s27, exec_lo
                                        ; implicit-def: $sgpr25
	v_cmpx_eq_u16_e32 0x80, v16
; %bb.4313:                             ;   in Loop: Header=BB6_3373 Depth=2
	s_mov_b32 s25, 0x7f800001
	s_xor_b32 s11, exec_lo, -1
; %bb.4314:                             ;   in Loop: Header=BB6_3373 Depth=2
	s_or_b32 exec_lo, exec_lo, s27
	s_delay_alu instid0(SALU_CYCLE_1)
	s_and_b32 s11, s11, exec_lo
	s_or_saveexec_b32 s26, s26
	v_mov_b32_e32 v23, s25
	s_xor_b32 exec_lo, exec_lo, s26
	s_cbranch_execz .LBB6_3481
.LBB6_4315:                             ;   in Loop: Header=BB6_3373 Depth=2
	v_cmp_ne_u16_e32 vcc_lo, 0, v16
	v_mov_b32_e32 v23, 0
	s_and_not1_b32 s11, s11, exec_lo
	s_and_b32 s25, vcc_lo, exec_lo
	s_delay_alu instid0(SALU_CYCLE_1)
	s_or_b32 s11, s11, s25
	s_or_b32 exec_lo, exec_lo, s26
	s_and_saveexec_b32 s25, s11
	s_cbranch_execnz .LBB6_3482
	s_branch .LBB6_3483
.LBB6_4316:                             ;   in Loop: Header=BB6_3373 Depth=2
	s_mov_b32 s11, -1
	s_mov_b32 s27, exec_lo
                                        ; implicit-def: $sgpr25
	v_cmpx_eq_u16_e32 0x80, v16
; %bb.4317:                             ;   in Loop: Header=BB6_3373 Depth=2
	s_mov_b32 s25, 0x7f800001
	s_xor_b32 s11, exec_lo, -1
; %bb.4318:                             ;   in Loop: Header=BB6_3373 Depth=2
	s_or_b32 exec_lo, exec_lo, s27
	s_delay_alu instid0(SALU_CYCLE_1)
	s_and_b32 s11, s11, exec_lo
	s_or_saveexec_b32 s26, s26
	v_mov_b32_e32 v23, s25
	s_xor_b32 exec_lo, exec_lo, s26
	s_cbranch_execz .LBB6_3493
.LBB6_4319:                             ;   in Loop: Header=BB6_3373 Depth=2
	v_cmp_ne_u16_e32 vcc_lo, 0, v16
	v_mov_b32_e32 v23, 0
	s_and_not1_b32 s11, s11, exec_lo
	s_and_b32 s25, vcc_lo, exec_lo
	s_delay_alu instid0(SALU_CYCLE_1)
	s_or_b32 s11, s11, s25
	s_or_b32 exec_lo, exec_lo, s26
	s_and_saveexec_b32 s25, s11
	s_cbranch_execnz .LBB6_3494
	s_branch .LBB6_3495
.LBB6_4320:                             ;   in Loop: Header=BB6_3373 Depth=2
	s_mov_b32 s11, -1
	s_mov_b32 s27, exec_lo
                                        ; implicit-def: $sgpr25
	v_cmpx_eq_u16_e32 0x80, v16
; %bb.4321:                             ;   in Loop: Header=BB6_3373 Depth=2
	s_mov_b32 s25, 0x7f800001
	s_xor_b32 s11, exec_lo, -1
; %bb.4322:                             ;   in Loop: Header=BB6_3373 Depth=2
	s_or_b32 exec_lo, exec_lo, s27
	s_delay_alu instid0(SALU_CYCLE_1)
	s_and_b32 s11, s11, exec_lo
	s_or_saveexec_b32 s26, s26
	v_mov_b32_e32 v23, s25
	s_xor_b32 exec_lo, exec_lo, s26
	s_cbranch_execz .LBB6_3505
.LBB6_4323:                             ;   in Loop: Header=BB6_3373 Depth=2
	v_cmp_ne_u16_e32 vcc_lo, 0, v16
	v_mov_b32_e32 v23, 0
	s_and_not1_b32 s11, s11, exec_lo
	s_and_b32 s25, vcc_lo, exec_lo
	s_delay_alu instid0(SALU_CYCLE_1)
	s_or_b32 s11, s11, s25
	s_or_b32 exec_lo, exec_lo, s26
	s_and_saveexec_b32 s25, s11
	s_cbranch_execnz .LBB6_3506
	s_branch .LBB6_3507
.LBB6_4324:                             ;   in Loop: Header=BB6_3373 Depth=2
	s_mov_b32 s11, -1
	s_mov_b32 s27, exec_lo
                                        ; implicit-def: $sgpr25
	v_cmpx_eq_u16_e32 0x80, v16
; %bb.4325:                             ;   in Loop: Header=BB6_3373 Depth=2
	s_mov_b32 s25, 0x7f800001
	s_xor_b32 s11, exec_lo, -1
; %bb.4326:                             ;   in Loop: Header=BB6_3373 Depth=2
	s_or_b32 exec_lo, exec_lo, s27
	s_delay_alu instid0(SALU_CYCLE_1)
	s_and_b32 s11, s11, exec_lo
	s_or_saveexec_b32 s26, s26
	v_mov_b32_e32 v23, s25
	s_xor_b32 exec_lo, exec_lo, s26
	s_cbranch_execz .LBB6_3517
.LBB6_4327:                             ;   in Loop: Header=BB6_3373 Depth=2
	v_cmp_ne_u16_e32 vcc_lo, 0, v16
	v_mov_b32_e32 v23, 0
	s_and_not1_b32 s11, s11, exec_lo
	s_and_b32 s25, vcc_lo, exec_lo
	s_delay_alu instid0(SALU_CYCLE_1)
	s_or_b32 s11, s11, s25
	s_or_b32 exec_lo, exec_lo, s26
	s_and_saveexec_b32 s25, s11
	s_cbranch_execnz .LBB6_3518
	s_branch .LBB6_3519
.LBB6_4328:                             ;   in Loop: Header=BB6_3373 Depth=2
	s_mov_b32 s11, -1
	s_mov_b32 s27, exec_lo
                                        ; implicit-def: $sgpr25
	v_cmpx_eq_u16_e32 0x80, v16
; %bb.4329:                             ;   in Loop: Header=BB6_3373 Depth=2
	s_mov_b32 s25, 0x7f800001
	s_xor_b32 s11, exec_lo, -1
; %bb.4330:                             ;   in Loop: Header=BB6_3373 Depth=2
	s_or_b32 exec_lo, exec_lo, s27
	s_delay_alu instid0(SALU_CYCLE_1)
	s_and_b32 s11, s11, exec_lo
	s_or_saveexec_b32 s26, s26
	v_mov_b32_e32 v23, s25
	s_xor_b32 exec_lo, exec_lo, s26
	s_cbranch_execz .LBB6_3529
.LBB6_4331:                             ;   in Loop: Header=BB6_3373 Depth=2
	v_cmp_ne_u16_e32 vcc_lo, 0, v16
	v_mov_b32_e32 v23, 0
	s_and_not1_b32 s11, s11, exec_lo
	s_and_b32 s25, vcc_lo, exec_lo
	s_delay_alu instid0(SALU_CYCLE_1)
	s_or_b32 s11, s11, s25
	s_or_b32 exec_lo, exec_lo, s26
	s_and_saveexec_b32 s25, s11
	s_cbranch_execnz .LBB6_3530
	s_branch .LBB6_3531
.LBB6_4332:                             ;   in Loop: Header=BB6_3373 Depth=2
	s_mov_b32 s11, -1
	s_mov_b32 s27, exec_lo
                                        ; implicit-def: $sgpr25
	v_cmpx_eq_u16_e32 0x80, v16
; %bb.4333:                             ;   in Loop: Header=BB6_3373 Depth=2
	s_mov_b32 s25, 0x7f800001
	s_xor_b32 s11, exec_lo, -1
; %bb.4334:                             ;   in Loop: Header=BB6_3373 Depth=2
	s_or_b32 exec_lo, exec_lo, s27
	s_delay_alu instid0(SALU_CYCLE_1)
	s_and_b32 s11, s11, exec_lo
	s_or_saveexec_b32 s26, s26
	v_mov_b32_e32 v23, s25
	s_xor_b32 exec_lo, exec_lo, s26
	s_cbranch_execz .LBB6_3541
.LBB6_4335:                             ;   in Loop: Header=BB6_3373 Depth=2
	v_cmp_ne_u16_e32 vcc_lo, 0, v16
	v_mov_b32_e32 v23, 0
	s_and_not1_b32 s11, s11, exec_lo
	s_and_b32 s25, vcc_lo, exec_lo
	s_delay_alu instid0(SALU_CYCLE_1)
	s_or_b32 s11, s11, s25
	s_or_b32 exec_lo, exec_lo, s26
	s_and_saveexec_b32 s25, s11
	s_cbranch_execnz .LBB6_3542
	s_branch .LBB6_3543
.LBB6_4336:                             ;   in Loop: Header=BB6_3373 Depth=2
	s_mov_b32 s11, -1
	s_mov_b32 s27, exec_lo
                                        ; implicit-def: $sgpr25
	v_cmpx_eq_u16_e32 0x80, v16
; %bb.4337:                             ;   in Loop: Header=BB6_3373 Depth=2
	s_mov_b32 s25, 0x7f800001
	s_xor_b32 s11, exec_lo, -1
; %bb.4338:                             ;   in Loop: Header=BB6_3373 Depth=2
	s_or_b32 exec_lo, exec_lo, s27
	s_delay_alu instid0(SALU_CYCLE_1)
	s_and_b32 s11, s11, exec_lo
	s_or_saveexec_b32 s26, s26
	v_mov_b32_e32 v23, s25
	s_xor_b32 exec_lo, exec_lo, s26
	s_cbranch_execz .LBB6_3553
.LBB6_4339:                             ;   in Loop: Header=BB6_3373 Depth=2
	v_cmp_ne_u16_e32 vcc_lo, 0, v16
	v_mov_b32_e32 v23, 0
	s_and_not1_b32 s11, s11, exec_lo
	s_and_b32 s25, vcc_lo, exec_lo
	s_delay_alu instid0(SALU_CYCLE_1)
	s_or_b32 s11, s11, s25
	s_or_b32 exec_lo, exec_lo, s26
	s_and_saveexec_b32 s25, s11
	s_cbranch_execnz .LBB6_3554
	s_branch .LBB6_3555
.LBB6_4340:                             ;   in Loop: Header=BB6_3373 Depth=2
	s_mov_b32 s11, -1
	s_mov_b32 s27, exec_lo
                                        ; implicit-def: $sgpr25
	v_cmpx_eq_u16_e32 0x80, v16
; %bb.4341:                             ;   in Loop: Header=BB6_3373 Depth=2
	s_mov_b32 s25, 0x7f800001
	s_xor_b32 s11, exec_lo, -1
; %bb.4342:                             ;   in Loop: Header=BB6_3373 Depth=2
	s_or_b32 exec_lo, exec_lo, s27
	s_delay_alu instid0(SALU_CYCLE_1)
	s_and_b32 s11, s11, exec_lo
	s_or_saveexec_b32 s26, s26
	v_mov_b32_e32 v23, s25
	s_xor_b32 exec_lo, exec_lo, s26
	s_cbranch_execz .LBB6_3565
.LBB6_4343:                             ;   in Loop: Header=BB6_3373 Depth=2
	v_cmp_ne_u16_e32 vcc_lo, 0, v16
	v_mov_b32_e32 v23, 0
	s_and_not1_b32 s11, s11, exec_lo
	s_and_b32 s25, vcc_lo, exec_lo
	s_delay_alu instid0(SALU_CYCLE_1)
	s_or_b32 s11, s11, s25
	s_or_b32 exec_lo, exec_lo, s26
	s_and_saveexec_b32 s25, s11
	s_cbranch_execnz .LBB6_3566
	s_branch .LBB6_3567
.LBB6_4344:                             ;   in Loop: Header=BB6_3373 Depth=2
	s_mov_b32 s11, -1
	s_mov_b32 s27, exec_lo
                                        ; implicit-def: $sgpr25
	v_cmpx_eq_u16_e32 0x80, v16
; %bb.4345:                             ;   in Loop: Header=BB6_3373 Depth=2
	s_mov_b32 s25, 0x7f800001
	s_xor_b32 s11, exec_lo, -1
; %bb.4346:                             ;   in Loop: Header=BB6_3373 Depth=2
	s_or_b32 exec_lo, exec_lo, s27
	s_delay_alu instid0(SALU_CYCLE_1)
	s_and_b32 s11, s11, exec_lo
	s_or_saveexec_b32 s26, s26
	v_mov_b32_e32 v23, s25
	s_xor_b32 exec_lo, exec_lo, s26
	s_cbranch_execz .LBB6_3577
.LBB6_4347:                             ;   in Loop: Header=BB6_3373 Depth=2
	v_cmp_ne_u16_e32 vcc_lo, 0, v16
	v_mov_b32_e32 v23, 0
	s_and_not1_b32 s11, s11, exec_lo
	s_and_b32 s25, vcc_lo, exec_lo
	s_delay_alu instid0(SALU_CYCLE_1)
	s_or_b32 s11, s11, s25
	s_or_b32 exec_lo, exec_lo, s26
	s_and_saveexec_b32 s25, s11
	s_cbranch_execnz .LBB6_3578
	s_branch .LBB6_3579
.LBB6_4348:                             ;   in Loop: Header=BB6_3373 Depth=2
	s_mov_b32 s11, -1
	s_mov_b32 s27, exec_lo
                                        ; implicit-def: $sgpr25
	v_cmpx_eq_u16_e32 0x80, v16
; %bb.4349:                             ;   in Loop: Header=BB6_3373 Depth=2
	s_mov_b32 s25, 0x7f800001
	s_xor_b32 s11, exec_lo, -1
; %bb.4350:                             ;   in Loop: Header=BB6_3373 Depth=2
	s_or_b32 exec_lo, exec_lo, s27
	s_delay_alu instid0(SALU_CYCLE_1)
	s_and_b32 s11, s11, exec_lo
	s_or_saveexec_b32 s26, s26
	v_mov_b32_e32 v23, s25
	s_xor_b32 exec_lo, exec_lo, s26
	s_cbranch_execz .LBB6_3589
.LBB6_4351:                             ;   in Loop: Header=BB6_3373 Depth=2
	v_cmp_ne_u16_e32 vcc_lo, 0, v16
	v_mov_b32_e32 v23, 0
	s_and_not1_b32 s11, s11, exec_lo
	s_and_b32 s25, vcc_lo, exec_lo
	s_delay_alu instid0(SALU_CYCLE_1)
	s_or_b32 s11, s11, s25
	s_or_b32 exec_lo, exec_lo, s26
	s_and_saveexec_b32 s25, s11
	s_cbranch_execnz .LBB6_3590
	s_branch .LBB6_3591
.LBB6_4352:                             ;   in Loop: Header=BB6_3373 Depth=2
	s_mov_b32 s11, -1
	s_mov_b32 s27, exec_lo
                                        ; implicit-def: $sgpr25
	v_cmpx_eq_u16_e32 0x80, v16
; %bb.4353:                             ;   in Loop: Header=BB6_3373 Depth=2
	s_mov_b32 s25, 0x7f800001
	s_xor_b32 s11, exec_lo, -1
; %bb.4354:                             ;   in Loop: Header=BB6_3373 Depth=2
	s_or_b32 exec_lo, exec_lo, s27
	s_delay_alu instid0(SALU_CYCLE_1)
	s_and_b32 s11, s11, exec_lo
	s_or_saveexec_b32 s26, s26
	v_mov_b32_e32 v23, s25
	s_xor_b32 exec_lo, exec_lo, s26
	s_cbranch_execz .LBB6_3601
.LBB6_4355:                             ;   in Loop: Header=BB6_3373 Depth=2
	v_cmp_ne_u16_e32 vcc_lo, 0, v16
	v_mov_b32_e32 v23, 0
	s_and_not1_b32 s11, s11, exec_lo
	s_and_b32 s25, vcc_lo, exec_lo
	s_delay_alu instid0(SALU_CYCLE_1)
	s_or_b32 s11, s11, s25
	s_or_b32 exec_lo, exec_lo, s26
	s_and_saveexec_b32 s25, s11
	s_cbranch_execnz .LBB6_3602
	s_branch .LBB6_3603
.LBB6_4356:                             ;   in Loop: Header=BB6_3373 Depth=2
	s_mov_b32 s11, -1
	s_mov_b32 s27, exec_lo
                                        ; implicit-def: $sgpr25
	v_cmpx_eq_u16_e32 0x80, v16
; %bb.4357:                             ;   in Loop: Header=BB6_3373 Depth=2
	s_mov_b32 s25, 0x7f800001
	s_xor_b32 s11, exec_lo, -1
; %bb.4358:                             ;   in Loop: Header=BB6_3373 Depth=2
	s_or_b32 exec_lo, exec_lo, s27
	s_delay_alu instid0(SALU_CYCLE_1)
	s_and_b32 s11, s11, exec_lo
	s_or_saveexec_b32 s26, s26
	v_mov_b32_e32 v23, s25
	s_xor_b32 exec_lo, exec_lo, s26
	s_cbranch_execz .LBB6_3613
.LBB6_4359:                             ;   in Loop: Header=BB6_3373 Depth=2
	v_cmp_ne_u16_e32 vcc_lo, 0, v16
	v_mov_b32_e32 v23, 0
	s_and_not1_b32 s11, s11, exec_lo
	s_and_b32 s25, vcc_lo, exec_lo
	s_delay_alu instid0(SALU_CYCLE_1)
	s_or_b32 s11, s11, s25
	s_or_b32 exec_lo, exec_lo, s26
	s_and_saveexec_b32 s25, s11
	s_cbranch_execnz .LBB6_3614
	s_branch .LBB6_3615
.LBB6_4360:                             ;   in Loop: Header=BB6_3373 Depth=2
	s_mov_b32 s11, -1
	s_mov_b32 s27, exec_lo
                                        ; implicit-def: $sgpr25
	v_cmpx_eq_u16_e32 0x80, v16
; %bb.4361:                             ;   in Loop: Header=BB6_3373 Depth=2
	s_mov_b32 s25, 0x7f800001
	s_xor_b32 s11, exec_lo, -1
; %bb.4362:                             ;   in Loop: Header=BB6_3373 Depth=2
	s_or_b32 exec_lo, exec_lo, s27
	s_delay_alu instid0(SALU_CYCLE_1)
	s_and_b32 s11, s11, exec_lo
	s_or_saveexec_b32 s26, s26
	v_mov_b32_e32 v23, s25
	s_xor_b32 exec_lo, exec_lo, s26
	s_cbranch_execz .LBB6_3625
.LBB6_4363:                             ;   in Loop: Header=BB6_3373 Depth=2
	v_cmp_ne_u16_e32 vcc_lo, 0, v16
	v_mov_b32_e32 v23, 0
	s_and_not1_b32 s11, s11, exec_lo
	s_and_b32 s25, vcc_lo, exec_lo
	s_delay_alu instid0(SALU_CYCLE_1)
	s_or_b32 s11, s11, s25
	s_or_b32 exec_lo, exec_lo, s26
	s_and_saveexec_b32 s25, s11
	s_cbranch_execnz .LBB6_3626
	s_branch .LBB6_3627
.LBB6_4364:                             ;   in Loop: Header=BB6_3373 Depth=2
	s_mov_b32 s11, -1
	s_mov_b32 s27, exec_lo
                                        ; implicit-def: $sgpr25
	v_cmpx_eq_u16_e32 0x80, v16
; %bb.4365:                             ;   in Loop: Header=BB6_3373 Depth=2
	s_mov_b32 s25, 0x7f800001
	s_xor_b32 s11, exec_lo, -1
; %bb.4366:                             ;   in Loop: Header=BB6_3373 Depth=2
	s_or_b32 exec_lo, exec_lo, s27
	s_delay_alu instid0(SALU_CYCLE_1)
	s_and_b32 s11, s11, exec_lo
	s_or_saveexec_b32 s26, s26
	v_mov_b32_e32 v23, s25
	s_xor_b32 exec_lo, exec_lo, s26
	s_cbranch_execz .LBB6_3637
.LBB6_4367:                             ;   in Loop: Header=BB6_3373 Depth=2
	v_cmp_ne_u16_e32 vcc_lo, 0, v16
	v_mov_b32_e32 v23, 0
	s_and_not1_b32 s11, s11, exec_lo
	s_and_b32 s25, vcc_lo, exec_lo
	s_delay_alu instid0(SALU_CYCLE_1)
	s_or_b32 s11, s11, s25
	s_or_b32 exec_lo, exec_lo, s26
	s_and_saveexec_b32 s25, s11
	s_cbranch_execnz .LBB6_3638
	s_branch .LBB6_3639
.LBB6_4368:                             ;   in Loop: Header=BB6_3373 Depth=2
	s_mov_b32 s11, -1
	s_mov_b32 s27, exec_lo
                                        ; implicit-def: $sgpr25
	v_cmpx_eq_u16_e32 0x80, v16
; %bb.4369:                             ;   in Loop: Header=BB6_3373 Depth=2
	s_mov_b32 s25, 0x7f800001
	s_xor_b32 s11, exec_lo, -1
; %bb.4370:                             ;   in Loop: Header=BB6_3373 Depth=2
	s_or_b32 exec_lo, exec_lo, s27
	s_delay_alu instid0(SALU_CYCLE_1)
	s_and_b32 s11, s11, exec_lo
	s_or_saveexec_b32 s26, s26
	v_mov_b32_e32 v23, s25
	s_xor_b32 exec_lo, exec_lo, s26
	s_cbranch_execz .LBB6_3649
.LBB6_4371:                             ;   in Loop: Header=BB6_3373 Depth=2
	v_cmp_ne_u16_e32 vcc_lo, 0, v16
	v_mov_b32_e32 v23, 0
	s_and_not1_b32 s11, s11, exec_lo
	s_and_b32 s25, vcc_lo, exec_lo
	s_delay_alu instid0(SALU_CYCLE_1)
	s_or_b32 s11, s11, s25
	s_or_b32 exec_lo, exec_lo, s26
	s_and_saveexec_b32 s25, s11
	s_cbranch_execnz .LBB6_3650
	s_branch .LBB6_3651
.LBB6_4372:                             ;   in Loop: Header=BB6_3373 Depth=2
	s_mov_b32 s11, -1
	s_mov_b32 s27, exec_lo
                                        ; implicit-def: $sgpr25
	v_cmpx_eq_u16_e32 0x80, v16
; %bb.4373:                             ;   in Loop: Header=BB6_3373 Depth=2
	s_mov_b32 s25, 0x7f800001
	s_xor_b32 s11, exec_lo, -1
; %bb.4374:                             ;   in Loop: Header=BB6_3373 Depth=2
	s_or_b32 exec_lo, exec_lo, s27
	s_delay_alu instid0(SALU_CYCLE_1)
	s_and_b32 s11, s11, exec_lo
	s_or_saveexec_b32 s26, s26
	v_mov_b32_e32 v23, s25
	s_xor_b32 exec_lo, exec_lo, s26
	s_cbranch_execz .LBB6_3661
.LBB6_4375:                             ;   in Loop: Header=BB6_3373 Depth=2
	v_cmp_ne_u16_e32 vcc_lo, 0, v16
	v_mov_b32_e32 v23, 0
	s_and_not1_b32 s11, s11, exec_lo
	s_and_b32 s25, vcc_lo, exec_lo
	s_delay_alu instid0(SALU_CYCLE_1)
	s_or_b32 s11, s11, s25
	s_or_b32 exec_lo, exec_lo, s26
	s_and_saveexec_b32 s25, s11
	s_cbranch_execnz .LBB6_3662
	s_branch .LBB6_3663
.LBB6_4376:                             ;   in Loop: Header=BB6_3373 Depth=2
	s_mov_b32 s11, -1
	s_mov_b32 s27, exec_lo
                                        ; implicit-def: $sgpr25
	v_cmpx_eq_u16_e32 0x80, v16
; %bb.4377:                             ;   in Loop: Header=BB6_3373 Depth=2
	s_mov_b32 s25, 0x7f800001
	s_xor_b32 s11, exec_lo, -1
; %bb.4378:                             ;   in Loop: Header=BB6_3373 Depth=2
	s_or_b32 exec_lo, exec_lo, s27
	s_delay_alu instid0(SALU_CYCLE_1)
	s_and_b32 s11, s11, exec_lo
	s_or_saveexec_b32 s26, s26
	v_mov_b32_e32 v23, s25
	s_xor_b32 exec_lo, exec_lo, s26
	s_cbranch_execz .LBB6_3673
.LBB6_4379:                             ;   in Loop: Header=BB6_3373 Depth=2
	v_cmp_ne_u16_e32 vcc_lo, 0, v16
	v_mov_b32_e32 v23, 0
	s_and_not1_b32 s11, s11, exec_lo
	s_and_b32 s25, vcc_lo, exec_lo
	s_delay_alu instid0(SALU_CYCLE_1)
	s_or_b32 s11, s11, s25
	s_or_b32 exec_lo, exec_lo, s26
	s_and_saveexec_b32 s25, s11
	s_cbranch_execnz .LBB6_3674
	s_branch .LBB6_3675
.LBB6_4380:                             ;   in Loop: Header=BB6_3373 Depth=2
	s_mov_b32 s11, -1
	s_mov_b32 s27, exec_lo
                                        ; implicit-def: $sgpr25
	v_cmpx_eq_u16_e32 0x80, v16
; %bb.4381:                             ;   in Loop: Header=BB6_3373 Depth=2
	s_mov_b32 s25, 0x7f800001
	s_xor_b32 s11, exec_lo, -1
; %bb.4382:                             ;   in Loop: Header=BB6_3373 Depth=2
	s_or_b32 exec_lo, exec_lo, s27
	s_delay_alu instid0(SALU_CYCLE_1)
	s_and_b32 s11, s11, exec_lo
	s_or_saveexec_b32 s26, s26
	v_mov_b32_e32 v23, s25
	s_xor_b32 exec_lo, exec_lo, s26
	s_cbranch_execz .LBB6_3685
.LBB6_4383:                             ;   in Loop: Header=BB6_3373 Depth=2
	v_cmp_ne_u16_e32 vcc_lo, 0, v16
	v_mov_b32_e32 v23, 0
	s_and_not1_b32 s11, s11, exec_lo
	s_and_b32 s25, vcc_lo, exec_lo
	s_delay_alu instid0(SALU_CYCLE_1)
	s_or_b32 s11, s11, s25
	s_or_b32 exec_lo, exec_lo, s26
	s_and_saveexec_b32 s25, s11
	s_cbranch_execnz .LBB6_3686
	s_branch .LBB6_3687
.LBB6_4384:                             ;   in Loop: Header=BB6_3373 Depth=2
	s_mov_b32 s11, -1
	s_mov_b32 s27, exec_lo
                                        ; implicit-def: $sgpr25
	v_cmpx_eq_u16_e32 0x80, v16
; %bb.4385:                             ;   in Loop: Header=BB6_3373 Depth=2
	s_mov_b32 s25, 0x7f800001
	s_xor_b32 s11, exec_lo, -1
; %bb.4386:                             ;   in Loop: Header=BB6_3373 Depth=2
	s_or_b32 exec_lo, exec_lo, s27
	s_delay_alu instid0(SALU_CYCLE_1)
	s_and_b32 s11, s11, exec_lo
	s_or_saveexec_b32 s26, s26
	v_mov_b32_e32 v23, s25
	s_xor_b32 exec_lo, exec_lo, s26
	s_cbranch_execz .LBB6_3697
.LBB6_4387:                             ;   in Loop: Header=BB6_3373 Depth=2
	v_cmp_ne_u16_e32 vcc_lo, 0, v16
	v_mov_b32_e32 v23, 0
	s_and_not1_b32 s11, s11, exec_lo
	s_and_b32 s25, vcc_lo, exec_lo
	s_delay_alu instid0(SALU_CYCLE_1)
	s_or_b32 s11, s11, s25
	s_or_b32 exec_lo, exec_lo, s26
	s_and_saveexec_b32 s25, s11
	s_cbranch_execnz .LBB6_3698
	s_branch .LBB6_3699
.LBB6_4388:                             ;   in Loop: Header=BB6_3373 Depth=2
	s_mov_b32 s11, -1
	s_mov_b32 s27, exec_lo
                                        ; implicit-def: $sgpr25
	v_cmpx_eq_u16_e32 0x80, v16
; %bb.4389:                             ;   in Loop: Header=BB6_3373 Depth=2
	s_mov_b32 s25, 0x7f800001
	s_xor_b32 s11, exec_lo, -1
; %bb.4390:                             ;   in Loop: Header=BB6_3373 Depth=2
	s_or_b32 exec_lo, exec_lo, s27
	s_delay_alu instid0(SALU_CYCLE_1)
	s_and_b32 s11, s11, exec_lo
	s_or_saveexec_b32 s26, s26
	v_mov_b32_e32 v23, s25
	s_xor_b32 exec_lo, exec_lo, s26
	s_cbranch_execz .LBB6_3709
.LBB6_4391:                             ;   in Loop: Header=BB6_3373 Depth=2
	v_cmp_ne_u16_e32 vcc_lo, 0, v16
	v_mov_b32_e32 v23, 0
	s_and_not1_b32 s11, s11, exec_lo
	s_and_b32 s25, vcc_lo, exec_lo
	s_delay_alu instid0(SALU_CYCLE_1)
	s_or_b32 s11, s11, s25
	s_or_b32 exec_lo, exec_lo, s26
	s_and_saveexec_b32 s25, s11
	s_cbranch_execnz .LBB6_3710
	s_branch .LBB6_3711
.LBB6_4392:                             ;   in Loop: Header=BB6_3373 Depth=2
	s_mov_b32 s11, -1
	s_mov_b32 s27, exec_lo
                                        ; implicit-def: $sgpr25
	v_cmpx_eq_u16_e32 0x80, v16
; %bb.4393:                             ;   in Loop: Header=BB6_3373 Depth=2
	s_mov_b32 s25, 0x7f800001
	s_xor_b32 s11, exec_lo, -1
; %bb.4394:                             ;   in Loop: Header=BB6_3373 Depth=2
	s_or_b32 exec_lo, exec_lo, s27
	s_delay_alu instid0(SALU_CYCLE_1)
	s_and_b32 s11, s11, exec_lo
	s_or_saveexec_b32 s26, s26
	v_mov_b32_e32 v23, s25
	s_xor_b32 exec_lo, exec_lo, s26
	s_cbranch_execz .LBB6_3721
.LBB6_4395:                             ;   in Loop: Header=BB6_3373 Depth=2
	v_cmp_ne_u16_e32 vcc_lo, 0, v16
	v_mov_b32_e32 v23, 0
	s_and_not1_b32 s11, s11, exec_lo
	s_and_b32 s25, vcc_lo, exec_lo
	s_delay_alu instid0(SALU_CYCLE_1)
	s_or_b32 s11, s11, s25
	s_or_b32 exec_lo, exec_lo, s26
	s_and_saveexec_b32 s25, s11
	s_cbranch_execnz .LBB6_3722
	s_branch .LBB6_3723
.LBB6_4396:                             ;   in Loop: Header=BB6_3373 Depth=2
	s_mov_b32 s11, -1
	s_mov_b32 s27, exec_lo
                                        ; implicit-def: $sgpr25
	v_cmpx_eq_u16_e32 0x80, v16
; %bb.4397:                             ;   in Loop: Header=BB6_3373 Depth=2
	s_mov_b32 s25, 0x7f800001
	s_xor_b32 s11, exec_lo, -1
; %bb.4398:                             ;   in Loop: Header=BB6_3373 Depth=2
	s_or_b32 exec_lo, exec_lo, s27
	s_delay_alu instid0(SALU_CYCLE_1)
	s_and_b32 s11, s11, exec_lo
	s_or_saveexec_b32 s26, s26
	v_mov_b32_e32 v23, s25
	s_xor_b32 exec_lo, exec_lo, s26
	s_cbranch_execz .LBB6_3733
.LBB6_4399:                             ;   in Loop: Header=BB6_3373 Depth=2
	v_cmp_ne_u16_e32 vcc_lo, 0, v16
	v_mov_b32_e32 v23, 0
	s_and_not1_b32 s11, s11, exec_lo
	s_and_b32 s25, vcc_lo, exec_lo
	s_delay_alu instid0(SALU_CYCLE_1)
	s_or_b32 s11, s11, s25
	s_or_b32 exec_lo, exec_lo, s26
	s_and_saveexec_b32 s25, s11
	s_cbranch_execnz .LBB6_3734
	s_branch .LBB6_3735
.LBB6_4400:                             ;   in Loop: Header=BB6_3373 Depth=2
	s_mov_b32 s11, -1
	s_mov_b32 s27, exec_lo
                                        ; implicit-def: $sgpr25
	v_cmpx_eq_u16_e32 0x80, v16
; %bb.4401:                             ;   in Loop: Header=BB6_3373 Depth=2
	s_mov_b32 s25, 0x7f800001
	s_xor_b32 s11, exec_lo, -1
; %bb.4402:                             ;   in Loop: Header=BB6_3373 Depth=2
	s_or_b32 exec_lo, exec_lo, s27
	s_delay_alu instid0(SALU_CYCLE_1)
	s_and_b32 s11, s11, exec_lo
	s_or_saveexec_b32 s26, s26
	v_mov_b32_e32 v23, s25
	s_xor_b32 exec_lo, exec_lo, s26
	s_cbranch_execz .LBB6_3745
.LBB6_4403:                             ;   in Loop: Header=BB6_3373 Depth=2
	v_cmp_ne_u16_e32 vcc_lo, 0, v16
	v_mov_b32_e32 v23, 0
	s_and_not1_b32 s11, s11, exec_lo
	s_and_b32 s25, vcc_lo, exec_lo
	s_delay_alu instid0(SALU_CYCLE_1)
	s_or_b32 s11, s11, s25
	s_or_b32 exec_lo, exec_lo, s26
	s_and_saveexec_b32 s25, s11
	s_cbranch_execnz .LBB6_3746
	s_branch .LBB6_3747
.LBB6_4404:                             ;   in Loop: Header=BB6_3373 Depth=2
	s_mov_b32 s11, -1
	s_mov_b32 s27, exec_lo
                                        ; implicit-def: $sgpr25
	v_cmpx_eq_u16_e32 0x80, v16
; %bb.4405:                             ;   in Loop: Header=BB6_3373 Depth=2
	s_mov_b32 s25, 0x7f800001
	s_xor_b32 s11, exec_lo, -1
; %bb.4406:                             ;   in Loop: Header=BB6_3373 Depth=2
	s_or_b32 exec_lo, exec_lo, s27
	s_delay_alu instid0(SALU_CYCLE_1)
	s_and_b32 s11, s11, exec_lo
	s_or_saveexec_b32 s26, s26
	v_mov_b32_e32 v66, s25
	s_xor_b32 exec_lo, exec_lo, s26
	s_cbranch_execz .LBB6_3757
.LBB6_4407:                             ;   in Loop: Header=BB6_3373 Depth=2
	v_cmp_ne_u16_e32 vcc_lo, 0, v16
	v_mov_b32_e32 v66, 0
	s_and_not1_b32 s11, s11, exec_lo
	s_and_b32 s25, vcc_lo, exec_lo
	s_delay_alu instid0(SALU_CYCLE_1)
	s_or_b32 s11, s11, s25
	s_or_b32 exec_lo, exec_lo, s26
	s_and_saveexec_b32 s25, s11
	s_cbranch_execnz .LBB6_3758
	s_branch .LBB6_3759
.LBB6_4408:                             ;   in Loop: Header=BB6_3373 Depth=2
	s_mov_b32 s11, -1
	s_mov_b32 s27, exec_lo
                                        ; implicit-def: $sgpr25
	v_cmpx_eq_u16_e32 0x80, v72
; %bb.4409:                             ;   in Loop: Header=BB6_3373 Depth=2
	s_mov_b32 s25, 0x7f800001
	s_xor_b32 s11, exec_lo, -1
; %bb.4410:                             ;   in Loop: Header=BB6_3373 Depth=2
	s_or_b32 exec_lo, exec_lo, s27
	s_delay_alu instid0(SALU_CYCLE_1)
	s_and_b32 s11, s11, exec_lo
                                        ; implicit-def: $vgpr72
	s_or_saveexec_b32 s26, s26
	v_mov_b32_e32 v63, s25
	s_xor_b32 exec_lo, exec_lo, s26
	s_cbranch_execz .LBB6_3769
.LBB6_4411:                             ;   in Loop: Header=BB6_3373 Depth=2
	v_cmp_ne_u16_e32 vcc_lo, 0, v72
	v_mov_b32_e32 v63, 0
	s_and_not1_b32 s11, s11, exec_lo
	s_and_b32 s25, vcc_lo, exec_lo
	s_delay_alu instid0(SALU_CYCLE_1)
	s_or_b32 s11, s11, s25
	s_or_b32 exec_lo, exec_lo, s26
	s_and_saveexec_b32 s25, s11
	s_cbranch_execnz .LBB6_3770
	s_branch .LBB6_3771
.LBB6_4412:                             ;   in Loop: Header=BB6_3373 Depth=2
	s_mov_b32 s11, -1
	s_mov_b32 s27, exec_lo
                                        ; implicit-def: $sgpr25
	v_cmpx_eq_u16_e32 0x80, v72
; %bb.4413:                             ;   in Loop: Header=BB6_3373 Depth=2
	s_mov_b32 s25, 0x7f800001
	s_xor_b32 s11, exec_lo, -1
; %bb.4414:                             ;   in Loop: Header=BB6_3373 Depth=2
	s_or_b32 exec_lo, exec_lo, s27
	s_delay_alu instid0(SALU_CYCLE_1)
	s_and_b32 s11, s11, exec_lo
                                        ; implicit-def: $vgpr72
	s_or_saveexec_b32 s26, s26
	v_mov_b32_e32 v24, s25
	s_xor_b32 exec_lo, exec_lo, s26
	s_cbranch_execz .LBB6_3773
.LBB6_4415:                             ;   in Loop: Header=BB6_3373 Depth=2
	v_cmp_ne_u16_e32 vcc_lo, 0, v72
	v_mov_b32_e32 v24, 0
	s_and_not1_b32 s11, s11, exec_lo
	s_and_b32 s25, vcc_lo, exec_lo
	s_delay_alu instid0(SALU_CYCLE_1)
	s_or_b32 s11, s11, s25
	s_or_b32 exec_lo, exec_lo, s26
	s_and_saveexec_b32 s25, s11
	s_cbranch_execnz .LBB6_3774
	s_branch .LBB6_3775
.LBB6_4416:                             ;   in Loop: Header=BB6_3373 Depth=2
	s_mov_b32 s11, -1
	s_mov_b32 s27, exec_lo
                                        ; implicit-def: $sgpr25
	v_cmpx_eq_u16_e32 0x80, v63
; %bb.4417:                             ;   in Loop: Header=BB6_3373 Depth=2
	s_mov_b32 s25, 0x7f800001
	s_xor_b32 s11, exec_lo, -1
; %bb.4418:                             ;   in Loop: Header=BB6_3373 Depth=2
	s_or_b32 exec_lo, exec_lo, s27
	s_delay_alu instid0(SALU_CYCLE_1)
	s_and_b32 s11, s11, exec_lo
                                        ; implicit-def: $vgpr63
	s_or_saveexec_b32 s26, s26
	v_mov_b32_e32 v62, s25
	s_xor_b32 exec_lo, exec_lo, s26
	s_cbranch_execz .LBB6_3785
.LBB6_4419:                             ;   in Loop: Header=BB6_3373 Depth=2
	v_cmp_ne_u16_e32 vcc_lo, 0, v63
	v_mov_b32_e32 v62, 0
	s_and_not1_b32 s11, s11, exec_lo
	s_and_b32 s25, vcc_lo, exec_lo
	s_delay_alu instid0(SALU_CYCLE_1)
	s_or_b32 s11, s11, s25
	s_or_b32 exec_lo, exec_lo, s26
	s_and_saveexec_b32 s25, s11
	s_cbranch_execnz .LBB6_3786
	s_branch .LBB6_3787
.LBB6_4420:                             ;   in Loop: Header=BB6_3373 Depth=2
	s_mov_b32 s11, -1
	s_mov_b32 s27, exec_lo
                                        ; implicit-def: $sgpr25
	v_cmpx_eq_u16_e32 0x80, v63
; %bb.4421:                             ;   in Loop: Header=BB6_3373 Depth=2
	s_mov_b32 s25, 0x7f800001
	s_xor_b32 s11, exec_lo, -1
; %bb.4422:                             ;   in Loop: Header=BB6_3373 Depth=2
	s_or_b32 exec_lo, exec_lo, s27
	s_delay_alu instid0(SALU_CYCLE_1)
	s_and_b32 s11, s11, exec_lo
                                        ; implicit-def: $vgpr63
	s_or_saveexec_b32 s26, s26
	v_mov_b32_e32 v69, s25
	s_xor_b32 exec_lo, exec_lo, s26
	s_cbranch_execz .LBB6_3789
.LBB6_4423:                             ;   in Loop: Header=BB6_3373 Depth=2
	v_cmp_ne_u16_e32 vcc_lo, 0, v63
	v_mov_b32_e32 v69, 0
	s_and_not1_b32 s11, s11, exec_lo
	s_and_b32 s25, vcc_lo, exec_lo
	s_delay_alu instid0(SALU_CYCLE_1)
	s_or_b32 s11, s11, s25
	s_or_b32 exec_lo, exec_lo, s26
	s_and_saveexec_b32 s25, s11
	s_cbranch_execnz .LBB6_3790
	s_branch .LBB6_3791
.LBB6_4424:                             ;   in Loop: Header=BB6_3373 Depth=2
	s_mov_b32 s11, -1
	s_mov_b32 s27, exec_lo
                                        ; implicit-def: $sgpr25
	v_cmpx_eq_u16_e32 0x80, v62
; %bb.4425:                             ;   in Loop: Header=BB6_3373 Depth=2
	s_mov_b32 s25, 0x7f800001
	s_xor_b32 s11, exec_lo, -1
; %bb.4426:                             ;   in Loop: Header=BB6_3373 Depth=2
	s_or_b32 exec_lo, exec_lo, s27
	s_delay_alu instid0(SALU_CYCLE_1)
	s_and_b32 s11, s11, exec_lo
                                        ; implicit-def: $vgpr62
	s_or_saveexec_b32 s26, s26
	v_mov_b32_e32 v61, s25
	s_xor_b32 exec_lo, exec_lo, s26
	s_cbranch_execz .LBB6_3801
.LBB6_4427:                             ;   in Loop: Header=BB6_3373 Depth=2
	v_cmp_ne_u16_e32 vcc_lo, 0, v62
	v_mov_b32_e32 v61, 0
	s_and_not1_b32 s11, s11, exec_lo
	s_and_b32 s25, vcc_lo, exec_lo
	s_delay_alu instid0(SALU_CYCLE_1)
	s_or_b32 s11, s11, s25
	s_or_b32 exec_lo, exec_lo, s26
	s_and_saveexec_b32 s25, s11
	s_cbranch_execnz .LBB6_3802
	s_branch .LBB6_3803
.LBB6_4428:                             ;   in Loop: Header=BB6_3373 Depth=2
	s_mov_b32 s11, -1
	s_mov_b32 s27, exec_lo
                                        ; implicit-def: $sgpr25
	v_cmpx_eq_u16_e32 0x80, v62
; %bb.4429:                             ;   in Loop: Header=BB6_3373 Depth=2
	s_mov_b32 s25, 0x7f800001
	s_xor_b32 s11, exec_lo, -1
; %bb.4430:                             ;   in Loop: Header=BB6_3373 Depth=2
	s_or_b32 exec_lo, exec_lo, s27
	s_delay_alu instid0(SALU_CYCLE_1)
	s_and_b32 s11, s11, exec_lo
                                        ; implicit-def: $vgpr62
	s_or_saveexec_b32 s26, s26
	v_mov_b32_e32 v116, s25
	s_xor_b32 exec_lo, exec_lo, s26
	s_cbranch_execz .LBB6_3805
.LBB6_4431:                             ;   in Loop: Header=BB6_3373 Depth=2
	v_cmp_ne_u16_e32 vcc_lo, 0, v62
	v_mov_b32_e32 v116, 0
	s_and_not1_b32 s11, s11, exec_lo
	s_and_b32 s25, vcc_lo, exec_lo
	s_delay_alu instid0(SALU_CYCLE_1)
	s_or_b32 s11, s11, s25
	s_or_b32 exec_lo, exec_lo, s26
	s_and_saveexec_b32 s25, s11
	s_cbranch_execnz .LBB6_3806
	s_branch .LBB6_3807
.LBB6_4432:                             ;   in Loop: Header=BB6_3373 Depth=2
	s_mov_b32 s11, -1
	s_mov_b32 s27, exec_lo
                                        ; implicit-def: $sgpr25
	v_cmpx_eq_u16_e32 0x80, v61
; %bb.4433:                             ;   in Loop: Header=BB6_3373 Depth=2
	s_mov_b32 s25, 0x7f800001
	s_xor_b32 s11, exec_lo, -1
; %bb.4434:                             ;   in Loop: Header=BB6_3373 Depth=2
	s_or_b32 exec_lo, exec_lo, s27
	s_delay_alu instid0(SALU_CYCLE_1)
	s_and_b32 s11, s11, exec_lo
                                        ; implicit-def: $vgpr61
	s_or_saveexec_b32 s26, s26
	v_mov_b32_e32 v60, s25
	s_xor_b32 exec_lo, exec_lo, s26
	s_cbranch_execz .LBB6_3817
.LBB6_4435:                             ;   in Loop: Header=BB6_3373 Depth=2
	v_cmp_ne_u16_e32 vcc_lo, 0, v61
	v_mov_b32_e32 v60, 0
	s_and_not1_b32 s11, s11, exec_lo
	s_and_b32 s25, vcc_lo, exec_lo
	s_delay_alu instid0(SALU_CYCLE_1)
	s_or_b32 s11, s11, s25
	s_or_b32 exec_lo, exec_lo, s26
	s_and_saveexec_b32 s25, s11
	s_cbranch_execnz .LBB6_3818
	s_branch .LBB6_3819
.LBB6_4436:                             ;   in Loop: Header=BB6_3373 Depth=2
	s_mov_b32 s11, -1
	s_mov_b32 s27, exec_lo
                                        ; implicit-def: $sgpr25
	v_cmpx_eq_u16_e32 0x80, v61
; %bb.4437:                             ;   in Loop: Header=BB6_3373 Depth=2
	s_mov_b32 s25, 0x7f800001
	s_xor_b32 s11, exec_lo, -1
; %bb.4438:                             ;   in Loop: Header=BB6_3373 Depth=2
	s_or_b32 exec_lo, exec_lo, s27
	s_delay_alu instid0(SALU_CYCLE_1)
	s_and_b32 s11, s11, exec_lo
                                        ; implicit-def: $vgpr61
	s_or_saveexec_b32 s26, s26
	v_mov_b32_e32 v129, s25
	s_xor_b32 exec_lo, exec_lo, s26
	s_cbranch_execz .LBB6_3821
.LBB6_4439:                             ;   in Loop: Header=BB6_3373 Depth=2
	v_cmp_ne_u16_e32 vcc_lo, 0, v61
	v_mov_b32_e32 v129, 0
	s_and_not1_b32 s11, s11, exec_lo
	s_and_b32 s25, vcc_lo, exec_lo
	s_delay_alu instid0(SALU_CYCLE_1)
	s_or_b32 s11, s11, s25
	s_or_b32 exec_lo, exec_lo, s26
	s_and_saveexec_b32 s25, s11
	s_cbranch_execnz .LBB6_3822
	s_branch .LBB6_3823
.LBB6_4440:                             ;   in Loop: Header=BB6_3373 Depth=2
	s_mov_b32 s11, -1
	s_mov_b32 s27, exec_lo
                                        ; implicit-def: $sgpr25
	v_cmpx_eq_u16_e32 0x80, v60
; %bb.4441:                             ;   in Loop: Header=BB6_3373 Depth=2
	s_mov_b32 s25, 0x7f800001
	s_xor_b32 s11, exec_lo, -1
; %bb.4442:                             ;   in Loop: Header=BB6_3373 Depth=2
	s_or_b32 exec_lo, exec_lo, s27
	s_delay_alu instid0(SALU_CYCLE_1)
	s_and_b32 s11, s11, exec_lo
                                        ; implicit-def: $vgpr60
	s_or_saveexec_b32 s26, s26
	v_mov_b32_e32 v59, s25
	s_xor_b32 exec_lo, exec_lo, s26
	s_cbranch_execz .LBB6_3833
.LBB6_4443:                             ;   in Loop: Header=BB6_3373 Depth=2
	v_cmp_ne_u16_e32 vcc_lo, 0, v60
	v_mov_b32_e32 v59, 0
	s_and_not1_b32 s11, s11, exec_lo
	s_and_b32 s25, vcc_lo, exec_lo
	s_delay_alu instid0(SALU_CYCLE_1)
	s_or_b32 s11, s11, s25
	s_or_b32 exec_lo, exec_lo, s26
	s_and_saveexec_b32 s25, s11
	s_cbranch_execnz .LBB6_3834
	s_branch .LBB6_3835
.LBB6_4444:                             ;   in Loop: Header=BB6_3373 Depth=2
	s_mov_b32 s11, -1
	s_mov_b32 s27, exec_lo
                                        ; implicit-def: $sgpr25
	v_cmpx_eq_u16_e32 0x80, v60
; %bb.4445:                             ;   in Loop: Header=BB6_3373 Depth=2
	s_mov_b32 s25, 0x7f800001
	s_xor_b32 s11, exec_lo, -1
; %bb.4446:                             ;   in Loop: Header=BB6_3373 Depth=2
	s_or_b32 exec_lo, exec_lo, s27
	s_delay_alu instid0(SALU_CYCLE_1)
	s_and_b32 s11, s11, exec_lo
                                        ; implicit-def: $vgpr60
	s_or_saveexec_b32 s26, s26
	v_mov_b32_e32 v134, s25
	s_xor_b32 exec_lo, exec_lo, s26
	s_cbranch_execz .LBB6_3837
.LBB6_4447:                             ;   in Loop: Header=BB6_3373 Depth=2
	v_cmp_ne_u16_e32 vcc_lo, 0, v60
	v_mov_b32_e32 v134, 0
	s_and_not1_b32 s11, s11, exec_lo
	s_and_b32 s25, vcc_lo, exec_lo
	s_delay_alu instid0(SALU_CYCLE_1)
	s_or_b32 s11, s11, s25
	s_or_b32 exec_lo, exec_lo, s26
	s_and_saveexec_b32 s25, s11
	s_cbranch_execnz .LBB6_3838
	s_branch .LBB6_3839
.LBB6_4448:                             ;   in Loop: Header=BB6_3373 Depth=2
	s_mov_b32 s11, -1
	s_mov_b32 s27, exec_lo
                                        ; implicit-def: $sgpr25
	v_cmpx_eq_u16_e32 0x80, v59
; %bb.4449:                             ;   in Loop: Header=BB6_3373 Depth=2
	s_mov_b32 s25, 0x7f800001
	s_xor_b32 s11, exec_lo, -1
; %bb.4450:                             ;   in Loop: Header=BB6_3373 Depth=2
	s_or_b32 exec_lo, exec_lo, s27
	s_delay_alu instid0(SALU_CYCLE_1)
	s_and_b32 s11, s11, exec_lo
                                        ; implicit-def: $vgpr59
	s_or_saveexec_b32 s26, s26
	v_mov_b32_e32 v58, s25
	s_xor_b32 exec_lo, exec_lo, s26
	s_cbranch_execz .LBB6_3849
.LBB6_4451:                             ;   in Loop: Header=BB6_3373 Depth=2
	v_cmp_ne_u16_e32 vcc_lo, 0, v59
	v_mov_b32_e32 v58, 0
	s_and_not1_b32 s11, s11, exec_lo
	s_and_b32 s25, vcc_lo, exec_lo
	s_delay_alu instid0(SALU_CYCLE_1)
	s_or_b32 s11, s11, s25
	s_or_b32 exec_lo, exec_lo, s26
	s_and_saveexec_b32 s25, s11
	s_cbranch_execnz .LBB6_3850
	s_branch .LBB6_3851
.LBB6_4452:                             ;   in Loop: Header=BB6_3373 Depth=2
	s_mov_b32 s11, -1
	s_mov_b32 s27, exec_lo
                                        ; implicit-def: $sgpr25
	v_cmpx_eq_u16_e32 0x80, v59
; %bb.4453:                             ;   in Loop: Header=BB6_3373 Depth=2
	s_mov_b32 s25, 0x7f800001
	s_xor_b32 s11, exec_lo, -1
; %bb.4454:                             ;   in Loop: Header=BB6_3373 Depth=2
	s_or_b32 exec_lo, exec_lo, s27
	s_delay_alu instid0(SALU_CYCLE_1)
	s_and_b32 s11, s11, exec_lo
                                        ; implicit-def: $vgpr59
	s_or_saveexec_b32 s26, s26
	v_mov_b32_e32 v147, s25
	s_xor_b32 exec_lo, exec_lo, s26
	s_cbranch_execz .LBB6_3853
.LBB6_4455:                             ;   in Loop: Header=BB6_3373 Depth=2
	v_cmp_ne_u16_e32 vcc_lo, 0, v59
	v_mov_b32_e32 v147, 0
	s_and_not1_b32 s11, s11, exec_lo
	s_and_b32 s25, vcc_lo, exec_lo
	s_delay_alu instid0(SALU_CYCLE_1)
	s_or_b32 s11, s11, s25
	s_or_b32 exec_lo, exec_lo, s26
	s_and_saveexec_b32 s25, s11
	s_cbranch_execnz .LBB6_3854
	s_branch .LBB6_3855
.LBB6_4456:                             ;   in Loop: Header=BB6_3373 Depth=2
	s_mov_b32 s11, -1
	s_mov_b32 s27, exec_lo
                                        ; implicit-def: $sgpr25
	v_cmpx_eq_u16_e32 0x80, v58
; %bb.4457:                             ;   in Loop: Header=BB6_3373 Depth=2
	s_mov_b32 s25, 0x7f800001
	s_xor_b32 s11, exec_lo, -1
; %bb.4458:                             ;   in Loop: Header=BB6_3373 Depth=2
	s_or_b32 exec_lo, exec_lo, s27
	s_delay_alu instid0(SALU_CYCLE_1)
	s_and_b32 s11, s11, exec_lo
                                        ; implicit-def: $vgpr58
	s_or_saveexec_b32 s26, s26
	v_mov_b32_e32 v57, s25
	s_xor_b32 exec_lo, exec_lo, s26
	s_cbranch_execz .LBB6_3865
.LBB6_4459:                             ;   in Loop: Header=BB6_3373 Depth=2
	v_cmp_ne_u16_e32 vcc_lo, 0, v58
	v_mov_b32_e32 v57, 0
	s_and_not1_b32 s11, s11, exec_lo
	s_and_b32 s25, vcc_lo, exec_lo
	s_delay_alu instid0(SALU_CYCLE_1)
	s_or_b32 s11, s11, s25
	s_or_b32 exec_lo, exec_lo, s26
	s_and_saveexec_b32 s25, s11
	s_cbranch_execnz .LBB6_3866
	s_branch .LBB6_3867
.LBB6_4460:                             ;   in Loop: Header=BB6_3373 Depth=2
	s_mov_b32 s11, -1
	s_mov_b32 s27, exec_lo
                                        ; implicit-def: $sgpr25
	v_cmpx_eq_u16_e32 0x80, v58
; %bb.4461:                             ;   in Loop: Header=BB6_3373 Depth=2
	s_mov_b32 s25, 0x7f800001
	s_xor_b32 s11, exec_lo, -1
; %bb.4462:                             ;   in Loop: Header=BB6_3373 Depth=2
	s_or_b32 exec_lo, exec_lo, s27
	s_delay_alu instid0(SALU_CYCLE_1)
	s_and_b32 s11, s11, exec_lo
                                        ; implicit-def: $vgpr58
	s_or_saveexec_b32 s26, s26
	v_mov_b32_e32 v160, s25
	s_xor_b32 exec_lo, exec_lo, s26
	s_cbranch_execz .LBB6_3869
.LBB6_4463:                             ;   in Loop: Header=BB6_3373 Depth=2
	v_cmp_ne_u16_e32 vcc_lo, 0, v58
	v_mov_b32_e32 v160, 0
	s_and_not1_b32 s11, s11, exec_lo
	s_and_b32 s25, vcc_lo, exec_lo
	s_delay_alu instid0(SALU_CYCLE_1)
	s_or_b32 s11, s11, s25
	s_or_b32 exec_lo, exec_lo, s26
	s_and_saveexec_b32 s25, s11
	s_cbranch_execnz .LBB6_3870
	s_branch .LBB6_3871
.LBB6_4464:                             ;   in Loop: Header=BB6_3373 Depth=2
	s_mov_b32 s11, -1
	s_mov_b32 s27, exec_lo
                                        ; implicit-def: $sgpr25
	v_cmpx_eq_u16_e32 0x80, v57
; %bb.4465:                             ;   in Loop: Header=BB6_3373 Depth=2
	s_mov_b32 s25, 0x7f800001
	s_xor_b32 s11, exec_lo, -1
; %bb.4466:                             ;   in Loop: Header=BB6_3373 Depth=2
	s_or_b32 exec_lo, exec_lo, s27
	s_delay_alu instid0(SALU_CYCLE_1)
	s_and_b32 s11, s11, exec_lo
                                        ; implicit-def: $vgpr57
	s_or_saveexec_b32 s26, s26
	v_mov_b32_e32 v56, s25
	s_xor_b32 exec_lo, exec_lo, s26
	s_cbranch_execz .LBB6_3881
.LBB6_4467:                             ;   in Loop: Header=BB6_3373 Depth=2
	v_cmp_ne_u16_e32 vcc_lo, 0, v57
	v_mov_b32_e32 v56, 0
	s_and_not1_b32 s11, s11, exec_lo
	s_and_b32 s25, vcc_lo, exec_lo
	s_delay_alu instid0(SALU_CYCLE_1)
	s_or_b32 s11, s11, s25
	s_or_b32 exec_lo, exec_lo, s26
	s_and_saveexec_b32 s25, s11
	s_cbranch_execnz .LBB6_3882
	s_branch .LBB6_3883
.LBB6_4468:                             ;   in Loop: Header=BB6_3373 Depth=2
	s_mov_b32 s11, -1
	s_mov_b32 s27, exec_lo
                                        ; implicit-def: $sgpr25
	v_cmpx_eq_u16_e32 0x80, v57
; %bb.4469:                             ;   in Loop: Header=BB6_3373 Depth=2
	s_mov_b32 s25, 0x7f800001
	s_xor_b32 s11, exec_lo, -1
; %bb.4470:                             ;   in Loop: Header=BB6_3373 Depth=2
	s_or_b32 exec_lo, exec_lo, s27
	s_delay_alu instid0(SALU_CYCLE_1)
	s_and_b32 s11, s11, exec_lo
                                        ; implicit-def: $vgpr57
	s_or_saveexec_b32 s26, s26
	v_mov_b32_e32 v165, s25
	s_xor_b32 exec_lo, exec_lo, s26
	s_cbranch_execz .LBB6_3885
.LBB6_4471:                             ;   in Loop: Header=BB6_3373 Depth=2
	v_cmp_ne_u16_e32 vcc_lo, 0, v57
	v_mov_b32_e32 v165, 0
	s_and_not1_b32 s11, s11, exec_lo
	s_and_b32 s25, vcc_lo, exec_lo
	s_delay_alu instid0(SALU_CYCLE_1)
	s_or_b32 s11, s11, s25
	s_or_b32 exec_lo, exec_lo, s26
	s_and_saveexec_b32 s25, s11
	s_cbranch_execnz .LBB6_3886
	s_branch .LBB6_3887
.LBB6_4472:                             ;   in Loop: Header=BB6_3373 Depth=2
	s_mov_b32 s11, -1
	s_mov_b32 s27, exec_lo
                                        ; implicit-def: $sgpr25
	v_cmpx_eq_u16_e32 0x80, v56
; %bb.4473:                             ;   in Loop: Header=BB6_3373 Depth=2
	s_mov_b32 s25, 0x7f800001
	s_xor_b32 s11, exec_lo, -1
; %bb.4474:                             ;   in Loop: Header=BB6_3373 Depth=2
	s_or_b32 exec_lo, exec_lo, s27
	s_delay_alu instid0(SALU_CYCLE_1)
	s_and_b32 s11, s11, exec_lo
                                        ; implicit-def: $vgpr56
	s_or_saveexec_b32 s26, s26
	v_mov_b32_e32 v47, s25
	s_xor_b32 exec_lo, exec_lo, s26
	s_cbranch_execz .LBB6_3897
.LBB6_4475:                             ;   in Loop: Header=BB6_3373 Depth=2
	v_cmp_ne_u16_e32 vcc_lo, 0, v56
	v_mov_b32_e32 v47, 0
	s_and_not1_b32 s11, s11, exec_lo
	s_and_b32 s25, vcc_lo, exec_lo
	s_delay_alu instid0(SALU_CYCLE_1)
	s_or_b32 s11, s11, s25
	s_or_b32 exec_lo, exec_lo, s26
	s_and_saveexec_b32 s25, s11
	s_cbranch_execnz .LBB6_3898
	s_branch .LBB6_3899
.LBB6_4476:                             ;   in Loop: Header=BB6_3373 Depth=2
	s_mov_b32 s11, -1
	s_mov_b32 s27, exec_lo
                                        ; implicit-def: $sgpr25
	v_cmpx_eq_u16_e32 0x80, v56
; %bb.4477:                             ;   in Loop: Header=BB6_3373 Depth=2
	s_mov_b32 s25, 0x7f800001
	s_xor_b32 s11, exec_lo, -1
; %bb.4478:                             ;   in Loop: Header=BB6_3373 Depth=2
	s_or_b32 exec_lo, exec_lo, s27
	s_delay_alu instid0(SALU_CYCLE_1)
	s_and_b32 s11, s11, exec_lo
                                        ; implicit-def: $vgpr56
	s_or_saveexec_b32 s26, s26
	v_mov_b32_e32 v166, s25
	s_xor_b32 exec_lo, exec_lo, s26
	s_cbranch_execz .LBB6_3901
.LBB6_4479:                             ;   in Loop: Header=BB6_3373 Depth=2
	v_cmp_ne_u16_e32 vcc_lo, 0, v56
	v_mov_b32_e32 v166, 0
	s_and_not1_b32 s11, s11, exec_lo
	s_and_b32 s25, vcc_lo, exec_lo
	s_delay_alu instid0(SALU_CYCLE_1)
	s_or_b32 s11, s11, s25
	s_or_b32 exec_lo, exec_lo, s26
	s_and_saveexec_b32 s25, s11
	s_cbranch_execnz .LBB6_3902
	s_branch .LBB6_3903
.LBB6_4480:                             ;   in Loop: Header=BB6_3373 Depth=2
	s_mov_b32 s11, -1
	s_mov_b32 s27, exec_lo
                                        ; implicit-def: $sgpr25
	v_cmpx_eq_u16_e32 0x80, v47
; %bb.4481:                             ;   in Loop: Header=BB6_3373 Depth=2
	s_mov_b32 s25, 0x7f800001
	s_xor_b32 s11, exec_lo, -1
; %bb.4482:                             ;   in Loop: Header=BB6_3373 Depth=2
	s_or_b32 exec_lo, exec_lo, s27
	s_delay_alu instid0(SALU_CYCLE_1)
	s_and_b32 s11, s11, exec_lo
                                        ; implicit-def: $vgpr47
	s_or_saveexec_b32 s26, s26
	v_mov_b32_e32 v46, s25
	s_xor_b32 exec_lo, exec_lo, s26
	s_cbranch_execz .LBB6_3913
.LBB6_4483:                             ;   in Loop: Header=BB6_3373 Depth=2
	v_cmp_ne_u16_e32 vcc_lo, 0, v47
	v_mov_b32_e32 v46, 0
	s_and_not1_b32 s11, s11, exec_lo
	s_and_b32 s25, vcc_lo, exec_lo
	s_delay_alu instid0(SALU_CYCLE_1)
	s_or_b32 s11, s11, s25
	s_or_b32 exec_lo, exec_lo, s26
	s_and_saveexec_b32 s25, s11
	s_cbranch_execnz .LBB6_3914
	s_branch .LBB6_3915
.LBB6_4484:                             ;   in Loop: Header=BB6_3373 Depth=2
	s_mov_b32 s11, -1
	s_mov_b32 s27, exec_lo
                                        ; implicit-def: $sgpr25
	v_cmpx_eq_u16_e32 0x80, v47
; %bb.4485:                             ;   in Loop: Header=BB6_3373 Depth=2
	s_mov_b32 s25, 0x7f800001
	s_xor_b32 s11, exec_lo, -1
; %bb.4486:                             ;   in Loop: Header=BB6_3373 Depth=2
	s_or_b32 exec_lo, exec_lo, s27
	s_delay_alu instid0(SALU_CYCLE_1)
	s_and_b32 s11, s11, exec_lo
                                        ; implicit-def: $vgpr47
	s_or_saveexec_b32 s26, s26
	v_mov_b32_e32 v164, s25
	s_xor_b32 exec_lo, exec_lo, s26
	s_cbranch_execz .LBB6_3917
.LBB6_4487:                             ;   in Loop: Header=BB6_3373 Depth=2
	v_cmp_ne_u16_e32 vcc_lo, 0, v47
	v_mov_b32_e32 v164, 0
	s_and_not1_b32 s11, s11, exec_lo
	s_and_b32 s25, vcc_lo, exec_lo
	s_delay_alu instid0(SALU_CYCLE_1)
	s_or_b32 s11, s11, s25
	s_or_b32 exec_lo, exec_lo, s26
	s_and_saveexec_b32 s25, s11
	s_cbranch_execnz .LBB6_3918
	s_branch .LBB6_3919
.LBB6_4488:                             ;   in Loop: Header=BB6_3373 Depth=2
	s_mov_b32 s11, -1
	s_mov_b32 s27, exec_lo
                                        ; implicit-def: $sgpr25
	v_cmpx_eq_u16_e32 0x80, v46
; %bb.4489:                             ;   in Loop: Header=BB6_3373 Depth=2
	s_mov_b32 s25, 0x7f800001
	s_xor_b32 s11, exec_lo, -1
; %bb.4490:                             ;   in Loop: Header=BB6_3373 Depth=2
	s_or_b32 exec_lo, exec_lo, s27
	s_delay_alu instid0(SALU_CYCLE_1)
	s_and_b32 s11, s11, exec_lo
                                        ; implicit-def: $vgpr46
	s_or_saveexec_b32 s26, s26
	v_mov_b32_e32 v45, s25
	s_xor_b32 exec_lo, exec_lo, s26
	s_cbranch_execz .LBB6_3929
.LBB6_4491:                             ;   in Loop: Header=BB6_3373 Depth=2
	v_cmp_ne_u16_e32 vcc_lo, 0, v46
	v_mov_b32_e32 v45, 0
	s_and_not1_b32 s11, s11, exec_lo
	s_and_b32 s25, vcc_lo, exec_lo
	s_delay_alu instid0(SALU_CYCLE_1)
	s_or_b32 s11, s11, s25
	s_or_b32 exec_lo, exec_lo, s26
	s_and_saveexec_b32 s25, s11
	s_cbranch_execnz .LBB6_3930
	s_branch .LBB6_3931
.LBB6_4492:                             ;   in Loop: Header=BB6_3373 Depth=2
	s_mov_b32 s11, -1
	s_mov_b32 s27, exec_lo
                                        ; implicit-def: $sgpr25
	v_cmpx_eq_u16_e32 0x80, v46
; %bb.4493:                             ;   in Loop: Header=BB6_3373 Depth=2
	s_mov_b32 s25, 0x7f800001
	s_xor_b32 s11, exec_lo, -1
; %bb.4494:                             ;   in Loop: Header=BB6_3373 Depth=2
	s_or_b32 exec_lo, exec_lo, s27
	s_delay_alu instid0(SALU_CYCLE_1)
	s_and_b32 s11, s11, exec_lo
                                        ; implicit-def: $vgpr46
	s_or_saveexec_b32 s26, s26
	v_mov_b32_e32 v162, s25
	s_xor_b32 exec_lo, exec_lo, s26
	s_cbranch_execz .LBB6_3933
.LBB6_4495:                             ;   in Loop: Header=BB6_3373 Depth=2
	v_cmp_ne_u16_e32 vcc_lo, 0, v46
	v_mov_b32_e32 v162, 0
	s_and_not1_b32 s11, s11, exec_lo
	s_and_b32 s25, vcc_lo, exec_lo
	s_delay_alu instid0(SALU_CYCLE_1)
	s_or_b32 s11, s11, s25
	s_or_b32 exec_lo, exec_lo, s26
	s_and_saveexec_b32 s25, s11
	s_cbranch_execnz .LBB6_3934
	s_branch .LBB6_3935
.LBB6_4496:                             ;   in Loop: Header=BB6_3373 Depth=2
	s_mov_b32 s11, -1
	s_mov_b32 s27, exec_lo
                                        ; implicit-def: $sgpr25
	v_cmpx_eq_u16_e32 0x80, v45
; %bb.4497:                             ;   in Loop: Header=BB6_3373 Depth=2
	s_mov_b32 s25, 0x7f800001
	s_xor_b32 s11, exec_lo, -1
; %bb.4498:                             ;   in Loop: Header=BB6_3373 Depth=2
	s_or_b32 exec_lo, exec_lo, s27
	s_delay_alu instid0(SALU_CYCLE_1)
	s_and_b32 s11, s11, exec_lo
                                        ; implicit-def: $vgpr45
	s_or_saveexec_b32 s26, s26
	v_mov_b32_e32 v44, s25
	s_xor_b32 exec_lo, exec_lo, s26
	s_cbranch_execz .LBB6_3945
.LBB6_4499:                             ;   in Loop: Header=BB6_3373 Depth=2
	v_cmp_ne_u16_e32 vcc_lo, 0, v45
	v_mov_b32_e32 v44, 0
	s_and_not1_b32 s11, s11, exec_lo
	s_and_b32 s25, vcc_lo, exec_lo
	s_delay_alu instid0(SALU_CYCLE_1)
	s_or_b32 s11, s11, s25
	s_or_b32 exec_lo, exec_lo, s26
	s_and_saveexec_b32 s25, s11
	s_cbranch_execnz .LBB6_3946
	s_branch .LBB6_3947
.LBB6_4500:                             ;   in Loop: Header=BB6_3373 Depth=2
	s_mov_b32 s11, -1
	s_mov_b32 s27, exec_lo
                                        ; implicit-def: $sgpr25
	v_cmpx_eq_u16_e32 0x80, v45
; %bb.4501:                             ;   in Loop: Header=BB6_3373 Depth=2
	s_mov_b32 s25, 0x7f800001
	s_xor_b32 s11, exec_lo, -1
; %bb.4502:                             ;   in Loop: Header=BB6_3373 Depth=2
	s_or_b32 exec_lo, exec_lo, s27
	s_delay_alu instid0(SALU_CYCLE_1)
	s_and_b32 s11, s11, exec_lo
                                        ; implicit-def: $vgpr45
	s_or_saveexec_b32 s26, s26
	v_mov_b32_e32 v161, s25
	s_xor_b32 exec_lo, exec_lo, s26
	s_cbranch_execz .LBB6_3949
.LBB6_4503:                             ;   in Loop: Header=BB6_3373 Depth=2
	v_cmp_ne_u16_e32 vcc_lo, 0, v45
	v_mov_b32_e32 v161, 0
	s_and_not1_b32 s11, s11, exec_lo
	s_and_b32 s25, vcc_lo, exec_lo
	s_delay_alu instid0(SALU_CYCLE_1)
	s_or_b32 s11, s11, s25
	s_or_b32 exec_lo, exec_lo, s26
	s_and_saveexec_b32 s25, s11
	s_cbranch_execnz .LBB6_3950
	s_branch .LBB6_3951
.LBB6_4504:                             ;   in Loop: Header=BB6_3373 Depth=2
	s_mov_b32 s11, -1
	s_mov_b32 s27, exec_lo
                                        ; implicit-def: $sgpr25
	v_cmpx_eq_u16_e32 0x80, v44
; %bb.4505:                             ;   in Loop: Header=BB6_3373 Depth=2
	s_mov_b32 s25, 0x7f800001
	s_xor_b32 s11, exec_lo, -1
; %bb.4506:                             ;   in Loop: Header=BB6_3373 Depth=2
	s_or_b32 exec_lo, exec_lo, s27
	s_delay_alu instid0(SALU_CYCLE_1)
	s_and_b32 s11, s11, exec_lo
                                        ; implicit-def: $vgpr44
	s_or_saveexec_b32 s26, s26
	v_mov_b32_e32 v43, s25
	s_xor_b32 exec_lo, exec_lo, s26
	s_cbranch_execz .LBB6_3961
.LBB6_4507:                             ;   in Loop: Header=BB6_3373 Depth=2
	v_cmp_ne_u16_e32 vcc_lo, 0, v44
	v_mov_b32_e32 v43, 0
	s_and_not1_b32 s11, s11, exec_lo
	s_and_b32 s25, vcc_lo, exec_lo
	s_delay_alu instid0(SALU_CYCLE_1)
	s_or_b32 s11, s11, s25
	s_or_b32 exec_lo, exec_lo, s26
	s_and_saveexec_b32 s25, s11
	s_cbranch_execnz .LBB6_3962
	s_branch .LBB6_3963
.LBB6_4508:                             ;   in Loop: Header=BB6_3373 Depth=2
	s_mov_b32 s11, -1
	s_mov_b32 s27, exec_lo
                                        ; implicit-def: $sgpr25
	v_cmpx_eq_u16_e32 0x80, v44
; %bb.4509:                             ;   in Loop: Header=BB6_3373 Depth=2
	s_mov_b32 s25, 0x7f800001
	s_xor_b32 s11, exec_lo, -1
; %bb.4510:                             ;   in Loop: Header=BB6_3373 Depth=2
	s_or_b32 exec_lo, exec_lo, s27
	s_delay_alu instid0(SALU_CYCLE_1)
	s_and_b32 s11, s11, exec_lo
                                        ; implicit-def: $vgpr44
	s_or_saveexec_b32 s26, s26
	v_mov_b32_e32 v151, s25
	s_xor_b32 exec_lo, exec_lo, s26
	s_cbranch_execz .LBB6_3965
.LBB6_4511:                             ;   in Loop: Header=BB6_3373 Depth=2
	v_cmp_ne_u16_e32 vcc_lo, 0, v44
	v_mov_b32_e32 v151, 0
	s_and_not1_b32 s11, s11, exec_lo
	s_and_b32 s25, vcc_lo, exec_lo
	s_delay_alu instid0(SALU_CYCLE_1)
	s_or_b32 s11, s11, s25
	s_or_b32 exec_lo, exec_lo, s26
	s_and_saveexec_b32 s25, s11
	s_cbranch_execnz .LBB6_3966
	s_branch .LBB6_3967
.LBB6_4512:                             ;   in Loop: Header=BB6_3373 Depth=2
	s_mov_b32 s11, -1
	s_mov_b32 s27, exec_lo
                                        ; implicit-def: $sgpr25
	v_cmpx_eq_u16_e32 0x80, v43
; %bb.4513:                             ;   in Loop: Header=BB6_3373 Depth=2
	s_mov_b32 s25, 0x7f800001
	s_xor_b32 s11, exec_lo, -1
; %bb.4514:                             ;   in Loop: Header=BB6_3373 Depth=2
	s_or_b32 exec_lo, exec_lo, s27
	s_delay_alu instid0(SALU_CYCLE_1)
	s_and_b32 s11, s11, exec_lo
                                        ; implicit-def: $vgpr43
	s_or_saveexec_b32 s26, s26
	v_mov_b32_e32 v42, s25
	s_xor_b32 exec_lo, exec_lo, s26
	s_cbranch_execz .LBB6_3977
.LBB6_4515:                             ;   in Loop: Header=BB6_3373 Depth=2
	v_cmp_ne_u16_e32 vcc_lo, 0, v43
	v_mov_b32_e32 v42, 0
	s_and_not1_b32 s11, s11, exec_lo
	s_and_b32 s25, vcc_lo, exec_lo
	s_delay_alu instid0(SALU_CYCLE_1)
	s_or_b32 s11, s11, s25
	s_or_b32 exec_lo, exec_lo, s26
	s_and_saveexec_b32 s25, s11
	s_cbranch_execnz .LBB6_3978
	s_branch .LBB6_3979
.LBB6_4516:                             ;   in Loop: Header=BB6_3373 Depth=2
	s_mov_b32 s11, -1
	s_mov_b32 s27, exec_lo
                                        ; implicit-def: $sgpr25
	v_cmpx_eq_u16_e32 0x80, v43
; %bb.4517:                             ;   in Loop: Header=BB6_3373 Depth=2
	s_mov_b32 s25, 0x7f800001
	s_xor_b32 s11, exec_lo, -1
; %bb.4518:                             ;   in Loop: Header=BB6_3373 Depth=2
	s_or_b32 exec_lo, exec_lo, s27
	s_delay_alu instid0(SALU_CYCLE_1)
	s_and_b32 s11, s11, exec_lo
                                        ; implicit-def: $vgpr43
	s_or_saveexec_b32 s26, s26
	v_mov_b32_e32 v149, s25
	s_xor_b32 exec_lo, exec_lo, s26
	s_cbranch_execz .LBB6_3981
.LBB6_4519:                             ;   in Loop: Header=BB6_3373 Depth=2
	v_cmp_ne_u16_e32 vcc_lo, 0, v43
	v_mov_b32_e32 v149, 0
	s_and_not1_b32 s11, s11, exec_lo
	s_and_b32 s25, vcc_lo, exec_lo
	s_delay_alu instid0(SALU_CYCLE_1)
	s_or_b32 s11, s11, s25
	s_or_b32 exec_lo, exec_lo, s26
	s_and_saveexec_b32 s25, s11
	s_cbranch_execnz .LBB6_3982
	s_branch .LBB6_3983
.LBB6_4520:                             ;   in Loop: Header=BB6_3373 Depth=2
	s_mov_b32 s11, -1
	s_mov_b32 s27, exec_lo
                                        ; implicit-def: $sgpr25
	v_cmpx_eq_u16_e32 0x80, v42
; %bb.4521:                             ;   in Loop: Header=BB6_3373 Depth=2
	s_mov_b32 s25, 0x7f800001
	s_xor_b32 s11, exec_lo, -1
; %bb.4522:                             ;   in Loop: Header=BB6_3373 Depth=2
	s_or_b32 exec_lo, exec_lo, s27
	s_delay_alu instid0(SALU_CYCLE_1)
	s_and_b32 s11, s11, exec_lo
                                        ; implicit-def: $vgpr42
	s_or_saveexec_b32 s26, s26
	v_mov_b32_e32 v41, s25
	s_xor_b32 exec_lo, exec_lo, s26
	s_cbranch_execz .LBB6_3993
.LBB6_4523:                             ;   in Loop: Header=BB6_3373 Depth=2
	v_cmp_ne_u16_e32 vcc_lo, 0, v42
	v_mov_b32_e32 v41, 0
	s_and_not1_b32 s11, s11, exec_lo
	s_and_b32 s25, vcc_lo, exec_lo
	s_delay_alu instid0(SALU_CYCLE_1)
	s_or_b32 s11, s11, s25
	s_or_b32 exec_lo, exec_lo, s26
	s_and_saveexec_b32 s25, s11
	s_cbranch_execnz .LBB6_3994
	s_branch .LBB6_3995
.LBB6_4524:                             ;   in Loop: Header=BB6_3373 Depth=2
	s_mov_b32 s11, -1
	s_mov_b32 s27, exec_lo
                                        ; implicit-def: $sgpr25
	v_cmpx_eq_u16_e32 0x80, v42
; %bb.4525:                             ;   in Loop: Header=BB6_3373 Depth=2
	s_mov_b32 s25, 0x7f800001
	s_xor_b32 s11, exec_lo, -1
; %bb.4526:                             ;   in Loop: Header=BB6_3373 Depth=2
	s_or_b32 exec_lo, exec_lo, s27
	s_delay_alu instid0(SALU_CYCLE_1)
	s_and_b32 s11, s11, exec_lo
                                        ; implicit-def: $vgpr42
	s_or_saveexec_b32 s26, s26
	v_mov_b32_e32 v148, s25
	s_xor_b32 exec_lo, exec_lo, s26
	s_cbranch_execz .LBB6_3997
.LBB6_4527:                             ;   in Loop: Header=BB6_3373 Depth=2
	v_cmp_ne_u16_e32 vcc_lo, 0, v42
	v_mov_b32_e32 v148, 0
	s_and_not1_b32 s11, s11, exec_lo
	s_and_b32 s25, vcc_lo, exec_lo
	s_delay_alu instid0(SALU_CYCLE_1)
	s_or_b32 s11, s11, s25
	s_or_b32 exec_lo, exec_lo, s26
	s_and_saveexec_b32 s25, s11
	s_cbranch_execnz .LBB6_3998
	s_branch .LBB6_3999
.LBB6_4528:                             ;   in Loop: Header=BB6_3373 Depth=2
	s_mov_b32 s11, -1
	s_mov_b32 s27, exec_lo
                                        ; implicit-def: $sgpr25
	v_cmpx_eq_u16_e32 0x80, v41
; %bb.4529:                             ;   in Loop: Header=BB6_3373 Depth=2
	s_mov_b32 s25, 0x7f800001
	s_xor_b32 s11, exec_lo, -1
; %bb.4530:                             ;   in Loop: Header=BB6_3373 Depth=2
	s_or_b32 exec_lo, exec_lo, s27
	s_delay_alu instid0(SALU_CYCLE_1)
	s_and_b32 s11, s11, exec_lo
                                        ; implicit-def: $vgpr41
	s_or_saveexec_b32 s26, s26
	v_mov_b32_e32 v40, s25
	s_xor_b32 exec_lo, exec_lo, s26
	s_cbranch_execz .LBB6_4009
.LBB6_4531:                             ;   in Loop: Header=BB6_3373 Depth=2
	v_cmp_ne_u16_e32 vcc_lo, 0, v41
	v_mov_b32_e32 v40, 0
	s_and_not1_b32 s11, s11, exec_lo
	s_and_b32 s25, vcc_lo, exec_lo
	s_delay_alu instid0(SALU_CYCLE_1)
	s_or_b32 s11, s11, s25
	s_or_b32 exec_lo, exec_lo, s26
	s_and_saveexec_b32 s25, s11
	s_cbranch_execnz .LBB6_4010
	s_branch .LBB6_4011
.LBB6_4532:                             ;   in Loop: Header=BB6_3373 Depth=2
	s_mov_b32 s11, -1
	s_mov_b32 s27, exec_lo
                                        ; implicit-def: $sgpr25
	v_cmpx_eq_u16_e32 0x80, v41
; %bb.4533:                             ;   in Loop: Header=BB6_3373 Depth=2
	s_mov_b32 s25, 0x7f800001
	s_xor_b32 s11, exec_lo, -1
; %bb.4534:                             ;   in Loop: Header=BB6_3373 Depth=2
	s_or_b32 exec_lo, exec_lo, s27
	s_delay_alu instid0(SALU_CYCLE_1)
	s_and_b32 s11, s11, exec_lo
                                        ; implicit-def: $vgpr41
	s_or_saveexec_b32 s26, s26
	v_mov_b32_e32 v146, s25
	s_xor_b32 exec_lo, exec_lo, s26
	s_cbranch_execz .LBB6_4013
.LBB6_4535:                             ;   in Loop: Header=BB6_3373 Depth=2
	v_cmp_ne_u16_e32 vcc_lo, 0, v41
	v_mov_b32_e32 v146, 0
	s_and_not1_b32 s11, s11, exec_lo
	s_and_b32 s25, vcc_lo, exec_lo
	s_delay_alu instid0(SALU_CYCLE_1)
	s_or_b32 s11, s11, s25
	s_or_b32 exec_lo, exec_lo, s26
	s_and_saveexec_b32 s25, s11
	s_cbranch_execnz .LBB6_4014
	s_branch .LBB6_4015
.LBB6_4536:                             ;   in Loop: Header=BB6_3373 Depth=2
	s_mov_b32 s11, -1
	s_mov_b32 s27, exec_lo
                                        ; implicit-def: $sgpr25
	v_cmpx_eq_u16_e32 0x80, v40
; %bb.4537:                             ;   in Loop: Header=BB6_3373 Depth=2
	s_mov_b32 s25, 0x7f800001
	s_xor_b32 s11, exec_lo, -1
; %bb.4538:                             ;   in Loop: Header=BB6_3373 Depth=2
	s_or_b32 exec_lo, exec_lo, s27
	s_delay_alu instid0(SALU_CYCLE_1)
	s_and_b32 s11, s11, exec_lo
                                        ; implicit-def: $vgpr40
	s_or_saveexec_b32 s26, s26
	v_mov_b32_e32 v183, s25
	s_xor_b32 exec_lo, exec_lo, s26
	s_cbranch_execz .LBB6_4025
.LBB6_4539:                             ;   in Loop: Header=BB6_3373 Depth=2
	v_cmp_ne_u16_e32 vcc_lo, 0, v40
	v_mov_b32_e32 v183, 0
	s_and_not1_b32 s11, s11, exec_lo
	s_and_b32 s25, vcc_lo, exec_lo
	s_delay_alu instid0(SALU_CYCLE_1)
	s_or_b32 s11, s11, s25
	s_or_b32 exec_lo, exec_lo, s26
	s_and_saveexec_b32 s25, s11
	s_cbranch_execnz .LBB6_4026
	s_branch .LBB6_4027
.LBB6_4540:                             ;   in Loop: Header=BB6_3373 Depth=2
	s_mov_b32 s11, -1
	s_mov_b32 s27, exec_lo
                                        ; implicit-def: $sgpr25
	v_cmpx_eq_u16_e32 0x80, v40
; %bb.4541:                             ;   in Loop: Header=BB6_3373 Depth=2
	s_mov_b32 s25, 0x7f800001
	s_xor_b32 s11, exec_lo, -1
; %bb.4542:                             ;   in Loop: Header=BB6_3373 Depth=2
	s_or_b32 exec_lo, exec_lo, s27
	s_delay_alu instid0(SALU_CYCLE_1)
	s_and_b32 s11, s11, exec_lo
                                        ; implicit-def: $vgpr40
	s_or_saveexec_b32 s26, s26
	v_mov_b32_e32 v144, s25
	s_xor_b32 exec_lo, exec_lo, s26
	s_cbranch_execz .LBB6_4029
.LBB6_4543:                             ;   in Loop: Header=BB6_3373 Depth=2
	v_cmp_ne_u16_e32 vcc_lo, 0, v40
	v_mov_b32_e32 v144, 0
	s_and_not1_b32 s11, s11, exec_lo
	s_and_b32 s25, vcc_lo, exec_lo
	s_delay_alu instid0(SALU_CYCLE_1)
	s_or_b32 s11, s11, s25
	s_or_b32 exec_lo, exec_lo, s26
	s_and_saveexec_b32 s25, s11
	s_cbranch_execnz .LBB6_4030
	s_branch .LBB6_4031
.LBB6_4544:                             ;   in Loop: Header=BB6_3373 Depth=2
	s_mov_b32 s11, -1
	s_mov_b32 s27, exec_lo
                                        ; implicit-def: $sgpr25
	v_cmpx_eq_u16_e64 0x80, v183
; %bb.4545:                             ;   in Loop: Header=BB6_3373 Depth=2
	s_mov_b32 s25, 0x7f800001
	s_xor_b32 s11, exec_lo, -1
; %bb.4546:                             ;   in Loop: Header=BB6_3373 Depth=2
	s_or_b32 exec_lo, exec_lo, s27
	s_delay_alu instid0(SALU_CYCLE_1)
	s_and_b32 s11, s11, exec_lo
                                        ; implicit-def: $vgpr183
	s_or_saveexec_b32 s26, s26
	v_mov_b32_e32 v182, s25
	s_xor_b32 exec_lo, exec_lo, s26
	s_cbranch_execz .LBB6_4041
.LBB6_4547:                             ;   in Loop: Header=BB6_3373 Depth=2
	v_cmp_ne_u16_e64 vcc_lo, 0, v183
	v_mov_b32_e32 v182, 0
	s_and_not1_b32 s11, s11, exec_lo
	s_delay_alu instid0(VALU_DEP_2) | instskip(NEXT) | instid1(SALU_CYCLE_1)
	s_and_b32 s25, vcc_lo, exec_lo
	s_or_b32 s11, s11, s25
	s_or_b32 exec_lo, exec_lo, s26
	s_and_saveexec_b32 s25, s11
	s_cbranch_execnz .LBB6_4042
	s_branch .LBB6_4043
.LBB6_4548:                             ;   in Loop: Header=BB6_3373 Depth=2
	s_mov_b32 s11, -1
	s_mov_b32 s27, exec_lo
                                        ; implicit-def: $sgpr25
	v_cmpx_eq_u16_e64 0x80, v183
; %bb.4549:                             ;   in Loop: Header=BB6_3373 Depth=2
	s_mov_b32 s25, 0x7f800001
	s_xor_b32 s11, exec_lo, -1
; %bb.4550:                             ;   in Loop: Header=BB6_3373 Depth=2
	s_or_b32 exec_lo, exec_lo, s27
	s_delay_alu instid0(SALU_CYCLE_1)
	s_and_b32 s11, s11, exec_lo
                                        ; implicit-def: $vgpr183
	s_or_saveexec_b32 s26, s26
	v_mov_b32_e32 v135, s25
	s_xor_b32 exec_lo, exec_lo, s26
	s_cbranch_execz .LBB6_4045
.LBB6_4551:                             ;   in Loop: Header=BB6_3373 Depth=2
	v_cmp_ne_u16_e64 vcc_lo, 0, v183
	v_mov_b32_e32 v135, 0
	s_and_not1_b32 s11, s11, exec_lo
	s_delay_alu instid0(VALU_DEP_2) | instskip(NEXT) | instid1(SALU_CYCLE_1)
	s_and_b32 s25, vcc_lo, exec_lo
	s_or_b32 s11, s11, s25
	s_or_b32 exec_lo, exec_lo, s26
	s_and_saveexec_b32 s25, s11
	s_cbranch_execnz .LBB6_4046
	s_branch .LBB6_4047
.LBB6_4552:                             ;   in Loop: Header=BB6_3373 Depth=2
	s_mov_b32 s11, -1
	s_mov_b32 s27, exec_lo
                                        ; implicit-def: $sgpr25
	v_cmpx_eq_u16_e64 0x80, v182
; %bb.4553:                             ;   in Loop: Header=BB6_3373 Depth=2
	s_mov_b32 s25, 0x7f800001
	s_xor_b32 s11, exec_lo, -1
; %bb.4554:                             ;   in Loop: Header=BB6_3373 Depth=2
	s_or_b32 exec_lo, exec_lo, s27
	s_delay_alu instid0(SALU_CYCLE_1)
	s_and_b32 s11, s11, exec_lo
                                        ; implicit-def: $vgpr182
	s_or_saveexec_b32 s26, s26
	v_mov_b32_e32 v181, s25
	s_xor_b32 exec_lo, exec_lo, s26
	s_cbranch_execz .LBB6_4057
.LBB6_4555:                             ;   in Loop: Header=BB6_3373 Depth=2
	v_cmp_ne_u16_e64 vcc_lo, 0, v182
	v_mov_b32_e32 v181, 0
	s_and_not1_b32 s11, s11, exec_lo
	s_delay_alu instid0(VALU_DEP_2) | instskip(NEXT) | instid1(SALU_CYCLE_1)
	s_and_b32 s25, vcc_lo, exec_lo
	s_or_b32 s11, s11, s25
	s_or_b32 exec_lo, exec_lo, s26
	s_and_saveexec_b32 s25, s11
	s_cbranch_execnz .LBB6_4058
	s_branch .LBB6_4059
.LBB6_4556:                             ;   in Loop: Header=BB6_3373 Depth=2
	s_mov_b32 s11, -1
	s_mov_b32 s27, exec_lo
                                        ; implicit-def: $sgpr25
	v_cmpx_eq_u16_e64 0x80, v182
; %bb.4557:                             ;   in Loop: Header=BB6_3373 Depth=2
	s_mov_b32 s25, 0x7f800001
	s_xor_b32 s11, exec_lo, -1
; %bb.4558:                             ;   in Loop: Header=BB6_3373 Depth=2
	s_or_b32 exec_lo, exec_lo, s27
	s_delay_alu instid0(SALU_CYCLE_1)
	s_and_b32 s11, s11, exec_lo
                                        ; implicit-def: $vgpr182
	s_or_saveexec_b32 s26, s26
	v_mov_b32_e32 v133, s25
	s_xor_b32 exec_lo, exec_lo, s26
	s_cbranch_execz .LBB6_4061
.LBB6_4559:                             ;   in Loop: Header=BB6_3373 Depth=2
	v_cmp_ne_u16_e64 vcc_lo, 0, v182
	v_mov_b32_e32 v133, 0
	s_and_not1_b32 s11, s11, exec_lo
	s_delay_alu instid0(VALU_DEP_2) | instskip(NEXT) | instid1(SALU_CYCLE_1)
	s_and_b32 s25, vcc_lo, exec_lo
	s_or_b32 s11, s11, s25
	s_or_b32 exec_lo, exec_lo, s26
	s_and_saveexec_b32 s25, s11
	s_cbranch_execnz .LBB6_4062
	s_branch .LBB6_4063
.LBB6_4560:                             ;   in Loop: Header=BB6_3373 Depth=2
	s_mov_b32 s11, -1
	s_mov_b32 s27, exec_lo
                                        ; implicit-def: $sgpr25
	v_cmpx_eq_u16_e64 0x80, v181
; %bb.4561:                             ;   in Loop: Header=BB6_3373 Depth=2
	s_mov_b32 s25, 0x7f800001
	s_xor_b32 s11, exec_lo, -1
; %bb.4562:                             ;   in Loop: Header=BB6_3373 Depth=2
	s_or_b32 exec_lo, exec_lo, s27
	s_delay_alu instid0(SALU_CYCLE_1)
	s_and_b32 s11, s11, exec_lo
                                        ; implicit-def: $vgpr181
	s_or_saveexec_b32 s26, s26
	v_mov_b32_e32 v180, s25
	s_xor_b32 exec_lo, exec_lo, s26
	s_cbranch_execz .LBB6_4073
.LBB6_4563:                             ;   in Loop: Header=BB6_3373 Depth=2
	v_cmp_ne_u16_e64 vcc_lo, 0, v181
	v_mov_b32_e32 v180, 0
	s_and_not1_b32 s11, s11, exec_lo
	s_delay_alu instid0(VALU_DEP_2) | instskip(NEXT) | instid1(SALU_CYCLE_1)
	s_and_b32 s25, vcc_lo, exec_lo
	s_or_b32 s11, s11, s25
	s_or_b32 exec_lo, exec_lo, s26
	s_and_saveexec_b32 s25, s11
	s_cbranch_execnz .LBB6_4074
	s_branch .LBB6_4075
.LBB6_4564:                             ;   in Loop: Header=BB6_3373 Depth=2
	s_mov_b32 s11, -1
	s_mov_b32 s27, exec_lo
                                        ; implicit-def: $sgpr25
	v_cmpx_eq_u16_e64 0x80, v181
; %bb.4565:                             ;   in Loop: Header=BB6_3373 Depth=2
	s_mov_b32 s25, 0x7f800001
	s_xor_b32 s11, exec_lo, -1
; %bb.4566:                             ;   in Loop: Header=BB6_3373 Depth=2
	s_or_b32 exec_lo, exec_lo, s27
	s_delay_alu instid0(SALU_CYCLE_1)
	s_and_b32 s11, s11, exec_lo
                                        ; implicit-def: $vgpr181
	s_or_saveexec_b32 s26, s26
	v_mov_b32_e32 v131, s25
	s_xor_b32 exec_lo, exec_lo, s26
	s_cbranch_execz .LBB6_4077
.LBB6_4567:                             ;   in Loop: Header=BB6_3373 Depth=2
	v_cmp_ne_u16_e64 vcc_lo, 0, v181
	v_mov_b32_e32 v131, 0
	s_and_not1_b32 s11, s11, exec_lo
	s_delay_alu instid0(VALU_DEP_2) | instskip(NEXT) | instid1(SALU_CYCLE_1)
	s_and_b32 s25, vcc_lo, exec_lo
	s_or_b32 s11, s11, s25
	s_or_b32 exec_lo, exec_lo, s26
	s_and_saveexec_b32 s25, s11
	s_cbranch_execnz .LBB6_4078
	s_branch .LBB6_4079
.LBB6_4568:                             ;   in Loop: Header=BB6_3373 Depth=2
	s_mov_b32 s11, -1
	s_mov_b32 s27, exec_lo
                                        ; implicit-def: $sgpr25
	v_cmpx_eq_u16_e64 0x80, v180
; %bb.4569:                             ;   in Loop: Header=BB6_3373 Depth=2
	s_mov_b32 s25, 0x7f800001
	s_xor_b32 s11, exec_lo, -1
; %bb.4570:                             ;   in Loop: Header=BB6_3373 Depth=2
	s_or_b32 exec_lo, exec_lo, s27
	s_delay_alu instid0(SALU_CYCLE_1)
	s_and_b32 s11, s11, exec_lo
                                        ; implicit-def: $vgpr180
	s_or_saveexec_b32 s26, s26
	v_mov_b32_e32 v179, s25
	s_xor_b32 exec_lo, exec_lo, s26
	s_cbranch_execz .LBB6_4089
.LBB6_4571:                             ;   in Loop: Header=BB6_3373 Depth=2
	v_cmp_ne_u16_e64 vcc_lo, 0, v180
	v_mov_b32_e32 v179, 0
	s_and_not1_b32 s11, s11, exec_lo
	s_delay_alu instid0(VALU_DEP_2) | instskip(NEXT) | instid1(SALU_CYCLE_1)
	s_and_b32 s25, vcc_lo, exec_lo
	s_or_b32 s11, s11, s25
	s_or_b32 exec_lo, exec_lo, s26
	s_and_saveexec_b32 s25, s11
	s_cbranch_execnz .LBB6_4090
	s_branch .LBB6_4091
.LBB6_4572:                             ;   in Loop: Header=BB6_3373 Depth=2
	s_mov_b32 s11, -1
	s_mov_b32 s27, exec_lo
                                        ; implicit-def: $sgpr25
	v_cmpx_eq_u16_e64 0x80, v180
; %bb.4573:                             ;   in Loop: Header=BB6_3373 Depth=2
	s_mov_b32 s25, 0x7f800001
	s_xor_b32 s11, exec_lo, -1
; %bb.4574:                             ;   in Loop: Header=BB6_3373 Depth=2
	s_or_b32 exec_lo, exec_lo, s27
	s_delay_alu instid0(SALU_CYCLE_1)
	s_and_b32 s11, s11, exec_lo
                                        ; implicit-def: $vgpr180
	s_or_saveexec_b32 s26, s26
	v_mov_b32_e32 v130, s25
	s_xor_b32 exec_lo, exec_lo, s26
	s_cbranch_execz .LBB6_4093
.LBB6_4575:                             ;   in Loop: Header=BB6_3373 Depth=2
	v_cmp_ne_u16_e64 vcc_lo, 0, v180
	v_mov_b32_e32 v130, 0
	s_and_not1_b32 s11, s11, exec_lo
	s_delay_alu instid0(VALU_DEP_2) | instskip(NEXT) | instid1(SALU_CYCLE_1)
	s_and_b32 s25, vcc_lo, exec_lo
	s_or_b32 s11, s11, s25
	s_or_b32 exec_lo, exec_lo, s26
	s_and_saveexec_b32 s25, s11
	s_cbranch_execnz .LBB6_4094
	s_branch .LBB6_4095
.LBB6_4576:                             ;   in Loop: Header=BB6_3373 Depth=2
	s_mov_b32 s11, -1
	s_mov_b32 s27, exec_lo
                                        ; implicit-def: $sgpr25
	v_cmpx_eq_u16_e64 0x80, v179
; %bb.4577:                             ;   in Loop: Header=BB6_3373 Depth=2
	s_mov_b32 s25, 0x7f800001
	s_xor_b32 s11, exec_lo, -1
; %bb.4578:                             ;   in Loop: Header=BB6_3373 Depth=2
	s_or_b32 exec_lo, exec_lo, s27
	s_delay_alu instid0(SALU_CYCLE_1)
	s_and_b32 s11, s11, exec_lo
                                        ; implicit-def: $vgpr179
	s_or_saveexec_b32 s26, s26
	v_mov_b32_e32 v178, s25
	s_xor_b32 exec_lo, exec_lo, s26
	s_cbranch_execz .LBB6_4105
.LBB6_4579:                             ;   in Loop: Header=BB6_3373 Depth=2
	v_cmp_ne_u16_e64 vcc_lo, 0, v179
	v_mov_b32_e32 v178, 0
	s_and_not1_b32 s11, s11, exec_lo
	s_delay_alu instid0(VALU_DEP_2) | instskip(NEXT) | instid1(SALU_CYCLE_1)
	s_and_b32 s25, vcc_lo, exec_lo
	s_or_b32 s11, s11, s25
	s_or_b32 exec_lo, exec_lo, s26
	s_and_saveexec_b32 s25, s11
	s_cbranch_execnz .LBB6_4106
	s_branch .LBB6_4107
.LBB6_4580:                             ;   in Loop: Header=BB6_3373 Depth=2
	s_mov_b32 s11, -1
	s_mov_b32 s27, exec_lo
                                        ; implicit-def: $sgpr25
	v_cmpx_eq_u16_e64 0x80, v179
; %bb.4581:                             ;   in Loop: Header=BB6_3373 Depth=2
	s_mov_b32 s25, 0x7f800001
	s_xor_b32 s11, exec_lo, -1
; %bb.4582:                             ;   in Loop: Header=BB6_3373 Depth=2
	s_or_b32 exec_lo, exec_lo, s27
	s_delay_alu instid0(SALU_CYCLE_1)
	s_and_b32 s11, s11, exec_lo
                                        ; implicit-def: $vgpr179
	s_or_saveexec_b32 s26, s26
	v_mov_b32_e32 v128, s25
	s_xor_b32 exec_lo, exec_lo, s26
	s_cbranch_execz .LBB6_4109
.LBB6_4583:                             ;   in Loop: Header=BB6_3373 Depth=2
	v_cmp_ne_u16_e64 vcc_lo, 0, v179
	v_mov_b32_e32 v128, 0
	s_and_not1_b32 s11, s11, exec_lo
	s_delay_alu instid0(VALU_DEP_2) | instskip(NEXT) | instid1(SALU_CYCLE_1)
	s_and_b32 s25, vcc_lo, exec_lo
	s_or_b32 s11, s11, s25
	s_or_b32 exec_lo, exec_lo, s26
	s_and_saveexec_b32 s25, s11
	s_cbranch_execnz .LBB6_4110
	s_branch .LBB6_4111
.LBB6_4584:                             ;   in Loop: Header=BB6_3373 Depth=2
	s_mov_b32 s11, -1
	s_mov_b32 s27, exec_lo
                                        ; implicit-def: $sgpr25
	v_cmpx_eq_u16_e64 0x80, v178
; %bb.4585:                             ;   in Loop: Header=BB6_3373 Depth=2
	s_mov_b32 s25, 0x7f800001
	s_xor_b32 s11, exec_lo, -1
; %bb.4586:                             ;   in Loop: Header=BB6_3373 Depth=2
	s_or_b32 exec_lo, exec_lo, s27
	s_delay_alu instid0(SALU_CYCLE_1)
	s_and_b32 s11, s11, exec_lo
                                        ; implicit-def: $vgpr178
	s_or_saveexec_b32 s26, s26
	v_mov_b32_e32 v177, s25
	s_xor_b32 exec_lo, exec_lo, s26
	s_cbranch_execz .LBB6_4121
.LBB6_4587:                             ;   in Loop: Header=BB6_3373 Depth=2
	v_cmp_ne_u16_e64 vcc_lo, 0, v178
	v_mov_b32_e32 v177, 0
	s_and_not1_b32 s11, s11, exec_lo
	s_delay_alu instid0(VALU_DEP_2) | instskip(NEXT) | instid1(SALU_CYCLE_1)
	s_and_b32 s25, vcc_lo, exec_lo
	s_or_b32 s11, s11, s25
	s_or_b32 exec_lo, exec_lo, s26
	s_and_saveexec_b32 s25, s11
	s_cbranch_execnz .LBB6_4122
	s_branch .LBB6_4123
.LBB6_4588:                             ;   in Loop: Header=BB6_3373 Depth=2
	s_mov_b32 s11, -1
	s_mov_b32 s27, exec_lo
                                        ; implicit-def: $sgpr25
	v_cmpx_eq_u16_e64 0x80, v178
; %bb.4589:                             ;   in Loop: Header=BB6_3373 Depth=2
	s_mov_b32 s25, 0x7f800001
	s_xor_b32 s11, exec_lo, -1
; %bb.4590:                             ;   in Loop: Header=BB6_3373 Depth=2
	s_or_b32 exec_lo, exec_lo, s27
	s_delay_alu instid0(SALU_CYCLE_1)
	s_and_b32 s11, s11, exec_lo
                                        ; implicit-def: $vgpr178
	s_or_saveexec_b32 s26, s26
	v_mov_b32_e32 v119, s25
	s_xor_b32 exec_lo, exec_lo, s26
	s_cbranch_execz .LBB6_4125
.LBB6_4591:                             ;   in Loop: Header=BB6_3373 Depth=2
	v_cmp_ne_u16_e64 vcc_lo, 0, v178
	v_mov_b32_e32 v119, 0
	s_and_not1_b32 s11, s11, exec_lo
	s_delay_alu instid0(VALU_DEP_2) | instskip(NEXT) | instid1(SALU_CYCLE_1)
	s_and_b32 s25, vcc_lo, exec_lo
	s_or_b32 s11, s11, s25
	s_or_b32 exec_lo, exec_lo, s26
	s_and_saveexec_b32 s25, s11
	s_cbranch_execnz .LBB6_4126
	s_branch .LBB6_4127
.LBB6_4592:                             ;   in Loop: Header=BB6_3373 Depth=2
	s_mov_b32 s11, -1
	s_mov_b32 s27, exec_lo
                                        ; implicit-def: $sgpr25
	v_cmpx_eq_u16_e64 0x80, v177
; %bb.4593:                             ;   in Loop: Header=BB6_3373 Depth=2
	s_mov_b32 s25, 0x7f800001
	s_xor_b32 s11, exec_lo, -1
; %bb.4594:                             ;   in Loop: Header=BB6_3373 Depth=2
	s_or_b32 exec_lo, exec_lo, s27
	s_delay_alu instid0(SALU_CYCLE_1)
	s_and_b32 s11, s11, exec_lo
                                        ; implicit-def: $vgpr177
	s_or_saveexec_b32 s26, s26
	v_mov_b32_e32 v176, s25
	s_xor_b32 exec_lo, exec_lo, s26
	s_cbranch_execz .LBB6_4137
.LBB6_4595:                             ;   in Loop: Header=BB6_3373 Depth=2
	v_cmp_ne_u16_e64 vcc_lo, 0, v177
	v_mov_b32_e32 v176, 0
	s_and_not1_b32 s11, s11, exec_lo
	s_delay_alu instid0(VALU_DEP_2) | instskip(NEXT) | instid1(SALU_CYCLE_1)
	s_and_b32 s25, vcc_lo, exec_lo
	s_or_b32 s11, s11, s25
	s_or_b32 exec_lo, exec_lo, s26
	s_and_saveexec_b32 s25, s11
	s_cbranch_execnz .LBB6_4138
	s_branch .LBB6_4139
.LBB6_4596:                             ;   in Loop: Header=BB6_3373 Depth=2
	s_mov_b32 s11, -1
	s_mov_b32 s27, exec_lo
                                        ; implicit-def: $sgpr25
	v_cmpx_eq_u16_e64 0x80, v177
; %bb.4597:                             ;   in Loop: Header=BB6_3373 Depth=2
	s_mov_b32 s25, 0x7f800001
	s_xor_b32 s11, exec_lo, -1
; %bb.4598:                             ;   in Loop: Header=BB6_3373 Depth=2
	s_or_b32 exec_lo, exec_lo, s27
	s_delay_alu instid0(SALU_CYCLE_1)
	s_and_b32 s11, s11, exec_lo
                                        ; implicit-def: $vgpr177
	s_or_saveexec_b32 s26, s26
	v_mov_b32_e32 v117, s25
	s_xor_b32 exec_lo, exec_lo, s26
	s_cbranch_execz .LBB6_4141
.LBB6_4599:                             ;   in Loop: Header=BB6_3373 Depth=2
	v_cmp_ne_u16_e64 vcc_lo, 0, v177
	v_mov_b32_e32 v117, 0
	s_and_not1_b32 s11, s11, exec_lo
	s_delay_alu instid0(VALU_DEP_2) | instskip(NEXT) | instid1(SALU_CYCLE_1)
	s_and_b32 s25, vcc_lo, exec_lo
	s_or_b32 s11, s11, s25
	s_or_b32 exec_lo, exec_lo, s26
	s_and_saveexec_b32 s25, s11
	s_cbranch_execnz .LBB6_4142
	s_branch .LBB6_4143
.LBB6_4600:                             ;   in Loop: Header=BB6_3373 Depth=2
	s_mov_b32 s11, -1
	s_mov_b32 s27, exec_lo
                                        ; implicit-def: $sgpr25
	v_cmpx_eq_u16_e64 0x80, v176
; %bb.4601:                             ;   in Loop: Header=BB6_3373 Depth=2
	s_mov_b32 s25, 0x7f800001
	s_xor_b32 s11, exec_lo, -1
; %bb.4602:                             ;   in Loop: Header=BB6_3373 Depth=2
	s_or_b32 exec_lo, exec_lo, s27
	s_delay_alu instid0(SALU_CYCLE_1)
	s_and_b32 s11, s11, exec_lo
                                        ; implicit-def: $vgpr176
	s_or_saveexec_b32 s26, s26
	v_mov_b32_e32 v167, s25
	s_xor_b32 exec_lo, exec_lo, s26
	s_cbranch_execz .LBB6_4153
.LBB6_4603:                             ;   in Loop: Header=BB6_3373 Depth=2
	v_cmp_ne_u16_e64 vcc_lo, 0, v176
	v_mov_b32_e32 v167, 0
	s_and_not1_b32 s11, s11, exec_lo
	s_delay_alu instid0(VALU_DEP_2) | instskip(NEXT) | instid1(SALU_CYCLE_1)
	s_and_b32 s25, vcc_lo, exec_lo
	s_or_b32 s11, s11, s25
	s_or_b32 exec_lo, exec_lo, s26
	s_and_saveexec_b32 s25, s11
	s_cbranch_execnz .LBB6_4154
	s_branch .LBB6_4155
.LBB6_4604:                             ;   in Loop: Header=BB6_3373 Depth=2
	s_mov_b32 s11, -1
	s_mov_b32 s27, exec_lo
                                        ; implicit-def: $sgpr25
	v_cmpx_eq_u16_e64 0x80, v176
; %bb.4605:                             ;   in Loop: Header=BB6_3373 Depth=2
	s_mov_b32 s25, 0x7f800001
	s_xor_b32 s11, exec_lo, -1
; %bb.4606:                             ;   in Loop: Header=BB6_3373 Depth=2
	s_or_b32 exec_lo, exec_lo, s27
	s_delay_alu instid0(SALU_CYCLE_1)
	s_and_b32 s11, s11, exec_lo
                                        ; implicit-def: $vgpr176
	s_or_saveexec_b32 s26, s26
	v_mov_b32_e32 v115, s25
	s_xor_b32 exec_lo, exec_lo, s26
	s_cbranch_execz .LBB6_4157
.LBB6_4607:                             ;   in Loop: Header=BB6_3373 Depth=2
	v_cmp_ne_u16_e64 vcc_lo, 0, v176
	v_mov_b32_e32 v115, 0
	s_and_not1_b32 s11, s11, exec_lo
	s_delay_alu instid0(VALU_DEP_2) | instskip(NEXT) | instid1(SALU_CYCLE_1)
	s_and_b32 s25, vcc_lo, exec_lo
	s_or_b32 s11, s11, s25
	s_or_b32 exec_lo, exec_lo, s26
	s_and_saveexec_b32 s25, s11
	s_cbranch_execnz .LBB6_4158
	s_branch .LBB6_4159
.LBB6_4608:                             ;   in Loop: Header=BB6_3373 Depth=2
	s_mov_b32 s11, -1
	s_mov_b32 s27, exec_lo
                                        ; implicit-def: $sgpr25
	v_cmpx_eq_u16_e64 0x80, v167
; %bb.4609:                             ;   in Loop: Header=BB6_3373 Depth=2
	s_mov_b32 s25, 0x7f800001
	s_xor_b32 s11, exec_lo, -1
; %bb.4610:                             ;   in Loop: Header=BB6_3373 Depth=2
	s_or_b32 exec_lo, exec_lo, s27
	s_delay_alu instid0(SALU_CYCLE_1)
	s_and_b32 s11, s11, exec_lo
                                        ; implicit-def: $vgpr167
	s_or_saveexec_b32 s26, s26
	v_mov_b32_e32 v163, s25
	s_xor_b32 exec_lo, exec_lo, s26
	s_cbranch_execz .LBB6_4169
.LBB6_4611:                             ;   in Loop: Header=BB6_3373 Depth=2
	v_cmp_ne_u16_e64 vcc_lo, 0, v167
	v_mov_b32_e32 v163, 0
	s_and_not1_b32 s11, s11, exec_lo
	s_delay_alu instid0(VALU_DEP_2) | instskip(NEXT) | instid1(SALU_CYCLE_1)
	s_and_b32 s25, vcc_lo, exec_lo
	s_or_b32 s11, s11, s25
	s_or_b32 exec_lo, exec_lo, s26
	s_and_saveexec_b32 s25, s11
	s_cbranch_execnz .LBB6_4170
	s_branch .LBB6_4171
.LBB6_4612:                             ;   in Loop: Header=BB6_3373 Depth=2
	s_mov_b32 s11, -1
	s_mov_b32 s27, exec_lo
                                        ; implicit-def: $sgpr25
	v_cmpx_eq_u16_e64 0x80, v167
; %bb.4613:                             ;   in Loop: Header=BB6_3373 Depth=2
	s_mov_b32 s25, 0x7f800001
	s_xor_b32 s11, exec_lo, -1
; %bb.4614:                             ;   in Loop: Header=BB6_3373 Depth=2
	s_or_b32 exec_lo, exec_lo, s27
	s_delay_alu instid0(SALU_CYCLE_1)
	s_and_b32 s11, s11, exec_lo
                                        ; implicit-def: $vgpr167
	s_or_saveexec_b32 s26, s26
	v_mov_b32_e32 v114, s25
	s_xor_b32 exec_lo, exec_lo, s26
	s_cbranch_execz .LBB6_4173
.LBB6_4615:                             ;   in Loop: Header=BB6_3373 Depth=2
	v_cmp_ne_u16_e64 vcc_lo, 0, v167
	v_mov_b32_e32 v114, 0
	s_and_not1_b32 s11, s11, exec_lo
	s_delay_alu instid0(VALU_DEP_2) | instskip(NEXT) | instid1(SALU_CYCLE_1)
	s_and_b32 s25, vcc_lo, exec_lo
	s_or_b32 s11, s11, s25
	s_or_b32 exec_lo, exec_lo, s26
	s_and_saveexec_b32 s25, s11
	s_cbranch_execnz .LBB6_4174
	s_branch .LBB6_4175
.LBB6_4616:                             ;   in Loop: Header=BB6_3373 Depth=2
	s_mov_b32 s11, -1
	s_mov_b32 s27, exec_lo
                                        ; implicit-def: $sgpr25
	v_cmpx_eq_u16_e64 0x80, v163
; %bb.4617:                             ;   in Loop: Header=BB6_3373 Depth=2
	s_mov_b32 s25, 0x7f800001
	s_xor_b32 s11, exec_lo, -1
; %bb.4618:                             ;   in Loop: Header=BB6_3373 Depth=2
	s_or_b32 exec_lo, exec_lo, s27
	s_delay_alu instid0(SALU_CYCLE_1)
	s_and_b32 s11, s11, exec_lo
                                        ; implicit-def: $vgpr163
	s_or_saveexec_b32 s26, s26
	v_mov_b32_e32 v150, s25
	s_xor_b32 exec_lo, exec_lo, s26
	s_cbranch_execz .LBB6_4185
.LBB6_4619:                             ;   in Loop: Header=BB6_3373 Depth=2
	v_cmp_ne_u16_e64 vcc_lo, 0, v163
	v_mov_b32_e32 v150, 0
	s_and_not1_b32 s11, s11, exec_lo
	s_delay_alu instid0(VALU_DEP_2) | instskip(NEXT) | instid1(SALU_CYCLE_1)
	s_and_b32 s25, vcc_lo, exec_lo
	s_or_b32 s11, s11, s25
	s_or_b32 exec_lo, exec_lo, s26
	s_and_saveexec_b32 s25, s11
	s_cbranch_execnz .LBB6_4186
	s_branch .LBB6_4187
.LBB6_4620:                             ;   in Loop: Header=BB6_3373 Depth=2
	s_mov_b32 s11, -1
	s_mov_b32 s27, exec_lo
                                        ; implicit-def: $sgpr25
	v_cmpx_eq_u16_e64 0x80, v163
; %bb.4621:                             ;   in Loop: Header=BB6_3373 Depth=2
	s_mov_b32 s25, 0x7f800001
	s_xor_b32 s11, exec_lo, -1
; %bb.4622:                             ;   in Loop: Header=BB6_3373 Depth=2
	s_or_b32 exec_lo, exec_lo, s27
	s_delay_alu instid0(SALU_CYCLE_1)
	s_and_b32 s11, s11, exec_lo
                                        ; implicit-def: $vgpr163
	s_or_saveexec_b32 s26, s26
	v_mov_b32_e32 v70, s25
	s_xor_b32 exec_lo, exec_lo, s26
	s_cbranch_execz .LBB6_4189
.LBB6_4623:                             ;   in Loop: Header=BB6_3373 Depth=2
	v_cmp_ne_u16_e64 vcc_lo, 0, v163
	v_mov_b32_e32 v70, 0
	s_and_not1_b32 s11, s11, exec_lo
	s_delay_alu instid0(VALU_DEP_2) | instskip(NEXT) | instid1(SALU_CYCLE_1)
	s_and_b32 s25, vcc_lo, exec_lo
	s_or_b32 s11, s11, s25
	s_or_b32 exec_lo, exec_lo, s26
	s_and_saveexec_b32 s25, s11
	s_cbranch_execnz .LBB6_4190
	s_branch .LBB6_4191
.LBB6_4624:                             ;   in Loop: Header=BB6_3373 Depth=2
	s_mov_b32 s11, -1
	s_mov_b32 s27, exec_lo
                                        ; implicit-def: $sgpr25
	v_cmpx_eq_u16_e64 0x80, v150
; %bb.4625:                             ;   in Loop: Header=BB6_3373 Depth=2
	s_mov_b32 s25, 0x7f800001
	s_xor_b32 s11, exec_lo, -1
; %bb.4626:                             ;   in Loop: Header=BB6_3373 Depth=2
	s_or_b32 exec_lo, exec_lo, s27
	s_delay_alu instid0(SALU_CYCLE_1)
	s_and_b32 s11, s11, exec_lo
                                        ; implicit-def: $vgpr150
	s_or_saveexec_b32 s26, s26
	v_mov_b32_e32 v145, s25
	s_xor_b32 exec_lo, exec_lo, s26
	s_cbranch_execz .LBB6_4201
.LBB6_4627:                             ;   in Loop: Header=BB6_3373 Depth=2
	v_cmp_ne_u16_e64 vcc_lo, 0, v150
	v_mov_b32_e32 v145, 0
	s_and_not1_b32 s11, s11, exec_lo
	s_delay_alu instid0(VALU_DEP_2) | instskip(NEXT) | instid1(SALU_CYCLE_1)
	s_and_b32 s25, vcc_lo, exec_lo
	s_or_b32 s11, s11, s25
	s_or_b32 exec_lo, exec_lo, s26
	s_and_saveexec_b32 s25, s11
	s_cbranch_execnz .LBB6_4202
	s_branch .LBB6_4203
.LBB6_4628:                             ;   in Loop: Header=BB6_3373 Depth=2
	s_mov_b32 s11, -1
	s_mov_b32 s27, exec_lo
                                        ; implicit-def: $sgpr25
	v_cmpx_eq_u16_e64 0x80, v150
; %bb.4629:                             ;   in Loop: Header=BB6_3373 Depth=2
	s_mov_b32 s25, 0x7f800001
	s_xor_b32 s11, exec_lo, -1
; %bb.4630:                             ;   in Loop: Header=BB6_3373 Depth=2
	s_or_b32 exec_lo, exec_lo, s27
	s_delay_alu instid0(SALU_CYCLE_1)
	s_and_b32 s11, s11, exec_lo
                                        ; implicit-def: $vgpr150
	s_or_saveexec_b32 s26, s26
	v_mov_b32_e32 v68, s25
	s_xor_b32 exec_lo, exec_lo, s26
	s_cbranch_execz .LBB6_4205
.LBB6_4631:                             ;   in Loop: Header=BB6_3373 Depth=2
	v_cmp_ne_u16_e64 vcc_lo, 0, v150
	v_mov_b32_e32 v68, 0
	s_and_not1_b32 s11, s11, exec_lo
	s_delay_alu instid0(VALU_DEP_2) | instskip(NEXT) | instid1(SALU_CYCLE_1)
	s_and_b32 s25, vcc_lo, exec_lo
	s_or_b32 s11, s11, s25
	s_or_b32 exec_lo, exec_lo, s26
	s_and_saveexec_b32 s25, s11
	s_cbranch_execnz .LBB6_4206
	s_branch .LBB6_4207
.LBB6_4632:                             ;   in Loop: Header=BB6_3373 Depth=2
	s_mov_b32 s11, -1
	s_mov_b32 s27, exec_lo
                                        ; implicit-def: $sgpr25
	v_cmpx_eq_u16_e64 0x80, v145
; %bb.4633:                             ;   in Loop: Header=BB6_3373 Depth=2
	s_mov_b32 s25, 0x7f800001
	s_xor_b32 s11, exec_lo, -1
; %bb.4634:                             ;   in Loop: Header=BB6_3373 Depth=2
	s_or_b32 exec_lo, exec_lo, s27
	s_delay_alu instid0(SALU_CYCLE_1)
	s_and_b32 s11, s11, exec_lo
                                        ; implicit-def: $vgpr145
	s_or_saveexec_b32 s26, s26
	v_mov_b32_e32 v132, s25
	s_xor_b32 exec_lo, exec_lo, s26
	s_cbranch_execz .LBB6_4217
.LBB6_4635:                             ;   in Loop: Header=BB6_3373 Depth=2
	v_cmp_ne_u16_e64 vcc_lo, 0, v145
	v_mov_b32_e32 v132, 0
	s_and_not1_b32 s11, s11, exec_lo
	s_delay_alu instid0(VALU_DEP_2) | instskip(NEXT) | instid1(SALU_CYCLE_1)
	s_and_b32 s25, vcc_lo, exec_lo
	s_or_b32 s11, s11, s25
	s_or_b32 exec_lo, exec_lo, s26
	s_and_saveexec_b32 s25, s11
	s_cbranch_execnz .LBB6_4218
	s_branch .LBB6_4219
.LBB6_4636:                             ;   in Loop: Header=BB6_3373 Depth=2
	s_mov_b32 s11, -1
	s_mov_b32 s27, exec_lo
                                        ; implicit-def: $sgpr25
	v_cmpx_eq_u16_e64 0x80, v145
; %bb.4637:                             ;   in Loop: Header=BB6_3373 Depth=2
	s_mov_b32 s25, 0x7f800001
	s_xor_b32 s11, exec_lo, -1
; %bb.4638:                             ;   in Loop: Header=BB6_3373 Depth=2
	s_or_b32 exec_lo, exec_lo, s27
	s_delay_alu instid0(SALU_CYCLE_1)
	s_and_b32 s11, s11, exec_lo
                                        ; implicit-def: $vgpr145
	s_or_saveexec_b32 s26, s26
	v_mov_b32_e32 v67, s25
	s_xor_b32 exec_lo, exec_lo, s26
	s_cbranch_execz .LBB6_4221
.LBB6_4639:                             ;   in Loop: Header=BB6_3373 Depth=2
	v_cmp_ne_u16_e64 vcc_lo, 0, v145
	v_mov_b32_e32 v67, 0
	s_and_not1_b32 s11, s11, exec_lo
	s_delay_alu instid0(VALU_DEP_2) | instskip(NEXT) | instid1(SALU_CYCLE_1)
	s_and_b32 s25, vcc_lo, exec_lo
	s_or_b32 s11, s11, s25
	s_or_b32 exec_lo, exec_lo, s26
	s_and_saveexec_b32 s25, s11
	s_cbranch_execnz .LBB6_4222
	s_branch .LBB6_4223
.LBB6_4640:                             ;   in Loop: Header=BB6_3373 Depth=2
	s_mov_b32 s11, -1
	s_mov_b32 s27, exec_lo
                                        ; implicit-def: $sgpr25
	v_cmpx_eq_u16_e64 0x80, v132
; %bb.4641:                             ;   in Loop: Header=BB6_3373 Depth=2
	s_mov_b32 s25, 0x7f800001
	s_xor_b32 s11, exec_lo, -1
; %bb.4642:                             ;   in Loop: Header=BB6_3373 Depth=2
	s_or_b32 exec_lo, exec_lo, s27
	s_delay_alu instid0(SALU_CYCLE_1)
	s_and_b32 s11, s11, exec_lo
                                        ; implicit-def: $vgpr132
	s_or_saveexec_b32 s26, s26
	v_mov_b32_e32 v118, s25
	s_xor_b32 exec_lo, exec_lo, s26
	s_cbranch_execz .LBB6_4233
.LBB6_4643:                             ;   in Loop: Header=BB6_3373 Depth=2
	v_cmp_ne_u16_e64 vcc_lo, 0, v132
	v_mov_b32_e32 v118, 0
	s_and_not1_b32 s11, s11, exec_lo
	s_delay_alu instid0(VALU_DEP_2) | instskip(NEXT) | instid1(SALU_CYCLE_1)
	s_and_b32 s25, vcc_lo, exec_lo
	s_or_b32 s11, s11, s25
	s_or_b32 exec_lo, exec_lo, s26
	s_and_saveexec_b32 s25, s11
	s_cbranch_execnz .LBB6_4234
	s_branch .LBB6_4235
.LBB6_4644:                             ;   in Loop: Header=BB6_3373 Depth=2
	s_mov_b32 s11, -1
	s_mov_b32 s27, exec_lo
                                        ; implicit-def: $sgpr25
	v_cmpx_eq_u16_e64 0x80, v132
; %bb.4645:                             ;   in Loop: Header=BB6_3373 Depth=2
	s_mov_b32 s25, 0x7f800001
	s_xor_b32 s11, exec_lo, -1
; %bb.4646:                             ;   in Loop: Header=BB6_3373 Depth=2
	s_or_b32 exec_lo, exec_lo, s27
	s_delay_alu instid0(SALU_CYCLE_1)
	s_and_b32 s11, s11, exec_lo
                                        ; implicit-def: $vgpr132
	s_or_saveexec_b32 s26, s26
	v_mov_b32_e32 v25, s25
	s_xor_b32 exec_lo, exec_lo, s26
	s_cbranch_execz .LBB6_4237
.LBB6_4647:                             ;   in Loop: Header=BB6_3373 Depth=2
	v_cmp_ne_u16_e64 vcc_lo, 0, v132
	v_mov_b32_e32 v25, 0
	s_and_not1_b32 s11, s11, exec_lo
	s_delay_alu instid0(VALU_DEP_2) | instskip(NEXT) | instid1(SALU_CYCLE_1)
	s_and_b32 s25, vcc_lo, exec_lo
	s_or_b32 s11, s11, s25
	s_or_b32 exec_lo, exec_lo, s26
	s_and_saveexec_b32 s25, s11
	s_cbranch_execnz .LBB6_4238
	s_branch .LBB6_4239
.LBB6_4648:                             ;   in Loop: Header=BB6_3373 Depth=2
	s_mov_b32 s11, -1
	s_mov_b32 s27, exec_lo
                                        ; implicit-def: $sgpr25
	v_cmpx_eq_u16_e32 0x80, v118
; %bb.4649:                             ;   in Loop: Header=BB6_3373 Depth=2
	s_mov_b32 s25, 0x7f800001
	s_xor_b32 s11, exec_lo, -1
; %bb.4650:                             ;   in Loop: Header=BB6_3373 Depth=2
	s_or_b32 exec_lo, exec_lo, s27
	s_delay_alu instid0(SALU_CYCLE_1)
	s_and_b32 s11, s11, exec_lo
                                        ; implicit-def: $vgpr118
	s_or_saveexec_b32 s26, s26
	v_mov_b32_e32 v71, s25
	s_xor_b32 exec_lo, exec_lo, s26
	s_cbranch_execz .LBB6_4249
.LBB6_4651:                             ;   in Loop: Header=BB6_3373 Depth=2
	v_cmp_ne_u16_e32 vcc_lo, 0, v118
	v_mov_b32_e32 v71, 0
	s_and_not1_b32 s11, s11, exec_lo
	s_and_b32 s25, vcc_lo, exec_lo
	s_delay_alu instid0(SALU_CYCLE_1)
	s_or_b32 s11, s11, s25
	s_or_b32 exec_lo, exec_lo, s26
	s_and_saveexec_b32 s25, s11
	s_cbranch_execnz .LBB6_4250
	s_branch .LBB6_4251
.LBB6_4652:                             ;   in Loop: Header=BB6_3373 Depth=2
	s_mov_b32 s11, -1
	s_mov_b32 s27, exec_lo
                                        ; implicit-def: $sgpr25
	v_cmpx_eq_u16_e32 0x80, v118
; %bb.4653:                             ;   in Loop: Header=BB6_3373 Depth=2
	s_mov_b32 s25, 0x7f800001
	s_xor_b32 s11, exec_lo, -1
; %bb.4654:                             ;   in Loop: Header=BB6_3373 Depth=2
	s_or_b32 exec_lo, exec_lo, s27
	s_delay_alu instid0(SALU_CYCLE_1)
	s_and_b32 s11, s11, exec_lo
                                        ; implicit-def: $vgpr118
	s_or_saveexec_b32 s26, s26
	v_mov_b32_e32 v23, s25
	s_xor_b32 exec_lo, exec_lo, s26
	s_cbranch_execz .LBB6_4253
.LBB6_4655:                             ;   in Loop: Header=BB6_3373 Depth=2
	v_cmp_ne_u16_e32 vcc_lo, 0, v118
	v_mov_b32_e32 v23, 0
	s_and_not1_b32 s11, s11, exec_lo
	s_and_b32 s25, vcc_lo, exec_lo
	s_delay_alu instid0(SALU_CYCLE_1)
	s_or_b32 s11, s11, s25
	s_or_b32 exec_lo, exec_lo, s26
	s_and_saveexec_b32 s25, s11
	s_cbranch_execnz .LBB6_4254
	s_branch .LBB6_4255
.LBB6_4656:                             ;   in Loop: Header=BB6_3373 Depth=2
	s_mov_b32 s11, -1
	s_mov_b32 s27, exec_lo
                                        ; implicit-def: $sgpr25
	v_cmpx_eq_u16_e32 0x80, v71
; %bb.4657:                             ;   in Loop: Header=BB6_3373 Depth=2
	s_mov_b32 s25, 0x7f800001
	s_xor_b32 s11, exec_lo, -1
; %bb.4658:                             ;   in Loop: Header=BB6_3373 Depth=2
	s_or_b32 exec_lo, exec_lo, s27
	s_delay_alu instid0(SALU_CYCLE_1)
	s_and_b32 s11, s11, exec_lo
                                        ; implicit-def: $vgpr71
	s_or_saveexec_b32 s26, s26
	v_mov_b32_e32 v66, s25
	s_xor_b32 exec_lo, exec_lo, s26
	s_cbranch_execz .LBB6_4265
.LBB6_4659:                             ;   in Loop: Header=BB6_3373 Depth=2
	v_cmp_ne_u16_e32 vcc_lo, 0, v71
	v_mov_b32_e32 v66, 0
	s_and_not1_b32 s11, s11, exec_lo
	s_and_b32 s25, vcc_lo, exec_lo
	s_delay_alu instid0(SALU_CYCLE_1)
	s_or_b32 s11, s11, s25
	s_or_b32 exec_lo, exec_lo, s26
	s_and_saveexec_b32 s25, s11
	s_cbranch_execnz .LBB6_4266
	s_branch .LBB6_4267
.LBB6_4660:                             ;   in Loop: Header=BB6_3373 Depth=2
	s_mov_b32 s11, -1
	s_mov_b32 s27, exec_lo
                                        ; implicit-def: $sgpr25
	v_cmpx_eq_u16_e32 0x80, v71
; %bb.4661:                             ;   in Loop: Header=BB6_3373 Depth=2
	s_mov_b32 s25, 0x7f800001
	s_xor_b32 s11, exec_lo, -1
; %bb.4662:                             ;   in Loop: Header=BB6_3373 Depth=2
	s_or_b32 exec_lo, exec_lo, s27
	s_delay_alu instid0(SALU_CYCLE_1)
	s_and_b32 s11, s11, exec_lo
                                        ; implicit-def: $vgpr71
	s_or_saveexec_b32 s26, s26
	v_mov_b32_e32 v17, s25
	s_xor_b32 exec_lo, exec_lo, s26
	s_cbranch_execz .LBB6_4269
.LBB6_4663:                             ;   in Loop: Header=BB6_3373 Depth=2
	v_cmp_ne_u16_e32 vcc_lo, 0, v71
	v_mov_b32_e32 v17, 0
	s_and_not1_b32 s11, s11, exec_lo
	s_and_b32 s25, vcc_lo, exec_lo
	s_delay_alu instid0(SALU_CYCLE_1)
	s_or_b32 s11, s11, s25
	s_or_b32 exec_lo, exec_lo, s26
	s_and_saveexec_b32 s25, s11
	s_cbranch_execnz .LBB6_4270
	s_branch .LBB6_4271
.LBB6_4664:                             ;   in Loop: Header=BB6_53 Depth=1
	s_or_b32 exec_lo, exec_lo, s24
.LBB6_4665:                             ;   in Loop: Header=BB6_53 Depth=1
	s_delay_alu instid0(SALU_CYCLE_1) | instskip(SKIP_1) | instid1(VALU_DEP_1)
	s_or_b32 exec_lo, exec_lo, s23
	v_lshlrev_b32_e32 v10, 10, v22
	v_cmp_ne_u32_e32 vcc_lo, v19, v10
	s_and_b32 exec_lo, exec_lo, vcc_lo
	s_cbranch_execz .LBB6_4720
; %bb.4666:                             ;   in Loop: Header=BB6_53 Depth=1
	v_ashrrev_i32_e32 v11, 31, v20
	v_lshlrev_b32_e32 v12, 5, v21
	s_delay_alu instid0(VALU_DEP_2) | instskip(NEXT) | instid1(VALU_DEP_1)
	v_lshrrev_b32_e32 v11, 27, v11
	v_add_nc_u32_e32 v11, v20, v11
	s_delay_alu instid0(VALU_DEP_1) | instskip(NEXT) | instid1(VALU_DEP_1)
	v_and_b32_e32 v11, 0xffffffe0, v11
	v_sub_nc_u32_e32 v11, v20, v11
	s_delay_alu instid0(VALU_DEP_1) | instskip(NEXT) | instid1(VALU_DEP_1)
	v_sub_nc_u32_e32 v11, v11, v12
	v_add_nc_u32_e32 v10, v10, v11
	s_delay_alu instid0(VALU_DEP_1) | instskip(NEXT) | instid1(VALU_DEP_1)
	v_sub_nc_u32_e32 v19, v19, v10
	v_cmp_lt_i32_e32 vcc_lo, 0, v19
	s_and_b32 exec_lo, exec_lo, vcc_lo
	s_cbranch_execz .LBB6_4720
; %bb.4667:                             ;   in Loop: Header=BB6_53 Depth=1
	s_cbranch_execz .LBB6_4668
; %bb.13021:
	s_getpc_b64 s[34:35]
.Lpost_getpc160:
	s_add_u32 s34, s34, (.LBB6_12899-.Lpost_getpc160)&4294967295
	s_addc_u32 s35, s35, (.LBB6_12899-.Lpost_getpc160)>>32
	s_setpc_b64 s[34:35]
.LBB6_4668:                             ;   in Loop: Header=BB6_53 Depth=1
	ds_load_b128 v[11:14], v0
	ds_load_b64 v[15:16], v0
	v_add_nc_u32_e32 v17, v10, v18
	s_mov_b32 s23, 0
	s_delay_alu instid0(VALU_DEP_1) | instskip(SKIP_2) | instid1(VALU_DEP_2)
	v_ashrrev_i32_e32 v18, 31, v17
	s_waitcnt lgkmcnt(1)
	v_add_co_u32 v10, vcc_lo, v11, v17
	v_add_co_ci_u32_e32 v11, vcc_lo, v12, v18, vcc_lo
	v_add_co_u32 v12, vcc_lo, v13, v17
	v_add_co_ci_u32_e32 v13, vcc_lo, v14, v18, vcc_lo
	s_waitcnt lgkmcnt(0)
	v_add_co_u32 v14, vcc_lo, v15, v17
	v_add_co_ci_u32_e32 v15, vcc_lo, v16, v18, vcc_lo
.LBB6_4669:                             ;   Parent Loop BB6_53 Depth=1
                                        ; =>  This Inner Loop Header: Depth=2
	s_cbranch_execz .LBB6_4670
; %bb.13023:
	s_getpc_b64 s[34:35]
.Lpost_getpc161:
	s_add_u32 s34, s34, (.LBB6_12901-.Lpost_getpc161)&4294967295
	s_addc_u32 s35, s35, (.LBB6_12901-.Lpost_getpc161)>>32
	s_setpc_b64 s[34:35]
.LBB6_4670:                             ;   in Loop: Header=BB6_4669 Depth=2
	ds_load_b64 v[16:17], v0
	s_waitcnt lgkmcnt(0)
	v_and_b32_e32 v17, 0xff, v16
	v_readfirstlane_b32 s11, v16
	s_delay_alu instid0(VALU_DEP_2)
	v_cmp_gt_i16_e32 vcc_lo, 0x80, v17
	s_cbranch_vccnz .LBB6_4674
; %bb.4671:                             ;   in Loop: Header=BB6_4669 Depth=2
	v_cmp_eq_u16_e32 vcc_lo, 0x80, v17
	s_mov_b32 s24, -1
                                        ; implicit-def: $sgpr25
	s_cbranch_vccz .LBB6_4673
; %bb.4672:                             ;   in Loop: Header=BB6_4669 Depth=2
	s_mov_b32 s24, 0
	s_mov_b32 s25, 0x7f800001
.LBB6_4673:                             ;   in Loop: Header=BB6_4669 Depth=2
	s_mov_b32 s26, 0
	s_branch .LBB6_4675
.LBB6_4674:                             ;   in Loop: Header=BB6_4669 Depth=2
	s_mov_b32 s26, -1
	s_mov_b32 s24, 0
                                        ; implicit-def: $sgpr25
.LBB6_4675:                             ;   in Loop: Header=BB6_4669 Depth=2
	s_and_b32 vcc_lo, exec_lo, s26
	s_cbranch_vccz .LBB6_4677
; %bb.4676:                             ;   in Loop: Header=BB6_4669 Depth=2
	v_cmp_ne_u16_e64 s24, 0, v17
	s_mov_b32 s25, 0
.LBB6_4677:                             ;   in Loop: Header=BB6_4669 Depth=2
	s_delay_alu instid0(SALU_CYCLE_1) | instskip(NEXT) | instid1(VALU_DEP_2)
	v_mov_b32_e32 v17, s25
	s_and_not1_b32 vcc_lo, exec_lo, s24
	s_cbranch_vccnz .LBB6_4679
; %bb.4678:                             ;   in Loop: Header=BB6_4669 Depth=2
	s_and_b32 s24, s11, 7
	s_bfe_u32 s26, s11, 0x40003
	s_clz_i32_u32 s25, s24
	v_lshlrev_b32_e32 v16, 24, v16
	s_min_u32 s25, s25, 32
	s_delay_alu instid0(SALU_CYCLE_1)
	s_sub_i32 s27, s25, 28
	s_sub_i32 s25, 29, s25
	s_lshl_b32 s11, s11, s27
	v_and_b32_e32 v16, 0x80000000, v16
	s_and_b32 s11, s11, 7
	s_cmp_eq_u32 s26, 0
	s_cselect_b32 s25, s25, s26
	s_cselect_b32 s11, s11, s24
	s_lshl_b32 s24, s25, 23
	s_lshl_b32 s11, s11, 20
	s_add_i32 s24, s24, 0x3b800000
	s_delay_alu instid0(SALU_CYCLE_1) | instskip(NEXT) | instid1(VALU_DEP_1)
	v_or_b32_e32 v16, s24, v16
	v_or_b32_e32 v17, s11, v16
.LBB6_4679:                             ;   in Loop: Header=BB6_4669 Depth=2
	flat_load_u8 v16, v[10:11] slc dlc
	s_mov_b32 s11, 0
	s_mov_b32 s25, exec_lo
                                        ; implicit-def: $sgpr24
	s_waitcnt vmcnt(0) lgkmcnt(0)
	v_cmpx_lt_i16_e32 0x7f, v16
	s_xor_b32 s25, exec_lo, s25
	s_cbranch_execnz .LBB6_4708
; %bb.4680:                             ;   in Loop: Header=BB6_4669 Depth=2
	s_or_saveexec_b32 s25, s25
	v_mov_b32_e32 v18, s24
	s_xor_b32 exec_lo, exec_lo, s25
	s_cbranch_execnz .LBB6_4711
.LBB6_4681:                             ;   in Loop: Header=BB6_4669 Depth=2
	s_or_b32 exec_lo, exec_lo, s25
	s_and_saveexec_b32 s24, s11
	s_cbranch_execz .LBB6_4683
.LBB6_4682:                             ;   in Loop: Header=BB6_4669 Depth=2
	v_and_b32_e32 v18, 0xffff, v16
	v_lshlrev_b32_e32 v16, 24, v16
	s_delay_alu instid0(VALU_DEP_2) | instskip(NEXT) | instid1(VALU_DEP_2)
	v_and_b32_e32 v20, 7, v18
	v_and_b32_e32 v16, 0x80000000, v16
	s_delay_alu instid0(VALU_DEP_2) | instskip(NEXT) | instid1(VALU_DEP_1)
	v_clz_i32_u32_e32 v21, v20
	v_min_u32_e32 v21, 32, v21
	s_delay_alu instid0(VALU_DEP_1) | instskip(SKIP_1) | instid1(VALU_DEP_2)
	v_subrev_nc_u32_e32 v22, 28, v21
	v_sub_nc_u32_e32 v21, 29, v21
	v_lshlrev_b32_e32 v22, v22, v18
	v_bfe_u32 v18, v18, 3, 4
	s_delay_alu instid0(VALU_DEP_2) | instskip(NEXT) | instid1(VALU_DEP_2)
	v_and_b32_e32 v22, 7, v22
	v_cmp_eq_u32_e32 vcc_lo, 0, v18
	v_cndmask_b32_e32 v18, v18, v21, vcc_lo
	s_delay_alu instid0(VALU_DEP_3) | instskip(NEXT) | instid1(VALU_DEP_2)
	v_cndmask_b32_e32 v20, v20, v22, vcc_lo
	v_lshl_add_u32 v18, v18, 23, 0x3b800000
	s_delay_alu instid0(VALU_DEP_2) | instskip(NEXT) | instid1(VALU_DEP_1)
	v_lshlrev_b32_e32 v20, 20, v20
	v_or3_b32 v18, v16, v18, v20
.LBB6_4683:                             ;   in Loop: Header=BB6_4669 Depth=2
	s_or_b32 exec_lo, exec_lo, s24
	s_delay_alu instid0(VALU_DEP_1) | instskip(SKIP_2) | instid1(VALU_DEP_2)
	v_mul_f32_e32 v16, v17, v18
	v_mov_b32_e32 v18, 0x80
	s_mov_b32 s24, exec_lo
	v_and_b32_e32 v17, 0x7f800000, v16
	s_delay_alu instid0(VALU_DEP_1)
	v_cmpx_ne_u32_e32 0x7f800000, v17
	s_cbranch_execz .LBB6_4691
; %bb.4684:                             ;   in Loop: Header=BB6_4669 Depth=2
	v_mov_b32_e32 v18, 0
	s_mov_b32 s25, exec_lo
	v_cmpx_ne_u32_e32 0, v16
	s_cbranch_execz .LBB6_4690
; %bb.4685:                             ;   in Loop: Header=BB6_4669 Depth=2
	v_bfe_u32 v17, v16, 23, 8
	v_and_b32_e32 v18, 0x7fffff, v16
	s_delay_alu instid0(VALU_DEP_2) | instskip(SKIP_1) | instid1(VALU_DEP_3)
	v_sub_nc_u32_e32 v20, 0x78, v17
	v_cmp_gt_u32_e32 vcc_lo, 0x79, v17
	v_or_b32_e32 v21, 0x800000, v18
	s_delay_alu instid0(VALU_DEP_3) | instskip(SKIP_2) | instid1(VALU_DEP_3)
	v_cndmask_b32_e32 v20, 0, v20, vcc_lo
	v_cmp_eq_u32_e32 vcc_lo, 0, v17
	v_add_nc_u32_e32 v17, 0xffffff89, v17
	v_cndmask_b32_e64 v20, v20, 0x77, vcc_lo
	v_cndmask_b32_e32 v18, v21, v18, vcc_lo
	s_delay_alu instid0(VALU_DEP_3) | instskip(NEXT) | instid1(VALU_DEP_3)
	v_cndmask_b32_e64 v17, v17, 0xffffff8a, vcc_lo
	v_lshl_add_u32 v21, 0x100000, v20, -1
	s_delay_alu instid0(VALU_DEP_3) | instskip(SKIP_1) | instid1(VALU_DEP_4)
	v_lshrrev_b32_e32 v22, v20, v18
	v_lshlrev_b32_e64 v24, v20, 0x80000
	v_add_nc_u32_e32 v20, v20, v17
	s_delay_alu instid0(VALU_DEP_4) | instskip(NEXT) | instid1(VALU_DEP_4)
	v_and_b32_e32 v18, v21, v18
	v_bfe_u32 v23, v22, 20, 1
	s_delay_alu instid0(VALU_DEP_2) | instskip(NEXT) | instid1(VALU_DEP_2)
	v_cmp_eq_u32_e64 s11, v18, v24
	v_add_nc_u32_e32 v21, -1, v23
	s_delay_alu instid0(VALU_DEP_1) | instskip(SKIP_2) | instid1(VALU_DEP_2)
	v_cndmask_b32_e64 v18, 0, v21, s11
	v_lshrrev_b32_e32 v21, 23, v22
	s_mov_b32 s11, exec_lo
	v_add_nc_u32_e32 v18, v18, v22
	s_delay_alu instid0(VALU_DEP_2) | instskip(NEXT) | instid1(VALU_DEP_2)
	v_xor_b32_e32 v21, 1, v21
	v_and_b32_e32 v17, 0xfffff, v18
	s_delay_alu instid0(VALU_DEP_1) | instskip(NEXT) | instid1(VALU_DEP_3)
	v_add_nc_u32_e32 v18, v17, v22
                                        ; implicit-def: $vgpr17
	v_cmpx_ne_u32_e64 v20, v21
	s_xor_b32 s11, exec_lo, s11
; %bb.4686:                             ;   in Loop: Header=BB6_4669 Depth=2
	s_delay_alu instid0(VALU_DEP_2) | instskip(SKIP_2) | instid1(VALU_DEP_2)
	v_cmp_lt_u32_e32 vcc_lo, 0xffffff, v18
	v_sub_nc_u32_e32 v17, v20, v21
	v_cndmask_b32_e64 v20, 0, 1, vcc_lo
	v_add_co_ci_u32_e32 v17, vcc_lo, 0, v17, vcc_lo
	s_delay_alu instid0(VALU_DEP_2)
	v_lshrrev_b32_e32 v18, v20, v18
; %bb.4687:                             ;   in Loop: Header=BB6_4669 Depth=2
	s_and_not1_saveexec_b32 s11, s11
; %bb.4688:                             ;   in Loop: Header=BB6_4669 Depth=2
	s_delay_alu instid0(VALU_DEP_1)
	v_bfe_u32 v17, v18, 23, 1
; %bb.4689:                             ;   in Loop: Header=BB6_4669 Depth=2
	s_or_b32 exec_lo, exec_lo, s11
	v_lshrrev_b32_e32 v18, 20, v18
	s_delay_alu instid0(VALU_DEP_2) | instskip(SKIP_2) | instid1(VALU_DEP_4)
	v_cmp_gt_i32_e32 vcc_lo, 16, v17
	v_lshrrev_b32_e32 v16, 24, v16
	v_min_i32_e32 v20, 15, v17
	v_cndmask_b32_e32 v18, 7, v18, vcc_lo
	s_delay_alu instid0(VALU_DEP_3) | instskip(NEXT) | instid1(VALU_DEP_3)
	v_and_b32_e32 v16, 0x80, v16
	v_lshlrev_b32_e32 v20, 3, v20
	s_delay_alu instid0(VALU_DEP_3) | instskip(NEXT) | instid1(VALU_DEP_1)
	v_or_b32_e32 v17, v17, v18
	v_cmp_ne_u32_e32 vcc_lo, 0, v17
	v_and_b32_e32 v21, 7, v18
	s_delay_alu instid0(VALU_DEP_1) | instskip(NEXT) | instid1(VALU_DEP_1)
	v_or3_b32 v16, v20, v16, v21
	v_cndmask_b32_e32 v18, 0, v16, vcc_lo
.LBB6_4690:                             ;   in Loop: Header=BB6_4669 Depth=2
	s_or_b32 exec_lo, exec_lo, s25
.LBB6_4691:                             ;   in Loop: Header=BB6_4669 Depth=2
	s_delay_alu instid0(SALU_CYCLE_1) | instskip(SKIP_4) | instid1(VALU_DEP_1)
	s_or_b32 exec_lo, exec_lo, s24
	flat_load_u8 v16, v[12:13] slc dlc
	v_and_b32_e32 v20, 0xff, v18
	s_mov_b32 s11, 0
	s_mov_b32 s25, exec_lo
                                        ; implicit-def: $sgpr24
	v_cmpx_lt_i16_e32 0x7f, v20
	s_xor_b32 s25, exec_lo, s25
	s_cbranch_execnz .LBB6_4712
; %bb.4692:                             ;   in Loop: Header=BB6_4669 Depth=2
	s_or_saveexec_b32 s25, s25
	v_mov_b32_e32 v17, s24
	s_xor_b32 exec_lo, exec_lo, s25
	s_cbranch_execnz .LBB6_4715
.LBB6_4693:                             ;   in Loop: Header=BB6_4669 Depth=2
	s_or_b32 exec_lo, exec_lo, s25
	s_and_saveexec_b32 s24, s11
	s_cbranch_execz .LBB6_4695
.LBB6_4694:                             ;   in Loop: Header=BB6_4669 Depth=2
	v_lshrrev_b16 v22, 3, v18
	s_delay_alu instid0(VALU_DEP_1) | instskip(NEXT) | instid1(VALU_DEP_1)
	v_and_b32_e32 v22, 15, v22
	v_cmp_eq_u32_e32 vcc_lo, 0, v22
	v_and_b32_e32 v17, 7, v18
	s_delay_alu instid0(VALU_DEP_1) | instskip(NEXT) | instid1(VALU_DEP_1)
	v_clz_i32_u32_e32 v20, v17
	v_min_u32_e32 v20, 32, v20
	s_delay_alu instid0(VALU_DEP_1) | instskip(SKIP_1) | instid1(VALU_DEP_1)
	v_subrev_nc_u32_e32 v21, 28, v20
	v_sub_nc_u32_e32 v20, 29, v20
	v_dual_cndmask_b32 v20, v22, v20 :: v_dual_lshlrev_b32 v21, v21, v18
	v_lshlrev_b32_e32 v18, 24, v18
	s_delay_alu instid0(VALU_DEP_2) | instskip(NEXT) | instid1(VALU_DEP_3)
	v_and_b32_e32 v21, 7, v21
	v_lshl_add_u32 v20, v20, 23, 0x3b800000
	s_delay_alu instid0(VALU_DEP_2) | instskip(NEXT) | instid1(VALU_DEP_1)
	v_dual_cndmask_b32 v17, v17, v21 :: v_dual_and_b32 v18, 0x80000000, v18
	v_lshlrev_b32_e32 v17, 20, v17
	s_delay_alu instid0(VALU_DEP_1)
	v_or3_b32 v17, v18, v20, v17
.LBB6_4695:                             ;   in Loop: Header=BB6_4669 Depth=2
	s_or_b32 exec_lo, exec_lo, s24
	s_waitcnt vmcnt(0) lgkmcnt(0)
	v_and_b32_e32 v20, 0xff, v16
	s_mov_b32 s11, 0
	s_mov_b32 s25, exec_lo
                                        ; implicit-def: $sgpr24
	s_delay_alu instid0(VALU_DEP_1)
	v_cmpx_lt_i16_e32 0x7f, v20
	s_xor_b32 s25, exec_lo, s25
	s_cbranch_execnz .LBB6_4716
; %bb.4696:                             ;   in Loop: Header=BB6_4669 Depth=2
	s_or_saveexec_b32 s25, s25
	v_mov_b32_e32 v18, s24
	s_xor_b32 exec_lo, exec_lo, s25
	s_cbranch_execnz .LBB6_4719
.LBB6_4697:                             ;   in Loop: Header=BB6_4669 Depth=2
	s_or_b32 exec_lo, exec_lo, s25
	s_and_saveexec_b32 s24, s11
	s_cbranch_execz .LBB6_4699
.LBB6_4698:                             ;   in Loop: Header=BB6_4669 Depth=2
	v_and_b32_e32 v18, 7, v16
	v_lshrrev_b16 v22, 3, v16
	s_delay_alu instid0(VALU_DEP_2) | instskip(NEXT) | instid1(VALU_DEP_2)
	v_clz_i32_u32_e32 v20, v18
	v_and_b32_e32 v22, 15, v22
	s_delay_alu instid0(VALU_DEP_2) | instskip(NEXT) | instid1(VALU_DEP_2)
	v_min_u32_e32 v20, 32, v20
	v_cmp_eq_u32_e32 vcc_lo, 0, v22
	s_delay_alu instid0(VALU_DEP_2) | instskip(SKIP_1) | instid1(VALU_DEP_2)
	v_subrev_nc_u32_e32 v21, 28, v20
	v_sub_nc_u32_e32 v20, 29, v20
	v_lshlrev_b32_e32 v21, v21, v16
	v_lshlrev_b32_e32 v16, 24, v16
	s_delay_alu instid0(VALU_DEP_2) | instskip(NEXT) | instid1(VALU_DEP_2)
	v_dual_cndmask_b32 v20, v22, v20 :: v_dual_and_b32 v21, 7, v21
	v_and_b32_e32 v16, 0x80000000, v16
	s_delay_alu instid0(VALU_DEP_2) | instskip(NEXT) | instid1(VALU_DEP_3)
	v_lshl_add_u32 v20, v20, 23, 0x3b800000
	v_cndmask_b32_e32 v18, v18, v21, vcc_lo
	s_delay_alu instid0(VALU_DEP_1) | instskip(NEXT) | instid1(VALU_DEP_1)
	v_lshlrev_b32_e32 v18, 20, v18
	v_or3_b32 v18, v16, v20, v18
.LBB6_4699:                             ;   in Loop: Header=BB6_4669 Depth=2
	s_or_b32 exec_lo, exec_lo, s24
	s_delay_alu instid0(VALU_DEP_1) | instskip(NEXT) | instid1(VALU_DEP_1)
	v_add_f32_e32 v16, v17, v18
	v_and_b32_e32 v17, 0x7f800000, v16
	s_delay_alu instid0(VALU_DEP_1)
	v_cmp_ne_u32_e32 vcc_lo, 0x7f800000, v17
	v_mov_b32_e32 v17, 0x80
	s_and_saveexec_b32 s24, vcc_lo
	s_cbranch_execz .LBB6_4707
; %bb.4700:                             ;   in Loop: Header=BB6_4669 Depth=2
	v_mov_b32_e32 v17, 0
	s_mov_b32 s25, exec_lo
	v_cmpx_ne_u32_e32 0, v16
	s_cbranch_execz .LBB6_4706
; %bb.4701:                             ;   in Loop: Header=BB6_4669 Depth=2
	v_bfe_u32 v17, v16, 23, 8
	v_and_b32_e32 v18, 0x7fffff, v16
	s_delay_alu instid0(VALU_DEP_2) | instskip(SKIP_1) | instid1(VALU_DEP_3)
	v_sub_nc_u32_e32 v20, 0x78, v17
	v_cmp_gt_u32_e32 vcc_lo, 0x79, v17
	v_or_b32_e32 v21, 0x800000, v18
	s_delay_alu instid0(VALU_DEP_3) | instskip(SKIP_2) | instid1(VALU_DEP_3)
	v_cndmask_b32_e32 v20, 0, v20, vcc_lo
	v_cmp_eq_u32_e32 vcc_lo, 0, v17
	v_add_nc_u32_e32 v17, 0xffffff89, v17
	v_cndmask_b32_e64 v20, v20, 0x77, vcc_lo
	v_cndmask_b32_e32 v18, v21, v18, vcc_lo
	s_delay_alu instid0(VALU_DEP_3) | instskip(NEXT) | instid1(VALU_DEP_3)
	v_cndmask_b32_e64 v17, v17, 0xffffff8a, vcc_lo
	v_lshl_add_u32 v21, 0x100000, v20, -1
	s_delay_alu instid0(VALU_DEP_3) | instskip(SKIP_1) | instid1(VALU_DEP_4)
	v_lshrrev_b32_e32 v22, v20, v18
	v_lshlrev_b32_e64 v24, v20, 0x80000
	v_add_nc_u32_e32 v20, v20, v17
	s_delay_alu instid0(VALU_DEP_4) | instskip(NEXT) | instid1(VALU_DEP_4)
	v_and_b32_e32 v18, v21, v18
	v_bfe_u32 v23, v22, 20, 1
	s_delay_alu instid0(VALU_DEP_2) | instskip(NEXT) | instid1(VALU_DEP_2)
	v_cmp_eq_u32_e64 s11, v18, v24
	v_add_nc_u32_e32 v21, -1, v23
	s_delay_alu instid0(VALU_DEP_1) | instskip(SKIP_2) | instid1(VALU_DEP_2)
	v_cndmask_b32_e64 v18, 0, v21, s11
	v_lshrrev_b32_e32 v21, 23, v22
	s_mov_b32 s11, exec_lo
	v_add_nc_u32_e32 v18, v18, v22
	s_delay_alu instid0(VALU_DEP_2) | instskip(NEXT) | instid1(VALU_DEP_2)
	v_xor_b32_e32 v21, 1, v21
	v_and_b32_e32 v17, 0xfffff, v18
	s_delay_alu instid0(VALU_DEP_1) | instskip(NEXT) | instid1(VALU_DEP_3)
	v_add_nc_u32_e32 v18, v17, v22
                                        ; implicit-def: $vgpr17
	v_cmpx_ne_u32_e64 v20, v21
	s_xor_b32 s11, exec_lo, s11
; %bb.4702:                             ;   in Loop: Header=BB6_4669 Depth=2
	s_delay_alu instid0(VALU_DEP_2) | instskip(SKIP_2) | instid1(VALU_DEP_2)
	v_cmp_lt_u32_e32 vcc_lo, 0xffffff, v18
	v_sub_nc_u32_e32 v17, v20, v21
	v_cndmask_b32_e64 v20, 0, 1, vcc_lo
	v_add_co_ci_u32_e32 v17, vcc_lo, 0, v17, vcc_lo
	s_delay_alu instid0(VALU_DEP_2)
	v_lshrrev_b32_e32 v18, v20, v18
; %bb.4703:                             ;   in Loop: Header=BB6_4669 Depth=2
	s_and_not1_saveexec_b32 s11, s11
; %bb.4704:                             ;   in Loop: Header=BB6_4669 Depth=2
	s_delay_alu instid0(VALU_DEP_1)
	v_bfe_u32 v17, v18, 23, 1
; %bb.4705:                             ;   in Loop: Header=BB6_4669 Depth=2
	s_or_b32 exec_lo, exec_lo, s11
	v_lshrrev_b32_e32 v18, 20, v18
	s_delay_alu instid0(VALU_DEP_2) | instskip(SKIP_2) | instid1(VALU_DEP_4)
	v_cmp_gt_i32_e32 vcc_lo, 16, v17
	v_lshrrev_b32_e32 v16, 24, v16
	v_min_i32_e32 v20, 15, v17
	v_cndmask_b32_e32 v18, 7, v18, vcc_lo
	s_delay_alu instid0(VALU_DEP_3) | instskip(NEXT) | instid1(VALU_DEP_3)
	v_and_b32_e32 v16, 0x80, v16
	v_lshlrev_b32_e32 v20, 3, v20
	s_delay_alu instid0(VALU_DEP_3) | instskip(SKIP_1) | instid1(VALU_DEP_2)
	v_and_b32_e32 v21, 7, v18
	v_or_b32_e32 v17, v17, v18
	v_or3_b32 v16, v20, v16, v21
	s_delay_alu instid0(VALU_DEP_2) | instskip(NEXT) | instid1(VALU_DEP_2)
	v_cmp_ne_u32_e32 vcc_lo, 0, v17
	v_cndmask_b32_e32 v17, 0, v16, vcc_lo
.LBB6_4706:                             ;   in Loop: Header=BB6_4669 Depth=2
	s_or_b32 exec_lo, exec_lo, s25
.LBB6_4707:                             ;   in Loop: Header=BB6_4669 Depth=2
	s_delay_alu instid0(SALU_CYCLE_1)
	s_or_b32 exec_lo, exec_lo, s24
	v_add_co_u32 v10, vcc_lo, v10, v101
	v_sub_nc_u32_e32 v19, v19, v101
	v_add_co_ci_u32_e32 v11, vcc_lo, v11, v112, vcc_lo
	v_add_co_u32 v12, vcc_lo, v12, v101
	v_add_co_ci_u32_e32 v13, vcc_lo, v13, v112, vcc_lo
	flat_store_b8 v[14:15], v17 glc slc dlc
	v_cmp_gt_i32_e32 vcc_lo, 1, v19
	v_add_co_u32 v14, s11, v14, v101
	s_delay_alu instid0(VALU_DEP_1) | instskip(SKIP_1) | instid1(SALU_CYCLE_1)
	v_add_co_ci_u32_e64 v15, s11, v15, v112, s11
	s_or_b32 s23, vcc_lo, s23
	s_and_not1_b32 exec_lo, exec_lo, s23
	s_cbranch_execnz .LBB6_4669
	s_branch .LBB6_4720
.LBB6_4708:                             ;   in Loop: Header=BB6_4669 Depth=2
	s_mov_b32 s11, -1
	s_mov_b32 s26, exec_lo
                                        ; implicit-def: $sgpr24
	v_cmpx_eq_u16_e32 0x80, v16
; %bb.4709:                             ;   in Loop: Header=BB6_4669 Depth=2
	s_mov_b32 s24, 0x7f800001
	s_xor_b32 s11, exec_lo, -1
; %bb.4710:                             ;   in Loop: Header=BB6_4669 Depth=2
	s_or_b32 exec_lo, exec_lo, s26
	s_delay_alu instid0(SALU_CYCLE_1)
	s_and_b32 s11, s11, exec_lo
	s_or_saveexec_b32 s25, s25
	v_mov_b32_e32 v18, s24
	s_xor_b32 exec_lo, exec_lo, s25
	s_cbranch_execz .LBB6_4681
.LBB6_4711:                             ;   in Loop: Header=BB6_4669 Depth=2
	v_cmp_ne_u16_e32 vcc_lo, 0, v16
	v_mov_b32_e32 v18, 0
	s_and_not1_b32 s11, s11, exec_lo
	s_and_b32 s24, vcc_lo, exec_lo
	s_delay_alu instid0(SALU_CYCLE_1)
	s_or_b32 s11, s11, s24
	s_or_b32 exec_lo, exec_lo, s25
	s_and_saveexec_b32 s24, s11
	s_cbranch_execnz .LBB6_4682
	s_branch .LBB6_4683
.LBB6_4712:                             ;   in Loop: Header=BB6_4669 Depth=2
	s_mov_b32 s11, -1
	s_mov_b32 s26, exec_lo
                                        ; implicit-def: $sgpr24
	v_cmpx_eq_u16_e32 0x80, v20
; %bb.4713:                             ;   in Loop: Header=BB6_4669 Depth=2
	s_mov_b32 s24, 0x7f800001
	s_xor_b32 s11, exec_lo, -1
; %bb.4714:                             ;   in Loop: Header=BB6_4669 Depth=2
	s_or_b32 exec_lo, exec_lo, s26
	s_delay_alu instid0(SALU_CYCLE_1)
	s_and_b32 s11, s11, exec_lo
                                        ; implicit-def: $vgpr20
	s_or_saveexec_b32 s25, s25
	v_mov_b32_e32 v17, s24
	s_xor_b32 exec_lo, exec_lo, s25
	s_cbranch_execz .LBB6_4693
.LBB6_4715:                             ;   in Loop: Header=BB6_4669 Depth=2
	v_cmp_ne_u16_e32 vcc_lo, 0, v20
	v_mov_b32_e32 v17, 0
	s_and_not1_b32 s11, s11, exec_lo
	s_and_b32 s24, vcc_lo, exec_lo
	s_delay_alu instid0(SALU_CYCLE_1)
	s_or_b32 s11, s11, s24
	s_or_b32 exec_lo, exec_lo, s25
	s_and_saveexec_b32 s24, s11
	s_cbranch_execnz .LBB6_4694
	s_branch .LBB6_4695
.LBB6_4716:                             ;   in Loop: Header=BB6_4669 Depth=2
	s_mov_b32 s11, -1
	s_mov_b32 s26, exec_lo
                                        ; implicit-def: $sgpr24
	v_cmpx_eq_u16_e32 0x80, v20
; %bb.4717:                             ;   in Loop: Header=BB6_4669 Depth=2
	s_mov_b32 s24, 0x7f800001
	s_xor_b32 s11, exec_lo, -1
; %bb.4718:                             ;   in Loop: Header=BB6_4669 Depth=2
	s_or_b32 exec_lo, exec_lo, s26
	s_delay_alu instid0(SALU_CYCLE_1)
	s_and_b32 s11, s11, exec_lo
                                        ; implicit-def: $vgpr20
	s_or_saveexec_b32 s25, s25
	v_mov_b32_e32 v18, s24
	s_xor_b32 exec_lo, exec_lo, s25
	s_cbranch_execz .LBB6_4697
.LBB6_4719:                             ;   in Loop: Header=BB6_4669 Depth=2
	v_cmp_ne_u16_e32 vcc_lo, 0, v20
	v_mov_b32_e32 v18, 0
	s_and_not1_b32 s11, s11, exec_lo
	s_and_b32 s24, vcc_lo, exec_lo
	s_delay_alu instid0(SALU_CYCLE_1)
	s_or_b32 s11, s11, s24
	s_or_b32 exec_lo, exec_lo, s25
	s_and_saveexec_b32 s24, s11
	s_cbranch_execnz .LBB6_4698
	s_branch .LBB6_4699
.LBB6_4720:                             ;   in Loop: Header=BB6_53 Depth=1
	s_or_b32 exec_lo, exec_lo, s12
	v_cmp_ne_u32_e64 s11, 0, v52
.LBB6_4721:                             ;   in Loop: Header=BB6_53 Depth=1
	s_and_saveexec_b32 s12, s3
	s_cbranch_execz .LBB6_4743
; %bb.4722:                             ;   in Loop: Header=BB6_53 Depth=1
	s_and_saveexec_b32 s23, s4
	s_delay_alu instid0(SALU_CYCLE_1)
	s_xor_b32 s23, exec_lo, s23
	s_cbranch_execz .LBB6_4740
; %bb.4723:                             ;   in Loop: Header=BB6_53 Depth=1
	s_and_saveexec_b32 s24, s5
	s_cbranch_execz .LBB6_4739
; %bb.4724:                             ;   in Loop: Header=BB6_53 Depth=1
	s_mov_b32 s26, exec_lo
	s_mov_b32 s25, exec_lo
	v_mbcnt_lo_u32_b32 v10, s26, 0
	s_waitcnt lgkmcnt(0)
	s_waitcnt_vscnt null, 0x0
	buffer_gl1_inv
	buffer_gl0_inv
	v_cmpx_eq_u32_e32 0, v10
	s_cbranch_execz .LBB6_4726
; %bb.4725:                             ;   in Loop: Header=BB6_53 Depth=1
	s_bcnt1_i32_b32 s26, s26
	s_delay_alu instid0(SALU_CYCLE_1)
	v_mov_b32_e32 v52, s26
	ds_add_u64 v0, v[52:53]
	s_cbranch_execz .LBB6_4726
; %bb.13025:
	s_getpc_b64 s[34:35]
.Lpost_getpc162:
	s_add_u32 s34, s34, (.LBB6_12881-.Lpost_getpc162)&4294967295
	s_addc_u32 s35, s35, (.LBB6_12881-.Lpost_getpc162)>>32
	s_setpc_b64 s[34:35]
.LBB6_4726:                             ;   in Loop: Header=BB6_53 Depth=1
	s_or_b32 exec_lo, exec_lo, s25
	s_cbranch_execz .LBB6_4727
; %bb.13027:
	s_getpc_b64 s[34:35]
.Lpost_getpc163:
	s_add_u32 s34, s34, (.LBB6_12865-.Lpost_getpc163)&4294967295
	s_addc_u32 s35, s35, (.LBB6_12865-.Lpost_getpc163)>>32
	s_setpc_b64 s[34:35]
.LBB6_4727:                             ;   in Loop: Header=BB6_53 Depth=1
	ds_load_b64 v[10:11], v0
	v_add_co_u32 v38, vcc_lo, v38, v83
	v_add_co_ci_u32_e32 v39, vcc_lo, 0, v39, vcc_lo
	s_mov_b32 s25, exec_lo
	s_waitcnt lgkmcnt(0)
	s_delay_alu instid0(VALU_DEP_1)
	v_cmpx_lt_u64_e64 v[10:11], v[38:39]
	s_cbranch_execz .LBB6_4738
; %bb.4728:                             ;   in Loop: Header=BB6_53 Depth=1
	s_mov_b32 s26, 0
	s_mov_b32 s29, 0
                                        ; implicit-def: $sgpr27
                                        ; implicit-def: $sgpr28
	s_branch .LBB6_4730
.LBB6_4729:                             ;   in Loop: Header=BB6_4730 Depth=2
	s_or_b32 exec_lo, exec_lo, s30
	s_delay_alu instid0(SALU_CYCLE_1) | instskip(NEXT) | instid1(SALU_CYCLE_1)
	s_and_b32 vcc_lo, exec_lo, vcc_lo
	s_or_b32 s26, vcc_lo, s26
	s_and_not1_b32 s27, s27, exec_lo
	s_and_b32 vcc_lo, s28, exec_lo
	s_delay_alu instid0(SALU_CYCLE_1)
	s_or_b32 s27, s27, vcc_lo
	s_and_not1_b32 exec_lo, exec_lo, s26
	s_cbranch_execz .LBB6_4736
.LBB6_4730:                             ;   Parent Loop BB6_53 Depth=1
                                        ; =>  This Inner Loop Header: Depth=2
	s_add_i32 s29, s29, 1
                                        ; implicit-def: $sgpr30
	s_delay_alu instid0(SALU_CYCLE_1) | instskip(SKIP_1) | instid1(SALU_CYCLE_1)
	s_cmpk_lg_i32 s29, 0x2710
	s_cselect_b32 vcc_hi, -1, 0
	s_and_b32 vcc_lo, exec_lo, vcc_hi
	s_cbranch_vccz .LBB6_4734
.LBB6_4731:                             ;   in Loop: Header=BB6_4730 Depth=2
	s_and_not1_b32 s28, s28, exec_lo
	s_and_b32 s30, s30, exec_lo
	s_mov_b32 vcc_lo, -1
	s_or_b32 s28, s28, s30
	s_and_saveexec_b32 s30, vcc_hi
	s_cbranch_execz .LBB6_4729
; %bb.4732:                             ;   in Loop: Header=BB6_4730 Depth=2
	s_sleep 1
	s_cbranch_execz .LBB6_4733
; %bb.13029:
	s_getpc_b64 s[34:35]
.Lpost_getpc164:
	s_add_u32 s34, s34, (.LBB6_12905-.Lpost_getpc164)&4294967295
	s_addc_u32 s35, s35, (.LBB6_12905-.Lpost_getpc164)>>32
	s_setpc_b64 s[34:35]
.LBB6_4733:                             ;   in Loop: Header=BB6_4730 Depth=2
	ds_load_b64 v[10:11], v0
	s_and_not1_b32 s28, s28, exec_lo
	s_waitcnt lgkmcnt(0)
	v_cmp_ge_u64_e32 vcc_lo, v[10:11], v[38:39]
	s_or_not1_b32 vcc_lo, vcc_lo, exec_lo
	s_branch .LBB6_4729
.LBB6_4734:                             ;   in Loop: Header=BB6_4730 Depth=2
	s_cbranch_execz .LBB6_4735
; %bb.13031:
	s_getpc_b64 s[34:35]
.Lpost_getpc165:
	s_add_u32 s34, s34, (.LBB6_12911-.Lpost_getpc165)&4294967295
	s_addc_u32 s35, s35, (.LBB6_12911-.Lpost_getpc165)>>32
	s_setpc_b64 s[34:35]
.LBB6_4735:                             ;   in Loop: Header=BB6_4730 Depth=2
	ds_load_b64 v[10:11], v0
	s_mov_b32 s29, 0
	s_mov_b32 s30, -1
	s_waitcnt lgkmcnt(0)
	flat_load_b32 v10, v[10:11] glc
	s_waitcnt vmcnt(0) lgkmcnt(0)
	buffer_gl1_inv
	buffer_gl0_inv
	v_cmp_eq_u32_e32 vcc_lo, 0, v10
	s_and_not1_b32 vcc_hi, vcc_hi, exec_lo
	s_and_b32 vcc_lo, vcc_lo, exec_lo
	s_delay_alu instid0(SALU_CYCLE_1)
	s_or_b32 vcc_hi, vcc_hi, vcc_lo
	s_branch .LBB6_4731
.LBB6_4736:                             ;   in Loop: Header=BB6_53 Depth=1
	s_or_b32 exec_lo, exec_lo, s26
	s_and_saveexec_b32 s26, s27
	s_delay_alu instid0(SALU_CYCLE_1)
	s_xor_b32 s26, exec_lo, s26
	s_cbranch_execz .LBB6_4738
; %bb.4737:                             ;   in Loop: Header=BB6_53 Depth=1
	ds_store_b32 v0, v113
	s_cbranch_execz .LBB6_4738
; %bb.13033:
	s_getpc_b64 s[34:35]
.Lpost_getpc166:
	s_add_u32 s34, s34, (.LBB6_12935-.Lpost_getpc166)&4294967295
	s_addc_u32 s35, s35, (.LBB6_12935-.Lpost_getpc166)>>32
	s_setpc_b64 s[34:35]
.LBB6_4738:                             ;   in Loop: Header=BB6_53 Depth=1
	s_or_b32 exec_lo, exec_lo, s25
	;;#ASMSTART
	s_wakeup
	;;#ASMEND
.LBB6_4739:                             ;   in Loop: Header=BB6_53 Depth=1
	s_or_b32 exec_lo, exec_lo, s24
.LBB6_4740:                             ;   in Loop: Header=BB6_53 Depth=1
	s_and_not1_saveexec_b32 s23, s23
	s_cbranch_execz .LBB6_4742
; %bb.4741:                             ;   in Loop: Header=BB6_53 Depth=1
	s_waitcnt lgkmcnt(0)
	s_waitcnt_vscnt null, 0x0
	buffer_gl1_inv
	buffer_gl0_inv
	s_barrier
.LBB6_4742:                             ;   in Loop: Header=BB6_53 Depth=1
	s_or_b32 exec_lo, exec_lo, s23
.LBB6_4743:                             ;   in Loop: Header=BB6_53 Depth=1
	s_delay_alu instid0(SALU_CYCLE_1) | instskip(SKIP_1) | instid1(VALU_DEP_1)
	s_or_b32 exec_lo, exec_lo, s12
	v_and_b32_e32 v10, 16, v30
	v_cmp_ne_u32_e32 vcc_lo, 0, v10
	s_and_b32 s12, vcc_lo, s11
	s_delay_alu instid0(SALU_CYCLE_1)
	s_and_saveexec_b32 s11, s12
	s_cbranch_execz .LBB6_4745
; %bb.4744:                             ;   in Loop: Header=BB6_53 Depth=1
	s_waitcnt lgkmcnt(0)
	s_waitcnt_vscnt null, 0x0
	buffer_gl1_inv
	buffer_gl0_inv
.LBB6_4745:                             ;   in Loop: Header=BB6_53 Depth=1
	s_or_b32 exec_lo, exec_lo, s11
	v_cmp_ne_u32_e32 vcc_lo, 0, v10
	s_xor_b32 s11, s10, -1
	s_delay_alu instid0(SALU_CYCLE_1) | instskip(NEXT) | instid1(SALU_CYCLE_1)
	s_and_b32 s12, vcc_lo, s11
	s_and_saveexec_b32 s11, s12
	s_cbranch_execz .LBB6_4747
; %bb.4746:                             ;   in Loop: Header=BB6_53 Depth=1
	s_waitcnt lgkmcnt(0)
	s_waitcnt_vscnt null, 0x0
	flat_store_b32 v[50:51], v113
.LBB6_4747:                             ;   in Loop: Header=BB6_53 Depth=1
	s_or_b32 exec_lo, exec_lo, s11
	v_and_b32_e32 v10, 48, v30
	s_mov_b32 s11, exec_lo
	s_delay_alu instid0(VALU_DEP_1)
	v_cmpx_ne_u32_e32 0, v10
	s_cbranch_execz .LBB6_4749
; %bb.4748:                             ;   in Loop: Header=BB6_53 Depth=1
	v_add_co_u32 v8, vcc_lo, v8, 1
	v_add_co_ci_u32_e32 v9, vcc_lo, 0, v9, vcc_lo
	s_waitcnt lgkmcnt(0)
	s_waitcnt_vscnt null, 0x0
	flat_store_b64 v[32:33], v[8:9]
.LBB6_4749:                             ;   in Loop: Header=BB6_53 Depth=1
	s_or_b32 exec_lo, exec_lo, s11
	v_mov_b32_e32 v12, v65
.LBB6_4750:                             ;   in Loop: Header=BB6_53 Depth=1
	s_or_b32 exec_lo, exec_lo, s22
	s_and_saveexec_b32 s12, s21
	s_cbranch_execz .LBB6_4810
; %bb.4751:                             ;   in Loop: Header=BB6_53 Depth=1
	v_and_b32_e32 v10, 12, v30
	s_mov_b32 s21, -1
	s_mov_b32 s11, exec_lo
	s_delay_alu instid0(VALU_DEP_1)
	v_cmpx_ne_u32_e32 0, v10
	s_cbranch_execz .LBB6_4765
; %bb.4752:                             ;   in Loop: Header=BB6_53 Depth=1
	v_and_b32_e32 v13, 8, v30
	s_delay_alu instid0(VALU_DEP_1) | instskip(SKIP_4) | instid1(VALU_DEP_1)
	v_add_co_u32 v14, vcc_lo, v36, v13
	v_add_co_ci_u32_e32 v15, vcc_lo, 0, v37, vcc_lo
	s_waitcnt lgkmcnt(0)
	v_add_co_u32 v10, vcc_lo, v8, 1
	v_add_co_ci_u32_e32 v11, vcc_lo, 0, v9, vcc_lo
	v_cmp_lt_u64_e32 vcc_lo, v[14:15], v[10:11]
	v_mov_b32_e32 v14, 1
	s_and_saveexec_b32 s21, vcc_lo
	s_cbranch_execz .LBB6_4764
; %bb.4753:                             ;   in Loop: Header=BB6_53 Depth=1
	v_mov_b32_e32 v14, 0
	s_mov_b32 s22, 0
                                        ; implicit-def: $sgpr23
	s_branch .LBB6_4757
.LBB6_4754:                             ;   in Loop: Header=BB6_4757 Depth=2
	s_or_b32 exec_lo, exec_lo, s27
	v_mov_b32_e32 v15, 0
	s_or_not1_b32 s26, s26, exec_lo
.LBB6_4755:                             ;   in Loop: Header=BB6_4757 Depth=2
	s_or_b32 exec_lo, exec_lo, s25
	s_delay_alu instid0(VALU_DEP_1) | instskip(SKIP_2) | instid1(SALU_CYCLE_1)
	v_mov_b32_e32 v14, v15
	s_and_not1_b32 s23, s23, exec_lo
	s_and_b32 s25, s26, exec_lo
	s_or_b32 s23, s23, s25
.LBB6_4756:                             ;   in Loop: Header=BB6_4757 Depth=2
	s_or_b32 exec_lo, exec_lo, s24
	s_waitcnt vmcnt(0) lgkmcnt(0)
	v_add_co_u32 v15, vcc_lo, v36, v13
	v_add_co_ci_u32_e32 v16, vcc_lo, 0, v37, vcc_lo
	s_xor_b32 s24, s23, -1
	s_delay_alu instid0(VALU_DEP_1) | instskip(SKIP_1) | instid1(SALU_CYCLE_1)
	v_cmp_ge_u64_e32 vcc_lo, v[15:16], v[10:11]
	s_or_b32 s24, s24, vcc_lo
	s_and_b32 s24, exec_lo, s24
	s_delay_alu instid0(SALU_CYCLE_1) | instskip(NEXT) | instid1(SALU_CYCLE_1)
	s_or_b32 s22, s24, s22
	s_and_not1_b32 exec_lo, exec_lo, s22
	s_cbranch_execz .LBB6_4763
.LBB6_4757:                             ;   Parent Loop BB6_53 Depth=1
                                        ; =>  This Inner Loop Header: Depth=2
	s_sleep 1
	flat_load_b64 v[36:37], v[32:33] glc
	v_and_b32_e32 v15, 64, v30
	s_and_not1_b32 s23, s23, exec_lo
	s_mov_b32 s24, exec_lo
	s_delay_alu instid0(VALU_DEP_1)
	v_cmpx_eq_u32_e32 0, v15
	s_cbranch_execz .LBB6_4756
; %bb.4758:                             ;   in Loop: Header=BB6_4757 Depth=2
	v_add_nc_u32_e32 v15, 1, v14
	s_mov_b32 s26, -1
	s_mov_b32 s25, exec_lo
	v_cmpx_lt_i32_e32 0x270e, v14
	s_cbranch_execz .LBB6_4755
; %bb.4759:                             ;   in Loop: Header=BB6_4757 Depth=2
	s_cbranch_execz .LBB6_4760
; %bb.13035:
	s_getpc_b64 s[34:35]
.Lpost_getpc167:
	s_add_u32 s34, s34, (.LBB6_12747-.Lpost_getpc167)&4294967295
	s_addc_u32 s35, s35, (.LBB6_12747-.Lpost_getpc167)>>32
	s_setpc_b64 s[34:35]
.LBB6_4760:                             ;   in Loop: Header=BB6_4757 Depth=2
	ds_load_b64 v[14:15], v0
	s_mov_b32 s27, exec_lo
	s_waitcnt vmcnt(0) lgkmcnt(0)
	s_waitcnt_vscnt null, 0x0
	flat_load_b32 v14, v[14:15] glc
	s_waitcnt vmcnt(0) lgkmcnt(0)
	buffer_gl1_inv
	buffer_gl0_inv
	v_cmpx_ne_u32_e32 0, v14
	s_cbranch_execz .LBB6_4754
; %bb.4761:                             ;   in Loop: Header=BB6_4757 Depth=2
	ds_store_b32 v0, v14
	s_cbranch_execz .LBB6_4762
; %bb.13037:
	s_getpc_b64 s[34:35]
.Lpost_getpc168:
	s_add_u32 s34, s34, (.LBB6_12771-.Lpost_getpc168)&4294967295
	s_addc_u32 s35, s35, (.LBB6_12771-.Lpost_getpc168)>>32
	s_setpc_b64 s[34:35]
.LBB6_4762:                             ;   in Loop: Header=BB6_4757 Depth=2
	v_or_b32_e32 v30, 64, v30
	s_xor_b32 s26, exec_lo, -1
	s_branch .LBB6_4754
.LBB6_4763:                             ;   in Loop: Header=BB6_53 Depth=1
	s_or_b32 exec_lo, exec_lo, s22
	v_and_b32_e32 v14, 12, v30
.LBB6_4764:                             ;   in Loop: Header=BB6_53 Depth=1
	s_or_b32 exec_lo, exec_lo, s21
	s_delay_alu instid0(VALU_DEP_1)
	v_cmp_eq_u32_e32 vcc_lo, 0, v14
	;;#ASMSTART
	s_wakeup
	;;#ASMEND
	s_or_not1_b32 s21, vcc_lo, exec_lo
.LBB6_4765:                             ;   in Loop: Header=BB6_53 Depth=1
	s_or_b32 exec_lo, exec_lo, s11
	v_sub_nc_u32_e32 v10, v64, v12
	s_xor_b32 s11, s21, -1
	s_delay_alu instid0(VALU_DEP_1)
	v_min_i32_e32 v10, v65, v10
	s_and_saveexec_b32 s21, s11
	s_cbranch_execz .LBB6_4780
; %bb.4766:                             ;   in Loop: Header=BB6_53 Depth=1
	v_and_b32_e32 v11, 0x108, v30
	s_mov_b32 s11, exec_lo
	s_delay_alu instid0(VALU_DEP_1)
	v_cmpx_ne_u32_e32 0x108, v11
	s_xor_b32 s11, exec_lo, s11
                                        ; implicit-def: $vgpr12_vgpr13
	s_cbranch_execz .LBB6_4768
; %bb.4767:                             ;   in Loop: Header=BB6_53 Depth=1
	s_waitcnt lgkmcnt(0)
	v_and_b32_e32 v12, 7, v8
.LBB6_4768:                             ;   in Loop: Header=BB6_53 Depth=1
	s_and_not1_saveexec_b32 s11, s11
	s_cbranch_execz .LBB6_4770
; %bb.4769:                             ;   in Loop: Header=BB6_53 Depth=1
	s_waitcnt lgkmcnt(0)
	v_and_b32_e32 v12, 7, v8
	v_ashrrev_i32_e32 v11, 31, v10
	s_delay_alu instid0(VALU_DEP_2)
	v_mad_u64_u32 v[13:14], null, v12, 24, v[6:7]
	flat_store_b64 v[13:14], v[10:11] offset:8
.LBB6_4770:                             ;   in Loop: Header=BB6_53 Depth=1
	s_or_b32 exec_lo, exec_lo, s11
	v_and_b32_e32 v11, 0x100, v30
	s_mov_b32 s11, -1
	s_mov_b32 s22, exec_lo
                                        ; implicit-def: $vgpr13_vgpr14
	s_delay_alu instid0(VALU_DEP_1)
	v_cmpx_ne_u32_e32 0, v11
	s_cbranch_execnz .LBB6_4773
; %bb.4771:                             ;   in Loop: Header=BB6_53 Depth=1
	s_or_b32 exec_lo, exec_lo, s22
	s_and_saveexec_b32 s22, s11
	s_cbranch_execnz .LBB6_4776
.LBB6_4772:                             ;   in Loop: Header=BB6_53 Depth=1
	s_or_b32 exec_lo, exec_lo, s22
	s_cbranch_execz .LBB6_4777
; %bb.13039:
	s_getpc_b64 s[34:35]
.Lpost_getpc169:
	s_add_u32 s34, s34, (.LBB6_12739-.Lpost_getpc169)&4294967295
	s_addc_u32 s35, s35, (.LBB6_12739-.Lpost_getpc169)>>32
	s_setpc_b64 s[34:35]
.LBB6_4773:                             ;   in Loop: Header=BB6_53 Depth=1
	v_mad_u64_u32 v[15:16], null, v12, 24, v[6:7]
	s_mov_b32 s23, exec_lo
	s_delay_alu instid0(VALU_DEP_1) | instskip(NEXT) | instid1(VALU_DEP_1)
	v_mov_b32_e32 v11, v16
	v_mad_u64_u32 v[13:14], null, v53, 24, v[11:12]
	s_delay_alu instid0(VALU_DEP_1)
	v_mov_b32_e32 v16, v13
                                        ; implicit-def: $vgpr13_vgpr14
	flat_load_b32 v11, v[15:16]
	s_waitcnt vmcnt(0) lgkmcnt(0)
	v_cmp_ne_u32_e32 vcc_lo, 1, v11
	v_cmpx_eq_u32_e32 1, v11
	s_cbranch_execz .LBB6_4775
; %bb.4774:                             ;   in Loop: Header=BB6_53 Depth=1
	flat_load_b32 v13, v[15:16] offset:4 glc
	s_waitcnt vmcnt(0) lgkmcnt(0)
	v_ashrrev_i32_e32 v14, 31, v13
.LBB6_4775:                             ;   in Loop: Header=BB6_53 Depth=1
	s_or_b32 exec_lo, exec_lo, s23
	s_delay_alu instid0(SALU_CYCLE_1)
	s_or_not1_b32 s11, vcc_lo, exec_lo
	s_or_b32 exec_lo, exec_lo, s22
	s_and_saveexec_b32 s22, s11
	s_cbranch_execz .LBB6_4772
.LBB6_4776:                             ;   in Loop: Header=BB6_53 Depth=1
	v_mul_lo_u32 v11, v53, v81
	v_mul_lo_u32 v15, v12, v82
	v_mad_u64_u32 v[13:14], null, v12, v81, 0
	s_delay_alu instid0(VALU_DEP_1)
	v_add3_u32 v14, v14, v15, v11
	s_or_b32 exec_lo, exec_lo, s22
	s_cbranch_execz .LBB6_4777
; %bb.13041:
	s_getpc_b64 s[34:35]
.Lpost_getpc170:
	s_add_u32 s34, s34, (.LBB6_12739-.Lpost_getpc170)&4294967295
	s_addc_u32 s35, s35, (.LBB6_12739-.Lpost_getpc170)>>32
	s_setpc_b64 s[34:35]
.LBB6_4777:                             ;   in Loop: Header=BB6_53 Depth=1
	s_waitcnt lgkmcnt(0)
	s_delay_alu instid0(VALU_DEP_2)
	v_add_co_u32 v11, vcc_lo, v34, v13
	v_and_b32_e32 v15, 0x2000, v30
	v_add_co_ci_u32_e32 v12, vcc_lo, v35, v14, vcc_lo
	s_mov_b32 s11, exec_lo
	ds_store_b64 v0, v[11:12]
	v_cmpx_ne_u32_e32 0, v15
	s_cbranch_execz .LBB6_4779
; %bb.4778:                             ;   in Loop: Header=BB6_53 Depth=1
	ds_load_b64 v[11:12], v0 offset:584
	s_waitcnt lgkmcnt(0)
	v_add_co_u32 v11, vcc_lo, v11, 1
	v_add_co_ci_u32_e32 v12, vcc_lo, 0, v12, vcc_lo
	ds_store_b64 v0, v[11:12] offset:584
.LBB6_4779:                             ;   in Loop: Header=BB6_53 Depth=1
	s_or_b32 exec_lo, exec_lo, s11
	v_add_co_u32 v8, vcc_lo, v8, 1
	v_add_co_ci_u32_e32 v9, vcc_lo, 0, v9, vcc_lo
.LBB6_4780:                             ;   in Loop: Header=BB6_53 Depth=1
	s_or_b32 exec_lo, exec_lo, s21
	s_and_saveexec_b32 s11, s3
	s_cbranch_execz .LBB6_4802
; %bb.4781:                             ;   in Loop: Header=BB6_53 Depth=1
	s_and_saveexec_b32 s21, s4
	s_delay_alu instid0(SALU_CYCLE_1)
	s_xor_b32 s21, exec_lo, s21
	s_cbranch_execz .LBB6_4799
; %bb.4782:                             ;   in Loop: Header=BB6_53 Depth=1
	s_and_saveexec_b32 s22, s5
	s_cbranch_execz .LBB6_4798
; %bb.4783:                             ;   in Loop: Header=BB6_53 Depth=1
	s_mov_b32 s24, exec_lo
	s_mov_b32 s23, exec_lo
	v_mbcnt_lo_u32_b32 v11, s24, 0
	s_waitcnt lgkmcnt(0)
	s_waitcnt_vscnt null, 0x0
	buffer_gl1_inv
	buffer_gl0_inv
	v_cmpx_eq_u32_e32 0, v11
	s_cbranch_execz .LBB6_4785
; %bb.4784:                             ;   in Loop: Header=BB6_53 Depth=1
	s_bcnt1_i32_b32 s24, s24
	s_delay_alu instid0(SALU_CYCLE_1)
	v_mov_b32_e32 v52, s24
	ds_add_u64 v0, v[52:53]
	s_cbranch_execz .LBB6_4785
; %bb.13043:
	s_getpc_b64 s[34:35]
.Lpost_getpc171:
	s_add_u32 s34, s34, (.LBB6_12801-.Lpost_getpc171)&4294967295
	s_addc_u32 s35, s35, (.LBB6_12801-.Lpost_getpc171)>>32
	s_setpc_b64 s[34:35]
.LBB6_4785:                             ;   in Loop: Header=BB6_53 Depth=1
	s_or_b32 exec_lo, exec_lo, s23
	s_cbranch_execz .LBB6_4786
; %bb.13045:
	s_getpc_b64 s[34:35]
.Lpost_getpc172:
	s_add_u32 s34, s34, (.LBB6_12785-.Lpost_getpc172)&4294967295
	s_addc_u32 s35, s35, (.LBB6_12785-.Lpost_getpc172)>>32
	s_setpc_b64 s[34:35]
.LBB6_4786:                             ;   in Loop: Header=BB6_53 Depth=1
	ds_load_b64 v[11:12], v0
	v_add_co_u32 v38, vcc_lo, v38, v83
	v_add_co_ci_u32_e32 v39, vcc_lo, 0, v39, vcc_lo
	s_mov_b32 s23, exec_lo
	s_waitcnt lgkmcnt(0)
	s_delay_alu instid0(VALU_DEP_1)
	v_cmpx_lt_u64_e64 v[11:12], v[38:39]
	s_cbranch_execz .LBB6_4797
; %bb.4787:                             ;   in Loop: Header=BB6_53 Depth=1
	s_mov_b32 s24, 0
	s_mov_b32 s27, 0
                                        ; implicit-def: $sgpr25
                                        ; implicit-def: $sgpr26
	s_branch .LBB6_4789
.LBB6_4788:                             ;   in Loop: Header=BB6_4789 Depth=2
	s_or_b32 exec_lo, exec_lo, vcc_hi
	s_delay_alu instid0(SALU_CYCLE_1) | instskip(NEXT) | instid1(SALU_CYCLE_1)
	s_and_b32 s28, exec_lo, s29
	s_or_b32 s24, s28, s24
	s_and_not1_b32 s25, s25, exec_lo
	s_and_b32 s28, s26, exec_lo
	s_delay_alu instid0(SALU_CYCLE_1)
	s_or_b32 s25, s25, s28
	s_and_not1_b32 exec_lo, exec_lo, s24
	s_cbranch_execz .LBB6_4795
.LBB6_4789:                             ;   Parent Loop BB6_53 Depth=1
                                        ; =>  This Inner Loop Header: Depth=2
	s_add_i32 s27, s27, 1
                                        ; implicit-def: $sgpr29
	s_delay_alu instid0(SALU_CYCLE_1) | instskip(SKIP_1) | instid1(SALU_CYCLE_1)
	s_cmpk_lg_i32 s27, 0x2710
	s_cselect_b32 s28, -1, 0
	s_and_b32 vcc_lo, exec_lo, s28
	s_cbranch_vccz .LBB6_4793
.LBB6_4790:                             ;   in Loop: Header=BB6_4789 Depth=2
	s_and_not1_b32 s26, s26, exec_lo
	s_and_b32 vcc_lo, s29, exec_lo
	s_mov_b32 s29, -1
	s_or_b32 s26, s26, vcc_lo
	s_and_saveexec_b32 vcc_hi, s28
	s_cbranch_execz .LBB6_4788
; %bb.4791:                             ;   in Loop: Header=BB6_4789 Depth=2
	s_sleep 1
	s_cbranch_execz .LBB6_4792
; %bb.13047:
	s_getpc_b64 s[34:35]
.Lpost_getpc173:
	s_add_u32 s34, s34, (.LBB6_12849-.Lpost_getpc173)&4294967295
	s_addc_u32 s35, s35, (.LBB6_12849-.Lpost_getpc173)>>32
	s_setpc_b64 s[34:35]
.LBB6_4792:                             ;   in Loop: Header=BB6_4789 Depth=2
	ds_load_b64 v[11:12], v0
	s_and_not1_b32 s26, s26, exec_lo
	s_waitcnt lgkmcnt(0)
	v_cmp_ge_u64_e32 vcc_lo, v[11:12], v[38:39]
	s_or_not1_b32 s29, vcc_lo, exec_lo
	s_branch .LBB6_4788
.LBB6_4793:                             ;   in Loop: Header=BB6_4789 Depth=2
	s_cbranch_execz .LBB6_4794
; %bb.13049:
	s_getpc_b64 s[34:35]
.Lpost_getpc174:
	s_add_u32 s34, s34, (.LBB6_12869-.Lpost_getpc174)&4294967295
	s_addc_u32 s35, s35, (.LBB6_12869-.Lpost_getpc174)>>32
	s_setpc_b64 s[34:35]
.LBB6_4794:                             ;   in Loop: Header=BB6_4789 Depth=2
	ds_load_b64 v[11:12], v0
	s_and_not1_b32 s28, s28, exec_lo
	s_mov_b32 s27, 0
	s_mov_b32 s29, -1
	s_waitcnt lgkmcnt(0)
	flat_load_b32 v11, v[11:12] glc
	s_waitcnt vmcnt(0) lgkmcnt(0)
	buffer_gl1_inv
	buffer_gl0_inv
	v_cmp_eq_u32_e32 vcc_lo, 0, v11
	s_and_b32 vcc_lo, vcc_lo, exec_lo
	s_delay_alu instid0(SALU_CYCLE_1)
	s_or_b32 s28, s28, vcc_lo
	s_branch .LBB6_4790
.LBB6_4795:                             ;   in Loop: Header=BB6_53 Depth=1
	s_or_b32 exec_lo, exec_lo, s24
	s_and_saveexec_b32 s24, s25
	s_delay_alu instid0(SALU_CYCLE_1)
	s_xor_b32 s24, exec_lo, s24
	s_cbranch_execz .LBB6_4797
; %bb.4796:                             ;   in Loop: Header=BB6_53 Depth=1
	ds_store_b32 v0, v113
	s_cbranch_execz .LBB6_4797
; %bb.13051:
	s_getpc_b64 s[34:35]
.Lpost_getpc175:
	s_add_u32 s34, s34, (.LBB6_12925-.Lpost_getpc175)&4294967295
	s_addc_u32 s35, s35, (.LBB6_12925-.Lpost_getpc175)>>32
	s_setpc_b64 s[34:35]
.LBB6_4797:                             ;   in Loop: Header=BB6_53 Depth=1
	s_or_b32 exec_lo, exec_lo, s23
	;;#ASMSTART
	s_wakeup
	;;#ASMEND
.LBB6_4798:                             ;   in Loop: Header=BB6_53 Depth=1
	s_or_b32 exec_lo, exec_lo, s22
.LBB6_4799:                             ;   in Loop: Header=BB6_53 Depth=1
	s_and_not1_saveexec_b32 s21, s21
	s_cbranch_execz .LBB6_4801
; %bb.4800:                             ;   in Loop: Header=BB6_53 Depth=1
	s_waitcnt lgkmcnt(0)
	s_waitcnt_vscnt null, 0x0
	buffer_gl1_inv
	buffer_gl0_inv
	s_barrier
.LBB6_4801:                             ;   in Loop: Header=BB6_53 Depth=1
	s_or_b32 exec_lo, exec_lo, s21
.LBB6_4802:                             ;   in Loop: Header=BB6_53 Depth=1
	s_delay_alu instid0(SALU_CYCLE_1)
	s_or_b32 exec_lo, exec_lo, s11
	s_cbranch_execz .LBB6_4803
; %bb.13053:
	s_getpc_b64 s[34:35]
.Lpost_getpc176:
	s_add_u32 s34, s34, (.LBB6_12728-.Lpost_getpc176)&4294967295
	s_addc_u32 s35, s35, (.LBB6_12728-.Lpost_getpc176)>>32
	s_setpc_b64 s[34:35]
.LBB6_4803:                             ;   in Loop: Header=BB6_53 Depth=1
	ds_load_b32 v11, v0
	v_cmp_lt_i32_e32 vcc_lo, 0, v10
	s_waitcnt lgkmcnt(0)
	v_readfirstlane_b32 s11, v11
	v_and_b32_e32 v11, 16, v30
	s_delay_alu instid0(VALU_DEP_2) | instskip(NEXT) | instid1(VALU_DEP_1)
	s_cmp_eq_u32 s11, 0
	v_cmp_ne_u32_e64 s11, 0, v11
	s_cselect_b32 s21, -1, 0
	s_delay_alu instid0(SALU_CYCLE_1)
	s_and_b32 s21, vcc_lo, s21
	s_delay_alu instid0(VALU_DEP_1) | instid1(SALU_CYCLE_1)
	s_and_b32 s21, s11, s21
	s_delay_alu instid0(SALU_CYCLE_1)
	s_and_saveexec_b32 s11, s21
	s_cbranch_execz .LBB6_4805
; %bb.4804:                             ;   in Loop: Header=BB6_53 Depth=1
	s_waitcnt_vscnt null, 0x0
	buffer_gl1_inv
	buffer_gl0_inv
.LBB6_4805:                             ;   in Loop: Header=BB6_53 Depth=1
	s_or_b32 exec_lo, exec_lo, s11
	v_cmp_ne_u32_e32 vcc_lo, 0, v11
	s_xor_b32 s11, s10, -1
	s_delay_alu instid0(SALU_CYCLE_1) | instskip(NEXT) | instid1(SALU_CYCLE_1)
	s_and_b32 s21, vcc_lo, s11
	s_and_saveexec_b32 s11, s21
	s_cbranch_execz .LBB6_4807
; %bb.4806:                             ;   in Loop: Header=BB6_53 Depth=1
	s_waitcnt_vscnt null, 0x0
	flat_store_b32 v[50:51], v113
.LBB6_4807:                             ;   in Loop: Header=BB6_53 Depth=1
	s_or_b32 exec_lo, exec_lo, s11
	v_and_b32_e32 v10, 48, v30
	s_mov_b32 s11, exec_lo
	s_delay_alu instid0(VALU_DEP_1)
	v_cmpx_ne_u32_e32 0, v10
	s_cbranch_execz .LBB6_4809
; %bb.4808:                             ;   in Loop: Header=BB6_53 Depth=1
	v_add_co_u32 v8, vcc_lo, v8, 1
	v_add_co_ci_u32_e32 v9, vcc_lo, 0, v9, vcc_lo
	s_waitcnt lgkmcnt(0)
	s_waitcnt_vscnt null, 0x0
	flat_store_b64 v[32:33], v[8:9]
.LBB6_4809:                             ;   in Loop: Header=BB6_53 Depth=1
	s_or_b32 exec_lo, exec_lo, s11
.LBB6_4810:                             ;   in Loop: Header=BB6_53 Depth=1
	s_delay_alu instid0(SALU_CYCLE_1) | instskip(SKIP_2) | instid1(VALU_DEP_1)
	s_or_b32 exec_lo, exec_lo, s12
	v_add_co_u32 v54, vcc_lo, v54, v48
	v_add_co_ci_u32_e32 v55, vcc_lo, 0, v55, vcc_lo
	v_cmp_ge_u64_e32 vcc_lo, v[54:55], v[4:5]
	s_or_b32 s18, vcc_lo, s18
	s_delay_alu instid0(SALU_CYCLE_1)
	s_and_not1_b32 exec_lo, exec_lo, s18
	s_cbranch_execz .LBB6_4811
; %bb.13055:                            ;   in Loop: Header=BB6_53 Depth=1
	s_getpc_b64 s[34:35]
.Lpost_getpc177:
	s_add_u32 s34, s34, (.LBB6_53-.Lpost_getpc177)&4294967295
	s_addc_u32 s35, s35, (.LBB6_53-.Lpost_getpc177)>>32
	s_setpc_b64 s[34:35]
.LBB6_4811:
	s_or_b32 exec_lo, exec_lo, s18
.LBB6_4812:
	s_delay_alu instid0(SALU_CYCLE_1)
	s_or_b32 exec_lo, exec_lo, s17
                                        ; implicit-def: $vgpr26_vgpr27
                                        ; implicit-def: $vgpr4_vgpr5
                                        ; implicit-def: $vgpr81
                                        ; implicit-def: $vgpr36_vgpr37
                                        ; implicit-def: $vgpr34_vgpr35
                                        ; implicit-def: $vgpr32_vgpr33
                                        ; implicit-def: $vgpr0
                                        ; implicit-def: $vgpr22
                                        ; implicit-def: $vgpr48_vgpr49
.LBB6_4813:
	s_and_not1_saveexec_b32 s11, s16
	s_cbranch_execnz .LBB6_4814
; %bb.13057:
	s_getpc_b64 s[34:35]
.Lpost_getpc178:
	s_add_u32 s34, s34, (.LBB6_9565-.Lpost_getpc178)&4294967295
	s_addc_u32 s35, s35, (.LBB6_9565-.Lpost_getpc178)>>32
	s_setpc_b64 s[34:35]
.LBB6_4814:
	v_mov_b32_e32 v38, 0
	v_mov_b32_e32 v39, 0
	s_and_saveexec_b32 s12, s1
	s_cbranch_execnz .LBB6_4815
; %bb.13059:
	s_getpc_b64 s[34:35]
.Lpost_getpc179:
	s_add_u32 s34, s34, (.LBB6_9564-.Lpost_getpc179)&4294967295
	s_addc_u32 s35, s35, (.LBB6_9564-.Lpost_getpc179)>>32
	s_setpc_b64 s[34:35]
.LBB6_4815:
	v_cmp_ge_i32_e64 s1, v0, v1
	s_cbranch_execz .LBB6_4816
; %bb.13061:
	s_getpc_b64 s[34:35]
.Lpost_getpc180:
	s_add_u32 s34, s34, (.LBB6_12684-.Lpost_getpc180)&4294967295
	s_addc_u32 s35, s35, (.LBB6_12684-.Lpost_getpc180)>>32
	s_setpc_b64 s[34:35]
.LBB6_4816:
	v_ashrrev_i32_e32 v10, 31, v0
	v_lshrrev_b32_e32 v70, 5, v1
	v_dual_mov_b32 v52, 0 :: v_dual_and_b32 v11, 31, v31
	s_ashr_i32 s4, s14, 31
	s_delay_alu instid0(VALU_DEP_3)
	v_lshrrev_b32_e32 v10, 27, v10
	s_lshr_b32 s4, s4, 24
	v_and_b32_e32 v98, 0xffffffe0, v1
	s_add_i32 s10, s14, s4
	v_cmp_eq_u32_e64 s4, 0, v11
	s_waitcnt lgkmcnt(2)
	v_dual_mov_b32 v51, 0 :: v_dual_add_nc_u32 v10, v0, v10
	v_lshl_add_u32 v11, v70, 10, 0xfffffc00
	v_cmp_eq_u32_e32 vcc_lo, 32, v1
	v_cmp_ne_u32_e64 s2, 32, v1
	s_delay_alu instid0(VALU_DEP_4) | instskip(SKIP_4) | instid1(VALU_DEP_4)
	v_dual_mov_b32 v53, 0 :: v_dual_and_b32 v12, 0xffffffe0, v10
	v_lshlrev_b32_e32 v82, 9, v70
	v_mov_b32_e32 v38, v52
	v_ashrrev_i32_e32 v71, 5, v10
	v_lshl_add_u32 v10, v70, 11, 0xfffff800
	v_dual_mov_b32 v39, v53 :: v_dual_add_nc_u32 v14, 0xfffffe00, v82
	v_sub_nc_u32_e32 v83, v0, v12
	s_delay_alu instid0(VALU_DEP_4) | instskip(NEXT) | instid1(VALU_DEP_4)
	v_lshlrev_b32_e32 v12, 11, v71
	v_ashrrev_i32_e32 v13, 31, v10
	v_add_co_u32 v85, s5, 0x800, v10
	v_ashrrev_i32_e32 v10, 31, v14
	v_add_co_u32 v96, s7, 0x200, v14
	v_lshl_add_u32 v84, v83, 4, v12
	v_add_co_ci_u32_e64 v86, s5, 0, v13, s5
	s_delay_alu instid0(VALU_DEP_4)
	v_add_co_ci_u32_e64 v97, s7, 0, v10, s7
	v_ashrrev_i32_e32 v10, 31, v11
	v_add_co_u32 v99, s7, 0x400, v11
	v_cmp_ne_u32_e64 s3, v80, v1
	v_cmp_le_i32_e64 s5, v83, v22
	v_cmp_gt_i32_e64 s6, 1, v83
	v_ashrrev_i32_e32 v87, 31, v84
	v_add_co_ci_u32_e64 v100, s7, 0, v10, s7
	v_ashrrev_i32_e32 v101, 31, v98
	v_mov_b32_e32 v102, 1
	s_ashr_i32 s17, s10, 8
	s_mov_b32 s16, 0
	s_xor_b32 s18, vcc_lo, -1
.LBB6_4817:                             ; =>This Loop Header: Depth=1
                                        ;     Child Loop BB6_4827 Depth 2
                                        ;     Child Loop BB6_4854 Depth 2
                                        ;     Child Loop BB6_4877 Depth 2
                                        ;     Child Loop BB6_4903 Depth 2
                                        ;     Child Loop BB6_7478 Depth 2
                                        ;     Child Loop BB6_8134 Depth 2
                                        ;     Child Loop BB6_9430 Depth 2
                                        ;     Child Loop BB6_9491 Depth 2
                                        ;     Child Loop BB6_9516 Depth 2
                                        ;     Child Loop BB6_9543 Depth 2
	v_sub_co_u32 v10, vcc_lo, v4, v52
	v_sub_co_ci_u32_e32 v11, vcc_lo, v5, v53, vcc_lo
	v_mov_b32_e32 v14, 0
	s_delay_alu instid0(VALU_DEP_2) | instskip(SKIP_2) | instid1(VALU_DEP_2)
	v_cmp_lt_u64_e32 vcc_lo, v[48:49], v[10:11]
	v_cndmask_b32_e32 v54, v10, v48, vcc_lo
	v_cndmask_b32_e64 v55, v11, 0, vcc_lo
	v_add_nc_u32_e32 v10, 15, v54
	s_delay_alu instid0(VALU_DEP_2) | instskip(NEXT) | instid1(VALU_DEP_2)
	v_cmp_eq_u64_e32 vcc_lo, 0, v[54:55]
	v_and_b32_e32 v10, 0x7ffffff0, v10
	s_or_b32 s19, s1, vcc_lo
	s_delay_alu instid0(SALU_CYCLE_1) | instskip(NEXT) | instid1(VALU_DEP_1)
	s_xor_b32 s7, s19, -1
	v_max_i32_e32 v55, s17, v10
	s_and_saveexec_b32 s20, s7
	s_cbranch_execnz .LBB6_4818
; %bb.13063:                            ;   in Loop: Header=BB6_4817 Depth=1
	s_getpc_b64 s[34:35]
.Lpost_getpc181:
	s_add_u32 s34, s34, (.LBB6_9509-.Lpost_getpc181)&4294967295
	s_addc_u32 s35, s35, (.LBB6_9509-.Lpost_getpc181)>>32
	s_setpc_b64 s[34:35]
.LBB6_4818:                             ;   in Loop: Header=BB6_4817 Depth=1
	s_and_saveexec_b32 s10, s0
	s_cbranch_execz .LBB6_4821
; %bb.4819:                             ;   in Loop: Header=BB6_4817 Depth=1
	s_cbranch_execz .LBB6_4820
; %bb.13065:
	s_getpc_b64 s[34:35]
.Lpost_getpc182:
	s_add_u32 s34, s34, (.LBB6_12716-.Lpost_getpc182)&4294967295
	s_addc_u32 s35, s35, (.LBB6_12716-.Lpost_getpc182)>>32
	s_setpc_b64 s[34:35]
.LBB6_4820:                             ;   in Loop: Header=BB6_4817 Depth=1
	ds_load_2addr_b64 v[10:13], v0 offset1:1
	ds_load_b64 v[14:15], v0
	v_add_co_u32 v16, vcc_lo, v52, v26
	v_add_co_ci_u32_e32 v17, vcc_lo, v53, v27, vcc_lo
	s_waitcnt lgkmcnt(1)
	s_delay_alu instid0(VALU_DEP_2) | instskip(NEXT) | instid1(VALU_DEP_2)
	v_add_co_u32 v10, vcc_lo, v10, v16
	v_add_co_ci_u32_e32 v11, vcc_lo, v11, v17, vcc_lo
	s_waitcnt lgkmcnt(0)
	v_add_co_u32 v18, vcc_lo, v14, v16
	v_add_co_ci_u32_e32 v19, vcc_lo, v15, v17, vcc_lo
	v_cmp_ne_u64_e32 vcc_lo, 0, v[14:15]
	v_add_co_u32 v12, s7, v12, v16
	s_delay_alu instid0(VALU_DEP_1) | instskip(NEXT) | instid1(VALU_DEP_4)
	v_add_co_ci_u32_e64 v13, s7, v13, v17, s7
	v_dual_cndmask_b32 v15, 0, v19 :: v_dual_cndmask_b32 v14, 0, v18
	ds_store_b64 v0, v[10:11]
	ds_store_b64 v0, v[12:13]
	;; [unrolled: 1-line block ×3, first 2 shown]
.LBB6_4821:                             ;   in Loop: Header=BB6_4817 Depth=1
	s_or_b32 exec_lo, exec_lo, s10
	v_and_b32_e32 v10, 4, v30
	s_mov_b32 s10, -1
	s_mov_b32 s7, exec_lo
	s_delay_alu instid0(VALU_DEP_1)
	v_cmpx_ne_u32_e32 0, v10
	s_cbranch_execz .LBB6_4835
; %bb.4822:                             ;   in Loop: Header=BB6_4817 Depth=1
	s_waitcnt lgkmcnt(0)
	v_add_co_u32 v10, vcc_lo, v8, 1
	v_add_co_ci_u32_e32 v11, vcc_lo, 0, v9, vcc_lo
	v_mov_b32_e32 v12, 1
	s_mov_b32 s10, exec_lo
	s_delay_alu instid0(VALU_DEP_2)
	v_cmpx_lt_u64_e64 v[36:37], v[10:11]
	s_cbranch_execz .LBB6_4834
; %bb.4823:                             ;   in Loop: Header=BB6_4817 Depth=1
	v_mov_b32_e32 v12, 0
	s_mov_b32 s21, 0
                                        ; implicit-def: $sgpr22
	s_branch .LBB6_4827
.LBB6_4824:                             ;   in Loop: Header=BB6_4827 Depth=2
	s_or_b32 exec_lo, exec_lo, s26
	v_mov_b32_e32 v13, 0
	s_or_not1_b32 s25, s25, exec_lo
.LBB6_4825:                             ;   in Loop: Header=BB6_4827 Depth=2
	s_or_b32 exec_lo, exec_lo, s24
	s_delay_alu instid0(VALU_DEP_1) | instskip(SKIP_2) | instid1(SALU_CYCLE_1)
	v_mov_b32_e32 v12, v13
	s_and_not1_b32 s22, s22, exec_lo
	s_and_b32 s24, s25, exec_lo
	s_or_b32 s22, s22, s24
.LBB6_4826:                             ;   in Loop: Header=BB6_4827 Depth=2
	s_or_b32 exec_lo, exec_lo, s23
	s_waitcnt vmcnt(0) lgkmcnt(0)
	v_cmp_ge_u64_e32 vcc_lo, v[36:37], v[10:11]
	s_xor_b32 s23, s22, -1
	s_delay_alu instid0(SALU_CYCLE_1) | instskip(NEXT) | instid1(SALU_CYCLE_1)
	s_or_b32 s23, s23, vcc_lo
	s_and_b32 s23, exec_lo, s23
	s_delay_alu instid0(SALU_CYCLE_1) | instskip(NEXT) | instid1(SALU_CYCLE_1)
	s_or_b32 s21, s23, s21
	s_and_not1_b32 exec_lo, exec_lo, s21
	s_cbranch_execz .LBB6_4833
.LBB6_4827:                             ;   Parent Loop BB6_4817 Depth=1
                                        ; =>  This Inner Loop Header: Depth=2
	s_sleep 1
	flat_load_b64 v[36:37], v[32:33] glc
	v_and_b32_e32 v13, 64, v30
	s_and_not1_b32 s22, s22, exec_lo
	s_mov_b32 s23, exec_lo
	s_delay_alu instid0(VALU_DEP_1)
	v_cmpx_eq_u32_e32 0, v13
	s_cbranch_execz .LBB6_4826
; %bb.4828:                             ;   in Loop: Header=BB6_4827 Depth=2
	v_add_nc_u32_e32 v13, 1, v12
	s_mov_b32 s25, -1
	s_mov_b32 s24, exec_lo
	v_cmpx_lt_i32_e32 0x270e, v12
	s_cbranch_execz .LBB6_4825
; %bb.4829:                             ;   in Loop: Header=BB6_4827 Depth=2
	s_cbranch_execz .LBB6_4830
; %bb.13067:
	s_getpc_b64 s[34:35]
.Lpost_getpc183:
	s_add_u32 s34, s34, (.LBB6_12741-.Lpost_getpc183)&4294967295
	s_addc_u32 s35, s35, (.LBB6_12741-.Lpost_getpc183)>>32
	s_setpc_b64 s[34:35]
.LBB6_4830:                             ;   in Loop: Header=BB6_4827 Depth=2
	ds_load_b64 v[12:13], v0
	s_mov_b32 s26, exec_lo
	s_waitcnt vmcnt(0) lgkmcnt(0)
	s_waitcnt_vscnt null, 0x0
	flat_load_b32 v12, v[12:13] glc
	s_waitcnt vmcnt(0) lgkmcnt(0)
	buffer_gl1_inv
	buffer_gl0_inv
	v_cmpx_ne_u32_e32 0, v12
	s_cbranch_execz .LBB6_4824
; %bb.4831:                             ;   in Loop: Header=BB6_4827 Depth=2
	ds_store_b32 v0, v12
	s_cbranch_execz .LBB6_4832
; %bb.13069:
	s_getpc_b64 s[34:35]
.Lpost_getpc184:
	s_add_u32 s34, s34, (.LBB6_12769-.Lpost_getpc184)&4294967295
	s_addc_u32 s35, s35, (.LBB6_12769-.Lpost_getpc184)>>32
	s_setpc_b64 s[34:35]
.LBB6_4832:                             ;   in Loop: Header=BB6_4827 Depth=2
	v_or_b32_e32 v30, 64, v30
	s_xor_b32 s25, exec_lo, -1
	s_branch .LBB6_4824
.LBB6_4833:                             ;   in Loop: Header=BB6_4817 Depth=1
	s_or_b32 exec_lo, exec_lo, s21
	v_and_b32_e32 v12, 4, v30
.LBB6_4834:                             ;   in Loop: Header=BB6_4817 Depth=1
	s_or_b32 exec_lo, exec_lo, s10
	s_delay_alu instid0(VALU_DEP_1)
	v_cmp_eq_u32_e32 vcc_lo, 0, v12
	;;#ASMSTART
	s_wakeup
	;;#ASMEND
	s_or_not1_b32 s10, vcc_lo, exec_lo
.LBB6_4835:                             ;   in Loop: Header=BB6_4817 Depth=1
	s_or_b32 exec_lo, exec_lo, s7
	s_xor_b32 s7, s10, -1
	s_delay_alu instid0(SALU_CYCLE_1)
	s_and_saveexec_b32 s10, s7
	s_cbranch_execz .LBB6_4845
; %bb.4836:                             ;   in Loop: Header=BB6_4817 Depth=1
	v_and_b32_e32 v10, 0x100, v30
	s_waitcnt lgkmcnt(0)
	v_and_b32_e32 v14, 7, v8
	s_mov_b32 s7, -1
	s_delay_alu instid0(VALU_DEP_2)
	v_cmp_ne_u32_e32 vcc_lo, 0, v10
                                        ; implicit-def: $vgpr10_vgpr11
	s_and_saveexec_b32 s21, vcc_lo
	s_cbranch_execz .LBB6_4840
; %bb.4837:                             ;   in Loop: Header=BB6_4817 Depth=1
	v_mad_u64_u32 v[12:13], null, v14, 24, v[6:7]
	flat_load_b32 v10, v[12:13]
	s_waitcnt vmcnt(0) lgkmcnt(0)
	v_cmp_ne_u32_e32 vcc_lo, 1, v10
	v_cmp_eq_u32_e64 s7, 1, v10
                                        ; implicit-def: $vgpr10_vgpr11
	s_delay_alu instid0(VALU_DEP_1)
	s_and_saveexec_b32 s22, s7
	s_cbranch_execz .LBB6_4839
; %bb.4838:                             ;   in Loop: Header=BB6_4817 Depth=1
	flat_load_b32 v10, v[12:13] offset:4 glc
	s_waitcnt vmcnt(0) lgkmcnt(0)
	v_ashrrev_i32_e32 v11, 31, v10
.LBB6_4839:                             ;   in Loop: Header=BB6_4817 Depth=1
	s_or_b32 exec_lo, exec_lo, s22
	s_delay_alu instid0(SALU_CYCLE_1)
	s_or_not1_b32 s7, vcc_lo, exec_lo
.LBB6_4840:                             ;   in Loop: Header=BB6_4817 Depth=1
	s_or_b32 exec_lo, exec_lo, s21
	s_and_saveexec_b32 s21, s7
; %bb.4841:                             ;   in Loop: Header=BB6_4817 Depth=1
	v_mad_i64_i32 v[10:11], null, v14, v81, 0
; %bb.4842:                             ;   in Loop: Header=BB6_4817 Depth=1
	s_or_b32 exec_lo, exec_lo, s21
	s_delay_alu instid0(VALU_DEP_1) | instskip(SKIP_1) | instid1(VALU_DEP_3)
	v_add_co_u32 v10, vcc_lo, v34, v10
	v_and_b32_e32 v12, 0x2000, v30
	v_add_co_ci_u32_e32 v11, vcc_lo, v35, v11, vcc_lo
	s_mov_b32 s7, exec_lo
	ds_store_b64 v0, v[10:11] offset:728
	v_cmpx_ne_u32_e32 0, v12
	s_cbranch_execz .LBB6_4844
; %bb.4843:                             ;   in Loop: Header=BB6_4817 Depth=1
	ds_load_b64 v[10:11], v0 offset:584
	s_waitcnt lgkmcnt(0)
	v_add_co_u32 v10, vcc_lo, v10, 1
	v_add_co_ci_u32_e32 v11, vcc_lo, 0, v11, vcc_lo
	ds_store_b64 v0, v[10:11] offset:584
.LBB6_4844:                             ;   in Loop: Header=BB6_4817 Depth=1
	s_or_b32 exec_lo, exec_lo, s7
	v_add_co_u32 v8, vcc_lo, v8, 1
	v_add_co_ci_u32_e32 v9, vcc_lo, 0, v9, vcc_lo
.LBB6_4845:                             ;   in Loop: Header=BB6_4817 Depth=1
	s_or_b32 exec_lo, exec_lo, s10
	s_and_saveexec_b32 s7, s2
	s_cbranch_execz .LBB6_4867
; %bb.4846:                             ;   in Loop: Header=BB6_4817 Depth=1
	s_and_saveexec_b32 s10, s3
	s_delay_alu instid0(SALU_CYCLE_1)
	s_xor_b32 s10, exec_lo, s10
	s_cbranch_execz .LBB6_4864
; %bb.4847:                             ;   in Loop: Header=BB6_4817 Depth=1
	s_and_saveexec_b32 s21, s4
	s_cbranch_execz .LBB6_4863
; %bb.4848:                             ;   in Loop: Header=BB6_4817 Depth=1
	s_mov_b32 s23, exec_lo
	s_mov_b32 s22, exec_lo
	v_mbcnt_lo_u32_b32 v10, s23, 0
	s_waitcnt lgkmcnt(0)
	s_waitcnt_vscnt null, 0x0
	buffer_gl1_inv
	buffer_gl0_inv
	v_cmpx_eq_u32_e32 0, v10
	s_cbranch_execz .LBB6_4850
; %bb.4849:                             ;   in Loop: Header=BB6_4817 Depth=1
	s_bcnt1_i32_b32 s23, s23
	s_delay_alu instid0(SALU_CYCLE_1)
	v_mov_b32_e32 v50, s23
	ds_add_u64 v0, v[50:51]
	s_cbranch_execz .LBB6_4850
; %bb.13071:
	s_getpc_b64 s[34:35]
.Lpost_getpc185:
	s_add_u32 s34, s34, (.LBB6_12787-.Lpost_getpc185)&4294967295
	s_addc_u32 s35, s35, (.LBB6_12787-.Lpost_getpc185)>>32
	s_setpc_b64 s[34:35]
.LBB6_4850:                             ;   in Loop: Header=BB6_4817 Depth=1
	s_or_b32 exec_lo, exec_lo, s22
	s_cbranch_execz .LBB6_4851
; %bb.13073:
	s_getpc_b64 s[34:35]
.Lpost_getpc186:
	s_add_u32 s34, s34, (.LBB6_12775-.Lpost_getpc186)&4294967295
	s_addc_u32 s35, s35, (.LBB6_12775-.Lpost_getpc186)>>32
	s_setpc_b64 s[34:35]
.LBB6_4851:                             ;   in Loop: Header=BB6_4817 Depth=1
	ds_load_b64 v[10:11], v0
	v_add_co_u32 v38, vcc_lo, v38, v70
	v_add_co_ci_u32_e32 v39, vcc_lo, 0, v39, vcc_lo
	s_mov_b32 s22, exec_lo
	s_waitcnt lgkmcnt(0)
	s_delay_alu instid0(VALU_DEP_1)
	v_cmpx_lt_u64_e64 v[10:11], v[38:39]
	s_cbranch_execz .LBB6_4862
; %bb.4852:                             ;   in Loop: Header=BB6_4817 Depth=1
	s_mov_b32 s23, 0
	s_mov_b32 s26, 0
                                        ; implicit-def: $sgpr24
                                        ; implicit-def: $sgpr25
	s_branch .LBB6_4854
.LBB6_4853:                             ;   in Loop: Header=BB6_4854 Depth=2
	s_or_b32 exec_lo, exec_lo, s29
	s_delay_alu instid0(SALU_CYCLE_1) | instskip(NEXT) | instid1(SALU_CYCLE_1)
	s_and_b32 s27, exec_lo, s28
	s_or_b32 s23, s27, s23
	s_and_not1_b32 s24, s24, exec_lo
	s_and_b32 s27, s25, exec_lo
	s_delay_alu instid0(SALU_CYCLE_1)
	s_or_b32 s24, s24, s27
	s_and_not1_b32 exec_lo, exec_lo, s23
	s_cbranch_execz .LBB6_4860
.LBB6_4854:                             ;   Parent Loop BB6_4817 Depth=1
                                        ; =>  This Inner Loop Header: Depth=2
	s_add_i32 s26, s26, 1
                                        ; implicit-def: $sgpr28
	s_delay_alu instid0(SALU_CYCLE_1) | instskip(SKIP_1) | instid1(SALU_CYCLE_1)
	s_cmpk_lg_i32 s26, 0x2710
	s_cselect_b32 s27, -1, 0
	s_and_b32 vcc_lo, exec_lo, s27
	s_cbranch_vccz .LBB6_4858
.LBB6_4855:                             ;   in Loop: Header=BB6_4854 Depth=2
	s_and_not1_b32 s25, s25, exec_lo
	s_and_b32 s29, s28, exec_lo
	s_mov_b32 s28, -1
	s_or_b32 s25, s25, s29
	s_and_saveexec_b32 s29, s27
	s_cbranch_execz .LBB6_4853
; %bb.4856:                             ;   in Loop: Header=BB6_4854 Depth=2
	s_sleep 1
	s_cbranch_execz .LBB6_4857
; %bb.13075:
	s_getpc_b64 s[34:35]
.Lpost_getpc187:
	s_add_u32 s34, s34, (.LBB6_12821-.Lpost_getpc187)&4294967295
	s_addc_u32 s35, s35, (.LBB6_12821-.Lpost_getpc187)>>32
	s_setpc_b64 s[34:35]
.LBB6_4857:                             ;   in Loop: Header=BB6_4854 Depth=2
	ds_load_b64 v[10:11], v0
	s_and_not1_b32 s25, s25, exec_lo
	s_waitcnt lgkmcnt(0)
	v_cmp_ge_u64_e32 vcc_lo, v[10:11], v[38:39]
	s_or_not1_b32 s28, vcc_lo, exec_lo
	s_branch .LBB6_4853
.LBB6_4858:                             ;   in Loop: Header=BB6_4854 Depth=2
	s_cbranch_execz .LBB6_4859
; %bb.13077:
	s_getpc_b64 s[34:35]
.Lpost_getpc188:
	s_add_u32 s34, s34, (.LBB6_12837-.Lpost_getpc188)&4294967295
	s_addc_u32 s35, s35, (.LBB6_12837-.Lpost_getpc188)>>32
	s_setpc_b64 s[34:35]
.LBB6_4859:                             ;   in Loop: Header=BB6_4854 Depth=2
	ds_load_b64 v[10:11], v0
	s_and_not1_b32 s27, s27, exec_lo
	s_mov_b32 s26, 0
	s_mov_b32 s28, -1
	s_waitcnt lgkmcnt(0)
	flat_load_b32 v10, v[10:11] glc
	s_waitcnt vmcnt(0) lgkmcnt(0)
	buffer_gl1_inv
	buffer_gl0_inv
	v_cmp_eq_u32_e32 vcc_lo, 0, v10
	s_and_b32 s29, vcc_lo, exec_lo
	s_delay_alu instid0(SALU_CYCLE_1)
	s_or_b32 s27, s27, s29
	s_branch .LBB6_4855
.LBB6_4860:                             ;   in Loop: Header=BB6_4817 Depth=1
	s_or_b32 exec_lo, exec_lo, s23
	s_and_saveexec_b32 s23, s24
	s_delay_alu instid0(SALU_CYCLE_1)
	s_xor_b32 s23, exec_lo, s23
	s_cbranch_execz .LBB6_4862
; %bb.4861:                             ;   in Loop: Header=BB6_4817 Depth=1
	ds_store_b32 v0, v102
	s_cbranch_execz .LBB6_4862
; %bb.13079:
	s_getpc_b64 s[34:35]
.Lpost_getpc189:
	s_add_u32 s34, s34, (.LBB6_12917-.Lpost_getpc189)&4294967295
	s_addc_u32 s35, s35, (.LBB6_12917-.Lpost_getpc189)>>32
	s_setpc_b64 s[34:35]
.LBB6_4862:                             ;   in Loop: Header=BB6_4817 Depth=1
	s_or_b32 exec_lo, exec_lo, s22
	;;#ASMSTART
	s_wakeup
	;;#ASMEND
.LBB6_4863:                             ;   in Loop: Header=BB6_4817 Depth=1
	s_or_b32 exec_lo, exec_lo, s21
.LBB6_4864:                             ;   in Loop: Header=BB6_4817 Depth=1
	s_and_not1_saveexec_b32 s10, s10
	s_cbranch_execz .LBB6_4866
; %bb.4865:                             ;   in Loop: Header=BB6_4817 Depth=1
	s_waitcnt lgkmcnt(0)
	s_waitcnt_vscnt null, 0x0
	buffer_gl1_inv
	buffer_gl0_inv
	s_barrier
.LBB6_4866:                             ;   in Loop: Header=BB6_4817 Depth=1
	s_or_b32 exec_lo, exec_lo, s10
.LBB6_4867:                             ;   in Loop: Header=BB6_4817 Depth=1
	s_delay_alu instid0(SALU_CYCLE_1)
	s_or_b32 exec_lo, exec_lo, s7
	s_cbranch_execz .LBB6_4868
; %bb.13081:
	s_getpc_b64 s[34:35]
.Lpost_getpc190:
	s_add_u32 s34, s34, (.LBB6_12712-.Lpost_getpc190)&4294967295
	s_addc_u32 s35, s35, (.LBB6_12712-.Lpost_getpc190)>>32
	s_setpc_b64 s[34:35]
.LBB6_4868:                             ;   in Loop: Header=BB6_4817 Depth=1
	ds_load_b32 v10, v0
	v_and_b32_e32 v11, 0x4000, v30
	s_delay_alu instid0(VALU_DEP_1) | instskip(SKIP_1) | instid1(SALU_CYCLE_1)
	v_cmp_ne_u32_e32 vcc_lo, 0, v11
	s_and_b32 s10, s18, vcc_lo
	s_and_saveexec_b32 s7, s10
	s_cbranch_execz .LBB6_4890
; %bb.4869:                             ;   in Loop: Header=BB6_4817 Depth=1
	s_and_saveexec_b32 s10, s3
	s_delay_alu instid0(SALU_CYCLE_1)
	s_xor_b32 s10, exec_lo, s10
	s_cbranch_execz .LBB6_4887
; %bb.4870:                             ;   in Loop: Header=BB6_4817 Depth=1
	s_and_saveexec_b32 s21, s4
	s_cbranch_execz .LBB6_4886
; %bb.4871:                             ;   in Loop: Header=BB6_4817 Depth=1
	s_mov_b32 s23, exec_lo
	s_mov_b32 s22, exec_lo
	v_mbcnt_lo_u32_b32 v11, s23, 0
	s_waitcnt lgkmcnt(0)
	s_waitcnt_vscnt null, 0x0
	buffer_gl1_inv
	buffer_gl0_inv
	v_cmpx_eq_u32_e32 0, v11
	s_cbranch_execz .LBB6_4873
; %bb.4872:                             ;   in Loop: Header=BB6_4817 Depth=1
	s_bcnt1_i32_b32 s23, s23
	s_delay_alu instid0(SALU_CYCLE_1)
	v_mov_b32_e32 v50, s23
	ds_add_u64 v0, v[50:51]
	s_cbranch_execz .LBB6_4873
; %bb.13083:
	s_getpc_b64 s[34:35]
.Lpost_getpc191:
	s_add_u32 s34, s34, (.LBB6_12817-.Lpost_getpc191)&4294967295
	s_addc_u32 s35, s35, (.LBB6_12817-.Lpost_getpc191)>>32
	s_setpc_b64 s[34:35]
.LBB6_4873:                             ;   in Loop: Header=BB6_4817 Depth=1
	s_or_b32 exec_lo, exec_lo, s22
	s_cbranch_execz .LBB6_4874
; %bb.13085:
	s_getpc_b64 s[34:35]
.Lpost_getpc192:
	s_add_u32 s34, s34, (.LBB6_12803-.Lpost_getpc192)&4294967295
	s_addc_u32 s35, s35, (.LBB6_12803-.Lpost_getpc192)>>32
	s_setpc_b64 s[34:35]
.LBB6_4874:                             ;   in Loop: Header=BB6_4817 Depth=1
	ds_load_b64 v[11:12], v0
	v_add_co_u32 v38, vcc_lo, v38, v70
	v_add_co_ci_u32_e32 v39, vcc_lo, 0, v39, vcc_lo
	s_mov_b32 s22, exec_lo
	s_waitcnt lgkmcnt(0)
	s_delay_alu instid0(VALU_DEP_1)
	v_cmpx_lt_u64_e64 v[11:12], v[38:39]
	s_cbranch_execz .LBB6_4885
; %bb.4875:                             ;   in Loop: Header=BB6_4817 Depth=1
	s_mov_b32 s23, 0
	s_mov_b32 s26, 0
                                        ; implicit-def: $sgpr24
                                        ; implicit-def: $sgpr25
	s_branch .LBB6_4877
.LBB6_4876:                             ;   in Loop: Header=BB6_4877 Depth=2
	s_or_b32 exec_lo, exec_lo, s29
	s_delay_alu instid0(SALU_CYCLE_1) | instskip(NEXT) | instid1(SALU_CYCLE_1)
	s_and_b32 s27, exec_lo, s28
	s_or_b32 s23, s27, s23
	s_and_not1_b32 s24, s24, exec_lo
	s_and_b32 s27, s25, exec_lo
	s_delay_alu instid0(SALU_CYCLE_1)
	s_or_b32 s24, s24, s27
	s_and_not1_b32 exec_lo, exec_lo, s23
	s_cbranch_execz .LBB6_4883
.LBB6_4877:                             ;   Parent Loop BB6_4817 Depth=1
                                        ; =>  This Inner Loop Header: Depth=2
	s_add_i32 s26, s26, 1
                                        ; implicit-def: $sgpr28
	s_delay_alu instid0(SALU_CYCLE_1) | instskip(SKIP_1) | instid1(SALU_CYCLE_1)
	s_cmpk_lg_i32 s26, 0x2710
	s_cselect_b32 s27, -1, 0
	s_and_b32 vcc_lo, exec_lo, s27
	s_cbranch_vccz .LBB6_4881
.LBB6_4878:                             ;   in Loop: Header=BB6_4877 Depth=2
	s_and_not1_b32 s25, s25, exec_lo
	s_and_b32 s29, s28, exec_lo
	s_mov_b32 s28, -1
	s_or_b32 s25, s25, s29
	s_and_saveexec_b32 s29, s27
	s_cbranch_execz .LBB6_4876
; %bb.4879:                             ;   in Loop: Header=BB6_4877 Depth=2
	s_sleep 1
	s_cbranch_execz .LBB6_4880
; %bb.13087:
	s_getpc_b64 s[34:35]
.Lpost_getpc193:
	s_add_u32 s34, s34, (.LBB6_12875-.Lpost_getpc193)&4294967295
	s_addc_u32 s35, s35, (.LBB6_12875-.Lpost_getpc193)>>32
	s_setpc_b64 s[34:35]
.LBB6_4880:                             ;   in Loop: Header=BB6_4877 Depth=2
	ds_load_b64 v[11:12], v0
	s_and_not1_b32 s25, s25, exec_lo
	s_waitcnt lgkmcnt(0)
	v_cmp_ge_u64_e32 vcc_lo, v[11:12], v[38:39]
	s_or_not1_b32 s28, vcc_lo, exec_lo
	s_branch .LBB6_4876
.LBB6_4881:                             ;   in Loop: Header=BB6_4877 Depth=2
	s_cbranch_execz .LBB6_4882
; %bb.13089:
	s_getpc_b64 s[34:35]
.Lpost_getpc194:
	s_add_u32 s34, s34, (.LBB6_12883-.Lpost_getpc194)&4294967295
	s_addc_u32 s35, s35, (.LBB6_12883-.Lpost_getpc194)>>32
	s_setpc_b64 s[34:35]
.LBB6_4882:                             ;   in Loop: Header=BB6_4877 Depth=2
	ds_load_b64 v[11:12], v0
	s_and_not1_b32 s27, s27, exec_lo
	s_mov_b32 s26, 0
	s_mov_b32 s28, -1
	s_waitcnt lgkmcnt(0)
	flat_load_b32 v11, v[11:12] glc
	s_waitcnt vmcnt(0) lgkmcnt(0)
	buffer_gl1_inv
	buffer_gl0_inv
	v_cmp_eq_u32_e32 vcc_lo, 0, v11
	s_and_b32 s29, vcc_lo, exec_lo
	s_delay_alu instid0(SALU_CYCLE_1)
	s_or_b32 s27, s27, s29
	s_branch .LBB6_4878
.LBB6_4883:                             ;   in Loop: Header=BB6_4817 Depth=1
	s_or_b32 exec_lo, exec_lo, s23
	s_and_saveexec_b32 s23, s24
	s_delay_alu instid0(SALU_CYCLE_1)
	s_xor_b32 s23, exec_lo, s23
	s_cbranch_execz .LBB6_4885
; %bb.4884:                             ;   in Loop: Header=BB6_4817 Depth=1
	ds_store_b32 v0, v102
	s_cbranch_execz .LBB6_4885
; %bb.13091:
	s_getpc_b64 s[34:35]
.Lpost_getpc195:
	s_add_u32 s34, s34, (.LBB6_12927-.Lpost_getpc195)&4294967295
	s_addc_u32 s35, s35, (.LBB6_12927-.Lpost_getpc195)>>32
	s_setpc_b64 s[34:35]
.LBB6_4885:                             ;   in Loop: Header=BB6_4817 Depth=1
	s_or_b32 exec_lo, exec_lo, s22
	;;#ASMSTART
	s_wakeup
	;;#ASMEND
.LBB6_4886:                             ;   in Loop: Header=BB6_4817 Depth=1
	s_or_b32 exec_lo, exec_lo, s21
.LBB6_4887:                             ;   in Loop: Header=BB6_4817 Depth=1
	s_and_not1_saveexec_b32 s10, s10
	s_cbranch_execz .LBB6_4889
; %bb.4888:                             ;   in Loop: Header=BB6_4817 Depth=1
	s_waitcnt lgkmcnt(0)
	s_waitcnt_vscnt null, 0x0
	buffer_gl1_inv
	buffer_gl0_inv
	s_barrier
.LBB6_4889:                             ;   in Loop: Header=BB6_4817 Depth=1
	s_or_b32 exec_lo, exec_lo, s10
.LBB6_4890:                             ;   in Loop: Header=BB6_4817 Depth=1
	s_delay_alu instid0(SALU_CYCLE_1)
	s_or_b32 exec_lo, exec_lo, s7
	s_cbranch_execz .LBB6_4891
; %bb.13093:
	s_getpc_b64 s[34:35]
.Lpost_getpc196:
	s_add_u32 s34, s34, (.LBB6_12745-.Lpost_getpc196)&4294967295
	s_addc_u32 s35, s35, (.LBB6_12745-.Lpost_getpc196)>>32
	s_setpc_b64 s[34:35]
.LBB6_4891:                             ;   in Loop: Header=BB6_4817 Depth=1
	ds_load_b64 v[11:12], v0
	v_min_u32_e32 v55, v55, v54
	s_waitcnt lgkmcnt(0)
	v_cmp_eq_u64_e32 vcc_lo, 0, v[11:12]
	s_or_b32 s7, vcc_lo, vcc_lo
	s_delay_alu instid0(SALU_CYCLE_1)
	s_and_b32 vcc_lo, exec_lo, s7
	s_mov_b32 s7, 0
	s_cbranch_vccz .LBB6_4892
; %bb.13095:                            ;   in Loop: Header=BB6_4817 Depth=1
	s_getpc_b64 s[34:35]
.Lpost_getpc197:
	s_add_u32 s34, s34, (.LBB6_9482-.Lpost_getpc197)&4294967295
	s_addc_u32 s35, s35, (.LBB6_9482-.Lpost_getpc197)>>32
	s_setpc_b64 s[34:35]
.LBB6_4892:                             ;   in Loop: Header=BB6_4817 Depth=1
	s_mov_b32 s7, -1
	s_and_saveexec_b32 s10, s5
	s_cbranch_execz .LBB6_4894
; %bb.4893:                             ;   in Loop: Header=BB6_4817 Depth=1
	ds_load_b32 v11, v0 offset:720
	s_waitcnt lgkmcnt(0)
	v_and_b32_e32 v11, 15, v11
	s_delay_alu instid0(VALU_DEP_1)
	v_cmp_eq_u32_e32 vcc_lo, 0, v11
	s_or_not1_b32 s7, vcc_lo, exec_lo
.LBB6_4894:                             ;   in Loop: Header=BB6_4817 Depth=1
	s_or_b32 exec_lo, exec_lo, s10
	s_and_saveexec_b32 s10, s6
	s_cbranch_execz .LBB6_4896
; %bb.4895:                             ;   in Loop: Header=BB6_4817 Depth=1
	ds_load_b32 v11, v0 offset:784
	s_waitcnt lgkmcnt(0)
	v_and_b32_e32 v11, 15, v11
	s_delay_alu instid0(VALU_DEP_1) | instskip(SKIP_3) | instid1(SALU_CYCLE_1)
	v_cmp_eq_u32_e32 vcc_lo, 0, v11
	s_and_b32 s21, s7, vcc_lo
	s_and_not1_b32 s7, s7, exec_lo
	s_and_b32 s21, s21, exec_lo
	s_or_b32 s7, s7, s21
.LBB6_4896:                             ;   in Loop: Header=BB6_4817 Depth=1
	s_or_b32 exec_lo, exec_lo, s10
	v_cmp_eq_u32_e32 vcc_lo, 0, v10
	s_xor_b32 s7, s7, -1
	v_mov_b32_e32 v20, v0
	v_cndmask_b32_e64 v11, 0, 1, s7
	;;#ASMSTART
	;;#ASMEND
	v_cndmask_b32_e32 v50, 0, v55, vcc_lo
	s_delay_alu instid0(VALU_DEP_2)
	v_cmp_ne_u32_e32 vcc_lo, 0, v11
	v_mov_b32_e32 v18, 0
	v_mov_b32_e32 v10, v71
	s_mov_b32 s7, -1
	v_mov_b32_e32 v19, v50
	s_cbranch_vccz .LBB6_4897
; %bb.13097:                            ;   in Loop: Header=BB6_4817 Depth=1
	s_getpc_b64 s[34:35]
.Lpost_getpc198:
	s_add_u32 s34, s34, (.LBB6_8130-.Lpost_getpc198)&4294967295
	s_addc_u32 s35, s35, (.LBB6_8130-.Lpost_getpc198)>>32
	s_setpc_b64 s[34:35]
.LBB6_4897:                             ;   in Loop: Header=BB6_4817 Depth=1
	v_lshrrev_b32_e32 v10, 11, v50
	s_mov_b32 s10, exec_lo
	s_delay_alu instid0(VALU_DEP_1) | instskip(NEXT) | instid1(VALU_DEP_1)
	v_sub_nc_u32_e32 v103, v10, v71
	v_cmpx_lt_i32_e32 0, v103
	s_cbranch_execz .LBB6_7471
; %bb.4898:                             ;   in Loop: Header=BB6_4817 Depth=1
	s_cbranch_execz .LBB6_4899
; %bb.13099:
	s_getpc_b64 s[34:35]
.Lpost_getpc199:
	s_add_u32 s34, s34, (.LBB6_12839-.Lpost_getpc199)&4294967295
	s_addc_u32 s35, s35, (.LBB6_12839-.Lpost_getpc199)>>32
	s_setpc_b64 s[34:35]
.LBB6_4899:                             ;   in Loop: Header=BB6_4817 Depth=1
	ds_load_b64 v[14:15], v0
	ds_load_b128 v[10:13], v0
	s_waitcnt lgkmcnt(1)
	v_readfirstlane_b32 s7, v14
	s_waitcnt lgkmcnt(0)
	v_add_co_u32 v64, vcc_lo, v10, v84
	v_add_co_ci_u32_e32 v65, vcc_lo, v11, v87, vcc_lo
	s_delay_alu instid0(VALU_DEP_3)
	s_and_b32 s21, s7, 7
	s_bfe_u32 s24, s7, 0x40003
	s_clz_i32_u32 s22, s21
	v_add_co_u32 v66, vcc_lo, v12, v84
	s_min_u32 s22, s22, 32
	v_add_co_ci_u32_e32 v67, vcc_lo, v13, v87, vcc_lo
	s_sub_i32 s23, s22, 28
	s_sub_i32 s22, 29, s22
	s_lshl_b32 s23, s7, s23
	v_add_co_u32 v68, vcc_lo, v14, v84
	s_and_b32 s23, s23, 7
	s_cmp_eq_u32 s24, 0
	v_add_co_ci_u32_e32 v69, vcc_lo, v15, v87, vcc_lo
	s_cselect_b32 s22, s22, s24
	s_cselect_b32 s21, s23, s21
	s_lshl_b32 s7, s7, 24
	s_lshl_b32 s23, s21, 20
	;; [unrolled: 1-line block ×3, first 2 shown]
	s_and_b32 s7, s7, 0x80000000
	s_add_i32 s21, s21, 0x3b800000
	v_and_b32_e32 v112, 0xff, v14
	s_or_b32 s7, s7, s21
	s_mov_b32 s21, 0
	s_or_b32 s22, s7, s23
	s_branch .LBB6_4903
.LBB6_4900:                             ;   in Loop: Header=BB6_4903 Depth=2
	s_or_b32 exec_lo, exec_lo, s7
	s_delay_alu instid0(VALU_DEP_1) | instskip(NEXT) | instid1(VALU_DEP_2)
	v_lshrrev_b32_e32 v129, 20, v129
	v_min_i32_e32 v135, 15, v13
	v_cmp_gt_i32_e32 vcc_lo, 16, v13
	v_lshrrev_b32_e32 v118, 24, v118
	s_delay_alu instid0(VALU_DEP_3) | instskip(NEXT) | instid1(VALU_DEP_2)
	v_lshlrev_b32_e32 v135, 3, v135
	v_dual_cndmask_b32 v129, 7, v129 :: v_dual_and_b32 v118, 0x80, v118
	s_delay_alu instid0(VALU_DEP_2) | instskip(NEXT) | instid1(VALU_DEP_2)
	v_and_b32_e32 v135, 0xf8, v135
	v_and_b32_e32 v147, 7, v129
	v_or_b32_e32 v13, v13, v129
	s_delay_alu instid0(VALU_DEP_2) | instskip(NEXT) | instid1(VALU_DEP_2)
	v_or3_b32 v118, v118, v135, v147
	v_cmp_ne_u32_e32 vcc_lo, 0, v13
	s_delay_alu instid0(VALU_DEP_2) | instskip(NEXT) | instid1(VALU_DEP_1)
	v_lshlrev_b32_e32 v118, 8, v118
	v_cndmask_b32_e32 v13, 0, v118, vcc_lo
.LBB6_4901:                             ;   in Loop: Header=BB6_4903 Depth=2
	s_or_b32 exec_lo, exec_lo, s24
.LBB6_4902:                             ;   in Loop: Header=BB6_4903 Depth=2
	s_delay_alu instid0(SALU_CYCLE_1)
	s_or_b32 exec_lo, exec_lo, s23
	v_or_b32_e32 v15, v15, v167
	v_and_b32_e32 v118, 0xff, v180
	v_lshlrev_b32_e32 v135, 8, v182
	v_and_b32_e32 v129, 0xff, v177
	v_lshlrev_b32_e32 v14, 24, v14
	v_lshlrev_b32_e32 v15, 16, v15
	;; [unrolled: 1-line block ×3, first 2 shown]
	v_perm_b32 v135, v135, v40, 0xc0c0500
	v_lshlrev_b32_e32 v18, 24, v18
	v_and_b32_e32 v147, 0xff, v163
	v_or3_b32 v15, v178, v129, v15
	v_and_b32_e32 v129, 0xff, v72
	v_or3_b32 v14, v14, v118, v135
	v_lshlrev_b32_e32 v135, 8, v73
	v_lshlrev_b32_e32 v161, 8, v164
	v_or_b32_e32 v19, v19, v59
	v_lshlrev_b32_e32 v129, 16, v129
	v_or_b32_e32 v23, v23, v162
	v_perm_b32 v135, v135, v76, 0xc0c0500
	v_lshlrev_b32_e32 v115, 8, v115
	v_and_b32_e32 v130, 0xff, v130
	v_or_b32_e32 v17, v17, v150
	v_lshlrev_b32_e32 v16, 24, v16
	v_or3_b32 v18, v18, v129, v135
	v_and_b32_e32 v129, 0xff, v145
	v_and_b32_e32 v135, 0xff, v41
	v_lshlrev_b32_e32 v145, 8, v181
	v_lshlrev_b32_e32 v147, 16, v147
	v_perm_b32 v150, v161, v166, 0xc0c0500
	v_and_b32_e32 v118, 0xff, v61
	v_lshlrev_b32_e32 v19, 16, v19
	v_or_b32_e32 v21, v21, v42
	v_lshlrev_b32_e32 v23, 16, v23
	v_perm_b32 v113, v115, v113, 0xc0c0500
	v_lshlrev_b32_e32 v24, 24, v24
	v_lshlrev_b32_e32 v115, 16, v135
	v_perm_b32 v135, v145, v176, 0xc0c0500
	v_lshlrev_b32_e32 v22, 24, v22
	v_lshlrev_b32_e32 v130, 16, v130
	v_or_b32_e32 v25, v25, v75
	v_or3_b32 v16, v16, v147, v150
	v_and_b32_e32 v147, 0xff, v46
	v_lshlrev_b32_e32 v150, 8, v47
	v_or3_b32 v19, v62, v118, v19
	v_and_b32_e32 v118, 0xff, v43
	v_lshlrev_b32_e32 v21, 16, v21
	v_or3_b32 v23, v149, v129, v23
	v_or3_b32 v24, v24, v115, v135
	v_or_b32_e32 v11, v11, v132
	v_and_b32_e32 v115, 0xff, v144
	v_lshlrev_b32_e32 v129, 8, v146
	v_and_b32_e32 v119, 0xff, v119
	v_lshlrev_b32_e32 v128, 8, v128
	v_or_b32_e32 v13, v13, v114
	v_or3_b32 v22, v22, v130, v113
	v_and_b32_e32 v113, 0xff, v58
	v_lshlrev_b32_e32 v25, 16, v25
	v_lshlrev_b32_e32 v20, 24, v20
	;; [unrolled: 1-line block ×3, first 2 shown]
	v_perm_b32 v150, v150, v57, 0xc0c0500
	v_and_b32_e32 v151, 0xff, v151
	v_lshlrev_b32_e32 v17, 16, v17
	v_or3_b32 v21, v44, v118, v21
	v_and_b32_e32 v118, 0xff, v133
	v_lshlrev_b32_e32 v11, 16, v11
	v_lshlrev_b32_e32 v10, 24, v10
	v_lshlrev_b32_e32 v115, 16, v115
	v_perm_b32 v129, v129, v148, 0xc0c0500
	v_lshlrev_b32_e32 v12, 24, v12
	v_lshlrev_b32_e32 v114, 16, v119
	v_perm_b32 v119, v128, v131, 0xc0c0500
	v_and_b32_e32 v116, 0xff, v116
	v_lshlrev_b32_e32 v13, 16, v13
	v_add_co_u32 v64, vcc_lo, v64, v85
	v_or3_b32 v25, v60, v113, v25
	v_sub_nc_u32_e32 v103, v103, v70
	v_or3_b32 v20, v20, v147, v150
	v_add_co_ci_u32_e32 v65, vcc_lo, v65, v86, vcc_lo
	v_or3_b32 v17, v160, v151, v17
	v_add_co_u32 v66, vcc_lo, v66, v85
	v_or3_b32 v11, v134, v118, v11
	v_or3_b32 v10, v10, v115, v129
	;; [unrolled: 1-line block ×4, first 2 shown]
	v_add_co_ci_u32_e32 v67, vcc_lo, v67, v86, vcc_lo
	s_clause 0x3
	global_store_b128 v[68:69], v[22:25], off glc slc dlc
	global_store_b128 v[68:69], v[18:21], off offset:512 glc slc dlc
	global_store_b128 v[68:69], v[14:17], off offset:1024 glc slc dlc
	;; [unrolled: 1-line block ×3, first 2 shown]
	v_cmp_gt_i32_e32 vcc_lo, 1, v103
	v_add_co_u32 v68, s7, v68, v85
	s_delay_alu instid0(VALU_DEP_1) | instskip(SKIP_1) | instid1(SALU_CYCLE_1)
	v_add_co_ci_u32_e64 v69, s7, v69, v86, s7
	s_or_b32 s21, vcc_lo, s21
	s_and_not1_b32 exec_lo, exec_lo, s21
	s_cbranch_execz .LBB6_7470
.LBB6_4903:                             ;   Parent Loop BB6_4817 Depth=1
                                        ; =>  This Inner Loop Header: Depth=2
	v_cmp_gt_i16_e32 vcc_lo, 0x80, v112
	s_cbranch_vccnz .LBB6_4907
; %bb.4904:                             ;   in Loop: Header=BB6_4903 Depth=2
	v_cmp_eq_u16_e32 vcc_lo, 0x80, v112
	s_mov_b32 s7, -1
                                        ; implicit-def: $sgpr23
	s_cbranch_vccz .LBB6_4906
; %bb.4905:                             ;   in Loop: Header=BB6_4903 Depth=2
	s_mov_b32 s7, 0
	s_mov_b32 s23, 0x7f800001
.LBB6_4906:                             ;   in Loop: Header=BB6_4903 Depth=2
	s_mov_b32 s24, 0
	s_branch .LBB6_4908
.LBB6_4907:                             ;   in Loop: Header=BB6_4903 Depth=2
	s_mov_b32 s24, -1
	s_mov_b32 s7, 0
                                        ; implicit-def: $sgpr23
.LBB6_4908:                             ;   in Loop: Header=BB6_4903 Depth=2
	s_and_b32 vcc_lo, exec_lo, s24
	s_cbranch_vccz .LBB6_4910
; %bb.4909:                             ;   in Loop: Header=BB6_4903 Depth=2
	v_cmp_ne_u16_e64 s7, 0, v112
	s_mov_b32 s23, 0
.LBB6_4910:                             ;   in Loop: Header=BB6_4903 Depth=2
	s_delay_alu instid0(VALU_DEP_1)
	s_and_not1_b32 vcc_lo, exec_lo, s7
	s_cbranch_vccnz .LBB6_4912
; %bb.4911:                             ;   in Loop: Header=BB6_4903 Depth=2
	s_mov_b32 s23, s22
.LBB6_4912:                             ;   in Loop: Header=BB6_4903 Depth=2
	global_load_b128 v[10:13], v[64:65], off slc dlc
	s_mov_b32 s7, 0
	s_mov_b32 s25, exec_lo
                                        ; implicit-def: $sgpr24
	s_waitcnt vmcnt(0)
	v_and_b32_e32 v15, 0xff, v10
	s_delay_alu instid0(VALU_DEP_1)
	v_cmpx_lt_i16_e32 0x7f, v15
	s_xor_b32 s25, exec_lo, s25
	s_cbranch_execnz .LBB6_6702
; %bb.4913:                             ;   in Loop: Header=BB6_4903 Depth=2
	s_or_saveexec_b32 s25, s25
	v_mov_b32_e32 v14, s24
	s_xor_b32 exec_lo, exec_lo, s25
	s_cbranch_execnz .LBB6_6705
.LBB6_4914:                             ;   in Loop: Header=BB6_4903 Depth=2
	s_or_b32 exec_lo, exec_lo, s25
	s_and_saveexec_b32 s24, s7
	s_cbranch_execz .LBB6_4916
.LBB6_4915:                             ;   in Loop: Header=BB6_4903 Depth=2
	v_bfe_u32 v17, v10, 3, 4
	v_lshlrev_b32_e32 v18, 24, v10
	s_delay_alu instid0(VALU_DEP_2) | instskip(SKIP_1) | instid1(VALU_DEP_1)
	v_cmp_eq_u32_e32 vcc_lo, 0, v17
	v_and_b32_e32 v14, 7, v10
	v_clz_i32_u32_e32 v15, v14
	s_delay_alu instid0(VALU_DEP_1) | instskip(NEXT) | instid1(VALU_DEP_1)
	v_min_u32_e32 v15, 32, v15
	v_subrev_nc_u32_e32 v16, 28, v15
	v_sub_nc_u32_e32 v15, 29, v15
	s_delay_alu instid0(VALU_DEP_1) | instskip(NEXT) | instid1(VALU_DEP_1)
	v_dual_cndmask_b32 v15, v17, v15 :: v_dual_lshlrev_b32 v16, v16, v10
	v_and_b32_e32 v16, 7, v16
	s_delay_alu instid0(VALU_DEP_2) | instskip(NEXT) | instid1(VALU_DEP_2)
	v_lshl_add_u32 v15, v15, 23, 0x3b800000
	v_cndmask_b32_e32 v14, v14, v16, vcc_lo
	v_and_b32_e32 v16, 0x80000000, v18
	s_delay_alu instid0(VALU_DEP_2) | instskip(NEXT) | instid1(VALU_DEP_1)
	v_lshlrev_b32_e32 v14, 20, v14
	v_or3_b32 v14, v16, v15, v14
.LBB6_4916:                             ;   in Loop: Header=BB6_4903 Depth=2
	s_or_b32 exec_lo, exec_lo, s24
	s_delay_alu instid0(VALU_DEP_1) | instskip(SKIP_1) | instid1(VALU_DEP_1)
	v_dual_mul_f32 v14, s23, v14 :: v_dual_mov_b32 v113, 0x80
	s_mov_b32 s24, exec_lo
	v_and_b32_e32 v15, 0x7f800000, v14
	s_delay_alu instid0(VALU_DEP_1)
	v_cmpx_ne_u32_e32 0x7f800000, v15
	s_cbranch_execz .LBB6_4924
; %bb.4917:                             ;   in Loop: Header=BB6_4903 Depth=2
	v_mov_b32_e32 v113, 0
	s_mov_b32 s25, exec_lo
	v_cmpx_ne_u32_e32 0, v14
	s_cbranch_execz .LBB6_4923
; %bb.4918:                             ;   in Loop: Header=BB6_4903 Depth=2
	v_bfe_u32 v15, v14, 23, 8
	s_delay_alu instid0(VALU_DEP_1) | instskip(SKIP_1) | instid1(VALU_DEP_2)
	v_sub_nc_u32_e32 v17, 0x78, v15
	v_cmp_gt_u32_e32 vcc_lo, 0x79, v15
	v_dual_cndmask_b32 v17, 0, v17 :: v_dual_and_b32 v16, 0x7fffff, v14
	s_delay_alu instid0(VALU_DEP_1) | instskip(SKIP_2) | instid1(VALU_DEP_4)
	v_or_b32_e32 v18, 0x800000, v16
	v_cmp_eq_u32_e32 vcc_lo, 0, v15
	v_add_nc_u32_e32 v15, 0xffffff89, v15
	v_cndmask_b32_e64 v17, v17, 0x77, vcc_lo
	s_delay_alu instid0(VALU_DEP_4) | instskip(NEXT) | instid1(VALU_DEP_3)
	v_cndmask_b32_e32 v16, v18, v16, vcc_lo
	v_cndmask_b32_e64 v15, v15, 0xffffff8a, vcc_lo
	s_delay_alu instid0(VALU_DEP_3) | instskip(NEXT) | instid1(VALU_DEP_3)
	v_lshl_add_u32 v18, 0x100000, v17, -1
	v_lshrrev_b32_e32 v19, v17, v16
	v_lshlrev_b32_e64 v21, v17, 0x80000
	s_delay_alu instid0(VALU_DEP_4) | instskip(NEXT) | instid1(VALU_DEP_4)
	v_add_nc_u32_e32 v17, v17, v15
	v_and_b32_e32 v16, v18, v16
	s_delay_alu instid0(VALU_DEP_4) | instskip(NEXT) | instid1(VALU_DEP_2)
	v_bfe_u32 v20, v19, 20, 1
	v_cmp_eq_u32_e64 s7, v16, v21
	s_delay_alu instid0(VALU_DEP_2) | instskip(NEXT) | instid1(VALU_DEP_1)
	v_add_nc_u32_e32 v18, -1, v20
	v_cndmask_b32_e64 v16, 0, v18, s7
	v_lshrrev_b32_e32 v18, 23, v19
	s_mov_b32 s7, exec_lo
	s_delay_alu instid0(VALU_DEP_2) | instskip(NEXT) | instid1(VALU_DEP_2)
	v_add_nc_u32_e32 v16, v16, v19
	v_xor_b32_e32 v18, 1, v18
	s_delay_alu instid0(VALU_DEP_2) | instskip(NEXT) | instid1(VALU_DEP_1)
	v_and_b32_e32 v15, 0xfffff, v16
	v_add_nc_u32_e32 v16, v15, v19
                                        ; implicit-def: $vgpr15
	s_delay_alu instid0(VALU_DEP_3)
	v_cmpx_ne_u32_e64 v17, v18
	s_xor_b32 s7, exec_lo, s7
; %bb.4919:                             ;   in Loop: Header=BB6_4903 Depth=2
	s_delay_alu instid0(VALU_DEP_2) | instskip(SKIP_2) | instid1(VALU_DEP_2)
	v_cmp_lt_u32_e32 vcc_lo, 0xffffff, v16
	v_sub_nc_u32_e32 v15, v17, v18
	v_cndmask_b32_e64 v17, 0, 1, vcc_lo
	v_add_co_ci_u32_e32 v15, vcc_lo, 0, v15, vcc_lo
	s_delay_alu instid0(VALU_DEP_2)
	v_lshrrev_b32_e32 v16, v17, v16
; %bb.4920:                             ;   in Loop: Header=BB6_4903 Depth=2
	s_and_not1_saveexec_b32 s7, s7
; %bb.4921:                             ;   in Loop: Header=BB6_4903 Depth=2
	s_delay_alu instid0(VALU_DEP_1)
	v_bfe_u32 v15, v16, 23, 1
; %bb.4922:                             ;   in Loop: Header=BB6_4903 Depth=2
	s_or_b32 exec_lo, exec_lo, s7
	v_lshrrev_b32_e32 v16, 20, v16
	s_delay_alu instid0(VALU_DEP_2) | instskip(SKIP_2) | instid1(VALU_DEP_2)
	v_cmp_gt_i32_e32 vcc_lo, 16, v15
	v_min_i32_e32 v17, 15, v15
	v_lshrrev_b32_e32 v14, 24, v14
	v_dual_cndmask_b32 v16, 7, v16 :: v_dual_lshlrev_b32 v17, 3, v17
	s_delay_alu instid0(VALU_DEP_2) | instskip(NEXT) | instid1(VALU_DEP_2)
	v_and_b32_e32 v14, 0x80, v14
	v_or_b32_e32 v15, v15, v16
	s_delay_alu instid0(VALU_DEP_1) | instskip(SKIP_1) | instid1(VALU_DEP_1)
	v_cmp_ne_u32_e32 vcc_lo, 0, v15
	v_and_b32_e32 v18, 7, v16
	v_or3_b32 v14, v17, v14, v18
	s_delay_alu instid0(VALU_DEP_1)
	v_cndmask_b32_e32 v113, 0, v14, vcc_lo
.LBB6_4923:                             ;   in Loop: Header=BB6_4903 Depth=2
	s_or_b32 exec_lo, exec_lo, s25
.LBB6_4924:                             ;   in Loop: Header=BB6_4903 Depth=2
	s_delay_alu instid0(SALU_CYCLE_1) | instskip(SKIP_3) | instid1(VALU_DEP_1)
	s_or_b32 exec_lo, exec_lo, s24
	v_lshrrev_b16 v14, 8, v10
	s_mov_b32 s7, 0
	s_mov_b32 s25, exec_lo
                                        ; implicit-def: $sgpr24
	v_cmpx_lt_i16_e32 0x7f, v14
	s_xor_b32 s25, exec_lo, s25
	s_cbranch_execnz .LBB6_6706
; %bb.4925:                             ;   in Loop: Header=BB6_4903 Depth=2
	s_or_saveexec_b32 s25, s25
	v_mov_b32_e32 v15, s24
	s_xor_b32 exec_lo, exec_lo, s25
	s_cbranch_execnz .LBB6_6709
.LBB6_4926:                             ;   in Loop: Header=BB6_4903 Depth=2
	s_or_b32 exec_lo, exec_lo, s25
	s_and_saveexec_b32 s24, s7
	s_cbranch_execz .LBB6_4928
.LBB6_4927:                             ;   in Loop: Header=BB6_4903 Depth=2
	v_and_b32_e32 v15, 0xffff, v14
	v_lshlrev_b32_e32 v14, 24, v14
	s_delay_alu instid0(VALU_DEP_2) | instskip(NEXT) | instid1(VALU_DEP_2)
	v_and_b32_e32 v16, 7, v15
	v_and_b32_e32 v14, 0x80000000, v14
	s_delay_alu instid0(VALU_DEP_2) | instskip(NEXT) | instid1(VALU_DEP_1)
	v_clz_i32_u32_e32 v17, v16
	v_min_u32_e32 v17, 32, v17
	s_delay_alu instid0(VALU_DEP_1) | instskip(SKIP_1) | instid1(VALU_DEP_2)
	v_subrev_nc_u32_e32 v18, 28, v17
	v_sub_nc_u32_e32 v17, 29, v17
	v_lshlrev_b32_e32 v18, v18, v15
	v_bfe_u32 v15, v15, 3, 4
	s_delay_alu instid0(VALU_DEP_2) | instskip(NEXT) | instid1(VALU_DEP_2)
	v_and_b32_e32 v18, 7, v18
	v_cmp_eq_u32_e32 vcc_lo, 0, v15
	s_delay_alu instid0(VALU_DEP_2) | instskip(NEXT) | instid1(VALU_DEP_1)
	v_dual_cndmask_b32 v15, v15, v17 :: v_dual_cndmask_b32 v16, v16, v18
	v_lshl_add_u32 v15, v15, 23, 0x3b800000
	s_delay_alu instid0(VALU_DEP_2) | instskip(NEXT) | instid1(VALU_DEP_1)
	v_lshlrev_b32_e32 v16, 20, v16
	v_or3_b32 v15, v14, v15, v16
.LBB6_4928:                             ;   in Loop: Header=BB6_4903 Depth=2
	s_or_b32 exec_lo, exec_lo, s24
	s_delay_alu instid0(VALU_DEP_1) | instskip(SKIP_1) | instid1(VALU_DEP_1)
	v_dual_mul_f32 v14, s23, v15 :: v_dual_mov_b32 v115, 0x80
	s_mov_b32 s24, exec_lo
	v_and_b32_e32 v15, 0x7f800000, v14
	s_delay_alu instid0(VALU_DEP_1)
	v_cmpx_ne_u32_e32 0x7f800000, v15
	s_cbranch_execz .LBB6_4936
; %bb.4929:                             ;   in Loop: Header=BB6_4903 Depth=2
	v_mov_b32_e32 v115, 0
	s_mov_b32 s25, exec_lo
	v_cmpx_ne_u32_e32 0, v14
	s_cbranch_execz .LBB6_4935
; %bb.4930:                             ;   in Loop: Header=BB6_4903 Depth=2
	v_bfe_u32 v15, v14, 23, 8
	s_delay_alu instid0(VALU_DEP_1) | instskip(SKIP_1) | instid1(VALU_DEP_2)
	v_sub_nc_u32_e32 v17, 0x78, v15
	v_cmp_gt_u32_e32 vcc_lo, 0x79, v15
	v_dual_cndmask_b32 v17, 0, v17 :: v_dual_and_b32 v16, 0x7fffff, v14
	s_delay_alu instid0(VALU_DEP_1) | instskip(SKIP_2) | instid1(VALU_DEP_4)
	v_or_b32_e32 v18, 0x800000, v16
	v_cmp_eq_u32_e32 vcc_lo, 0, v15
	v_add_nc_u32_e32 v15, 0xffffff89, v15
	v_cndmask_b32_e64 v17, v17, 0x77, vcc_lo
	s_delay_alu instid0(VALU_DEP_4) | instskip(NEXT) | instid1(VALU_DEP_3)
	v_cndmask_b32_e32 v16, v18, v16, vcc_lo
	v_cndmask_b32_e64 v15, v15, 0xffffff8a, vcc_lo
	s_delay_alu instid0(VALU_DEP_3) | instskip(NEXT) | instid1(VALU_DEP_3)
	v_lshl_add_u32 v18, 0x100000, v17, -1
	v_lshrrev_b32_e32 v19, v17, v16
	v_lshlrev_b32_e64 v21, v17, 0x80000
	s_delay_alu instid0(VALU_DEP_4) | instskip(NEXT) | instid1(VALU_DEP_4)
	v_add_nc_u32_e32 v17, v17, v15
	v_and_b32_e32 v16, v18, v16
	s_delay_alu instid0(VALU_DEP_4) | instskip(NEXT) | instid1(VALU_DEP_2)
	v_bfe_u32 v20, v19, 20, 1
	v_cmp_eq_u32_e64 s7, v16, v21
	s_delay_alu instid0(VALU_DEP_2) | instskip(NEXT) | instid1(VALU_DEP_1)
	v_add_nc_u32_e32 v18, -1, v20
	v_cndmask_b32_e64 v16, 0, v18, s7
	v_lshrrev_b32_e32 v18, 23, v19
	s_mov_b32 s7, exec_lo
	s_delay_alu instid0(VALU_DEP_2) | instskip(NEXT) | instid1(VALU_DEP_2)
	v_add_nc_u32_e32 v16, v16, v19
	v_xor_b32_e32 v18, 1, v18
	s_delay_alu instid0(VALU_DEP_2) | instskip(NEXT) | instid1(VALU_DEP_1)
	v_and_b32_e32 v15, 0xfffff, v16
	v_add_nc_u32_e32 v16, v15, v19
                                        ; implicit-def: $vgpr15
	s_delay_alu instid0(VALU_DEP_3)
	v_cmpx_ne_u32_e64 v17, v18
	s_xor_b32 s7, exec_lo, s7
; %bb.4931:                             ;   in Loop: Header=BB6_4903 Depth=2
	s_delay_alu instid0(VALU_DEP_2) | instskip(SKIP_2) | instid1(VALU_DEP_2)
	v_cmp_lt_u32_e32 vcc_lo, 0xffffff, v16
	v_sub_nc_u32_e32 v15, v17, v18
	v_cndmask_b32_e64 v17, 0, 1, vcc_lo
	v_add_co_ci_u32_e32 v15, vcc_lo, 0, v15, vcc_lo
	s_delay_alu instid0(VALU_DEP_2)
	v_lshrrev_b32_e32 v16, v17, v16
; %bb.4932:                             ;   in Loop: Header=BB6_4903 Depth=2
	s_and_not1_saveexec_b32 s7, s7
; %bb.4933:                             ;   in Loop: Header=BB6_4903 Depth=2
	s_delay_alu instid0(VALU_DEP_1)
	v_bfe_u32 v15, v16, 23, 1
; %bb.4934:                             ;   in Loop: Header=BB6_4903 Depth=2
	s_or_b32 exec_lo, exec_lo, s7
	v_lshrrev_b32_e32 v16, 20, v16
	s_delay_alu instid0(VALU_DEP_2) | instskip(SKIP_2) | instid1(VALU_DEP_2)
	v_cmp_gt_i32_e32 vcc_lo, 16, v15
	v_min_i32_e32 v17, 15, v15
	v_lshrrev_b32_e32 v14, 24, v14
	v_dual_cndmask_b32 v16, 7, v16 :: v_dual_lshlrev_b32 v17, 3, v17
	s_delay_alu instid0(VALU_DEP_2) | instskip(NEXT) | instid1(VALU_DEP_2)
	v_and_b32_e32 v14, 0x80, v14
	v_or_b32_e32 v15, v15, v16
	s_delay_alu instid0(VALU_DEP_1) | instskip(SKIP_1) | instid1(VALU_DEP_1)
	v_cmp_ne_u32_e32 vcc_lo, 0, v15
	v_and_b32_e32 v18, 7, v16
	v_or3_b32 v14, v17, v14, v18
	s_delay_alu instid0(VALU_DEP_1)
	v_cndmask_b32_e32 v115, 0, v14, vcc_lo
.LBB6_4935:                             ;   in Loop: Header=BB6_4903 Depth=2
	s_or_b32 exec_lo, exec_lo, s25
.LBB6_4936:                             ;   in Loop: Header=BB6_4903 Depth=2
	s_delay_alu instid0(SALU_CYCLE_1) | instskip(SKIP_3) | instid1(VALU_DEP_1)
	s_or_b32 exec_lo, exec_lo, s24
	v_lshrrev_b32_e32 v14, 16, v10
	s_mov_b32 s7, 0
	s_mov_b32 s25, exec_lo
                                        ; implicit-def: $sgpr24
	v_and_b32_e32 v16, 0xff, v14
	s_delay_alu instid0(VALU_DEP_1)
	v_cmpx_lt_i16_e32 0x7f, v16
	s_xor_b32 s25, exec_lo, s25
	s_cbranch_execnz .LBB6_6710
; %bb.4937:                             ;   in Loop: Header=BB6_4903 Depth=2
	s_or_saveexec_b32 s25, s25
	v_mov_b32_e32 v15, s24
	s_xor_b32 exec_lo, exec_lo, s25
	s_cbranch_execnz .LBB6_6713
.LBB6_4938:                             ;   in Loop: Header=BB6_4903 Depth=2
	s_or_b32 exec_lo, exec_lo, s25
	s_and_saveexec_b32 s24, s7
	s_cbranch_execz .LBB6_4940
.LBB6_4939:                             ;   in Loop: Header=BB6_4903 Depth=2
	v_bfe_u32 v15, v10, 16, 3
	v_lshlrev_b32_e32 v18, 8, v10
	s_delay_alu instid0(VALU_DEP_2) | instskip(NEXT) | instid1(VALU_DEP_1)
	v_clz_i32_u32_e32 v16, v15
	v_min_u32_e32 v16, 32, v16
	s_delay_alu instid0(VALU_DEP_1) | instskip(SKIP_1) | instid1(VALU_DEP_2)
	v_subrev_nc_u32_e32 v17, 28, v16
	v_sub_nc_u32_e32 v16, 29, v16
	v_lshlrev_b32_e32 v14, v17, v14
	v_bfe_u32 v17, v10, 19, 4
	s_delay_alu instid0(VALU_DEP_2) | instskip(NEXT) | instid1(VALU_DEP_2)
	v_and_b32_e32 v14, 7, v14
	v_cmp_eq_u32_e32 vcc_lo, 0, v17
	v_cndmask_b32_e32 v16, v17, v16, vcc_lo
	s_delay_alu instid0(VALU_DEP_3) | instskip(SKIP_1) | instid1(VALU_DEP_3)
	v_cndmask_b32_e32 v14, v15, v14, vcc_lo
	v_and_b32_e32 v15, 0x80000000, v18
	v_lshl_add_u32 v16, v16, 23, 0x3b800000
	s_delay_alu instid0(VALU_DEP_3) | instskip(NEXT) | instid1(VALU_DEP_1)
	v_lshlrev_b32_e32 v14, 20, v14
	v_or3_b32 v15, v15, v16, v14
.LBB6_4940:                             ;   in Loop: Header=BB6_4903 Depth=2
	s_or_b32 exec_lo, exec_lo, s24
	s_delay_alu instid0(VALU_DEP_1) | instskip(SKIP_2) | instid1(VALU_DEP_2)
	v_mul_f32_e32 v14, s23, v15
	v_mov_b32_e32 v130, 0x80
	s_mov_b32 s24, exec_lo
	v_and_b32_e32 v15, 0x7f800000, v14
	s_delay_alu instid0(VALU_DEP_1)
	v_cmpx_ne_u32_e32 0x7f800000, v15
	s_cbranch_execz .LBB6_4948
; %bb.4941:                             ;   in Loop: Header=BB6_4903 Depth=2
	v_mov_b32_e32 v130, 0
	s_mov_b32 s25, exec_lo
	v_cmpx_ne_u32_e32 0, v14
	s_cbranch_execz .LBB6_4947
; %bb.4942:                             ;   in Loop: Header=BB6_4903 Depth=2
	v_bfe_u32 v15, v14, 23, 8
	s_delay_alu instid0(VALU_DEP_1) | instskip(SKIP_1) | instid1(VALU_DEP_2)
	v_sub_nc_u32_e32 v17, 0x78, v15
	v_cmp_gt_u32_e32 vcc_lo, 0x79, v15
	v_dual_cndmask_b32 v17, 0, v17 :: v_dual_and_b32 v16, 0x7fffff, v14
	s_delay_alu instid0(VALU_DEP_1) | instskip(SKIP_2) | instid1(VALU_DEP_4)
	v_or_b32_e32 v18, 0x800000, v16
	v_cmp_eq_u32_e32 vcc_lo, 0, v15
	v_add_nc_u32_e32 v15, 0xffffff89, v15
	v_cndmask_b32_e64 v17, v17, 0x77, vcc_lo
	s_delay_alu instid0(VALU_DEP_4) | instskip(NEXT) | instid1(VALU_DEP_3)
	v_cndmask_b32_e32 v16, v18, v16, vcc_lo
	v_cndmask_b32_e64 v15, v15, 0xffffff8a, vcc_lo
	s_delay_alu instid0(VALU_DEP_3) | instskip(NEXT) | instid1(VALU_DEP_3)
	v_lshl_add_u32 v18, 0x100000, v17, -1
	v_lshrrev_b32_e32 v19, v17, v16
	v_lshlrev_b32_e64 v21, v17, 0x80000
	s_delay_alu instid0(VALU_DEP_4) | instskip(NEXT) | instid1(VALU_DEP_4)
	v_add_nc_u32_e32 v17, v17, v15
	v_and_b32_e32 v16, v18, v16
	s_delay_alu instid0(VALU_DEP_4) | instskip(NEXT) | instid1(VALU_DEP_2)
	v_bfe_u32 v20, v19, 20, 1
	v_cmp_eq_u32_e64 s7, v16, v21
	s_delay_alu instid0(VALU_DEP_2) | instskip(NEXT) | instid1(VALU_DEP_1)
	v_add_nc_u32_e32 v18, -1, v20
	v_cndmask_b32_e64 v16, 0, v18, s7
	v_lshrrev_b32_e32 v18, 23, v19
	s_mov_b32 s7, exec_lo
	s_delay_alu instid0(VALU_DEP_2) | instskip(NEXT) | instid1(VALU_DEP_2)
	v_add_nc_u32_e32 v16, v16, v19
	v_xor_b32_e32 v18, 1, v18
	s_delay_alu instid0(VALU_DEP_2) | instskip(NEXT) | instid1(VALU_DEP_1)
	v_and_b32_e32 v15, 0xfffff, v16
	v_add_nc_u32_e32 v16, v15, v19
                                        ; implicit-def: $vgpr15
	s_delay_alu instid0(VALU_DEP_3)
	v_cmpx_ne_u32_e64 v17, v18
	s_xor_b32 s7, exec_lo, s7
; %bb.4943:                             ;   in Loop: Header=BB6_4903 Depth=2
	s_delay_alu instid0(VALU_DEP_2) | instskip(SKIP_2) | instid1(VALU_DEP_2)
	v_cmp_lt_u32_e32 vcc_lo, 0xffffff, v16
	v_sub_nc_u32_e32 v15, v17, v18
	v_cndmask_b32_e64 v17, 0, 1, vcc_lo
	v_add_co_ci_u32_e32 v15, vcc_lo, 0, v15, vcc_lo
	s_delay_alu instid0(VALU_DEP_2)
	v_lshrrev_b32_e32 v16, v17, v16
; %bb.4944:                             ;   in Loop: Header=BB6_4903 Depth=2
	s_and_not1_saveexec_b32 s7, s7
; %bb.4945:                             ;   in Loop: Header=BB6_4903 Depth=2
	s_delay_alu instid0(VALU_DEP_1)
	v_bfe_u32 v15, v16, 23, 1
; %bb.4946:                             ;   in Loop: Header=BB6_4903 Depth=2
	s_or_b32 exec_lo, exec_lo, s7
	v_lshrrev_b32_e32 v16, 20, v16
	s_delay_alu instid0(VALU_DEP_2) | instskip(SKIP_2) | instid1(VALU_DEP_4)
	v_cmp_gt_i32_e32 vcc_lo, 16, v15
	v_lshrrev_b32_e32 v14, 24, v14
	v_min_i32_e32 v17, 15, v15
	v_cndmask_b32_e32 v16, 7, v16, vcc_lo
	s_delay_alu instid0(VALU_DEP_3) | instskip(NEXT) | instid1(VALU_DEP_3)
	v_and_b32_e32 v14, 0x80, v14
	v_lshlrev_b32_e32 v17, 3, v17
	s_delay_alu instid0(VALU_DEP_3) | instskip(SKIP_1) | instid1(VALU_DEP_2)
	v_and_b32_e32 v18, 7, v16
	v_or_b32_e32 v15, v15, v16
	v_or3_b32 v14, v17, v14, v18
	s_delay_alu instid0(VALU_DEP_2) | instskip(NEXT) | instid1(VALU_DEP_2)
	v_cmp_ne_u32_e32 vcc_lo, 0, v15
	v_cndmask_b32_e32 v130, 0, v14, vcc_lo
.LBB6_4947:                             ;   in Loop: Header=BB6_4903 Depth=2
	s_or_b32 exec_lo, exec_lo, s25
.LBB6_4948:                             ;   in Loop: Header=BB6_4903 Depth=2
	s_delay_alu instid0(SALU_CYCLE_1) | instskip(SKIP_3) | instid1(VALU_DEP_1)
	s_or_b32 exec_lo, exec_lo, s24
	v_lshrrev_b32_e32 v14, 24, v10
	s_mov_b32 s7, 0
	s_mov_b32 s25, exec_lo
                                        ; implicit-def: $sgpr24
	v_cmpx_lt_i16_e32 0x7f, v14
	s_xor_b32 s25, exec_lo, s25
	s_cbranch_execnz .LBB6_6714
; %bb.4949:                             ;   in Loop: Header=BB6_4903 Depth=2
	s_or_saveexec_b32 s25, s25
	v_mov_b32_e32 v15, s24
	s_xor_b32 exec_lo, exec_lo, s25
	s_cbranch_execnz .LBB6_6717
.LBB6_4950:                             ;   in Loop: Header=BB6_4903 Depth=2
	s_or_b32 exec_lo, exec_lo, s25
	s_and_saveexec_b32 s24, s7
	s_cbranch_execz .LBB6_4952
.LBB6_4951:                             ;   in Loop: Header=BB6_4903 Depth=2
	v_bfe_u32 v15, v10, 24, 3
	s_delay_alu instid0(VALU_DEP_1) | instskip(NEXT) | instid1(VALU_DEP_1)
	v_clz_i32_u32_e32 v16, v15
	v_min_u32_e32 v16, 32, v16
	s_delay_alu instid0(VALU_DEP_1) | instskip(SKIP_1) | instid1(VALU_DEP_2)
	v_subrev_nc_u32_e32 v17, 28, v16
	v_sub_nc_u32_e32 v16, 29, v16
	v_lshlrev_b32_e32 v14, v17, v14
	v_bfe_u32 v17, v10, 27, 4
	v_and_b32_e32 v10, 0x80000000, v10
	s_delay_alu instid0(VALU_DEP_3) | instskip(NEXT) | instid1(VALU_DEP_3)
	v_and_b32_e32 v14, 7, v14
	v_cmp_eq_u32_e32 vcc_lo, 0, v17
	v_cndmask_b32_e32 v16, v17, v16, vcc_lo
	s_delay_alu instid0(VALU_DEP_3) | instskip(NEXT) | instid1(VALU_DEP_2)
	v_cndmask_b32_e32 v14, v15, v14, vcc_lo
	v_lshl_add_u32 v15, v16, 23, 0x3b800000
	s_delay_alu instid0(VALU_DEP_2) | instskip(NEXT) | instid1(VALU_DEP_1)
	v_lshlrev_b32_e32 v14, 20, v14
	v_or3_b32 v15, v10, v15, v14
.LBB6_4952:                             ;   in Loop: Header=BB6_4903 Depth=2
	s_or_b32 exec_lo, exec_lo, s24
	s_delay_alu instid0(VALU_DEP_1) | instskip(SKIP_1) | instid1(VALU_DEP_1)
	v_dual_mul_f32 v10, s23, v15 :: v_dual_mov_b32 v149, 0x80
	s_mov_b32 s24, exec_lo
	v_and_b32_e32 v14, 0x7f800000, v10
	s_delay_alu instid0(VALU_DEP_1)
	v_cmpx_ne_u32_e32 0x7f800000, v14
	s_cbranch_execz .LBB6_4960
; %bb.4953:                             ;   in Loop: Header=BB6_4903 Depth=2
	v_mov_b32_e32 v149, 0
	s_mov_b32 s25, exec_lo
	v_cmpx_ne_u32_e32 0, v10
	s_cbranch_execz .LBB6_4959
; %bb.4954:                             ;   in Loop: Header=BB6_4903 Depth=2
	v_bfe_u32 v14, v10, 23, 8
	s_delay_alu instid0(VALU_DEP_1) | instskip(SKIP_1) | instid1(VALU_DEP_2)
	v_sub_nc_u32_e32 v16, 0x78, v14
	v_cmp_gt_u32_e32 vcc_lo, 0x79, v14
	v_dual_cndmask_b32 v16, 0, v16 :: v_dual_and_b32 v15, 0x7fffff, v10
	s_delay_alu instid0(VALU_DEP_1) | instskip(SKIP_2) | instid1(VALU_DEP_4)
	v_or_b32_e32 v17, 0x800000, v15
	v_cmp_eq_u32_e32 vcc_lo, 0, v14
	v_add_nc_u32_e32 v14, 0xffffff89, v14
	v_cndmask_b32_e64 v16, v16, 0x77, vcc_lo
	s_delay_alu instid0(VALU_DEP_4) | instskip(NEXT) | instid1(VALU_DEP_3)
	v_cndmask_b32_e32 v15, v17, v15, vcc_lo
	v_cndmask_b32_e64 v14, v14, 0xffffff8a, vcc_lo
	s_delay_alu instid0(VALU_DEP_3) | instskip(NEXT) | instid1(VALU_DEP_3)
	v_lshl_add_u32 v17, 0x100000, v16, -1
	v_lshrrev_b32_e32 v18, v16, v15
	v_lshlrev_b32_e64 v20, v16, 0x80000
	s_delay_alu instid0(VALU_DEP_4) | instskip(NEXT) | instid1(VALU_DEP_4)
	v_add_nc_u32_e32 v16, v16, v14
	v_and_b32_e32 v15, v17, v15
	s_delay_alu instid0(VALU_DEP_4) | instskip(NEXT) | instid1(VALU_DEP_2)
	v_bfe_u32 v19, v18, 20, 1
	v_cmp_eq_u32_e64 s7, v15, v20
	s_delay_alu instid0(VALU_DEP_2) | instskip(NEXT) | instid1(VALU_DEP_1)
	v_add_nc_u32_e32 v17, -1, v19
	v_cndmask_b32_e64 v15, 0, v17, s7
	v_lshrrev_b32_e32 v17, 23, v18
	s_mov_b32 s7, exec_lo
	s_delay_alu instid0(VALU_DEP_2) | instskip(NEXT) | instid1(VALU_DEP_2)
	v_add_nc_u32_e32 v15, v15, v18
	v_xor_b32_e32 v17, 1, v17
	s_delay_alu instid0(VALU_DEP_2) | instskip(NEXT) | instid1(VALU_DEP_1)
	v_and_b32_e32 v14, 0xfffff, v15
	v_add_nc_u32_e32 v15, v14, v18
                                        ; implicit-def: $vgpr14
	s_delay_alu instid0(VALU_DEP_3)
	v_cmpx_ne_u32_e64 v16, v17
	s_xor_b32 s7, exec_lo, s7
; %bb.4955:                             ;   in Loop: Header=BB6_4903 Depth=2
	s_delay_alu instid0(VALU_DEP_2) | instskip(SKIP_2) | instid1(VALU_DEP_2)
	v_cmp_lt_u32_e32 vcc_lo, 0xffffff, v15
	v_sub_nc_u32_e32 v14, v16, v17
	v_cndmask_b32_e64 v16, 0, 1, vcc_lo
	v_add_co_ci_u32_e32 v14, vcc_lo, 0, v14, vcc_lo
	s_delay_alu instid0(VALU_DEP_2)
	v_lshrrev_b32_e32 v15, v16, v15
; %bb.4956:                             ;   in Loop: Header=BB6_4903 Depth=2
	s_and_not1_saveexec_b32 s7, s7
; %bb.4957:                             ;   in Loop: Header=BB6_4903 Depth=2
	s_delay_alu instid0(VALU_DEP_1)
	v_bfe_u32 v14, v15, 23, 1
; %bb.4958:                             ;   in Loop: Header=BB6_4903 Depth=2
	s_or_b32 exec_lo, exec_lo, s7
	v_lshrrev_b32_e32 v15, 20, v15
	s_delay_alu instid0(VALU_DEP_2) | instskip(SKIP_2) | instid1(VALU_DEP_2)
	v_cmp_gt_i32_e32 vcc_lo, 16, v14
	v_lshrrev_b32_e32 v10, 24, v10
	v_min_i32_e32 v16, 15, v14
	v_dual_cndmask_b32 v15, 7, v15 :: v_dual_and_b32 v10, 0x80, v10
	s_delay_alu instid0(VALU_DEP_1) | instskip(SKIP_1) | instid1(VALU_DEP_2)
	v_or_b32_e32 v14, v14, v15
	v_and_b32_e32 v17, 7, v15
	v_cmp_ne_u32_e32 vcc_lo, 0, v14
	v_lshlrev_b32_e32 v16, 3, v16
	s_delay_alu instid0(VALU_DEP_1) | instskip(NEXT) | instid1(VALU_DEP_1)
	v_or3_b32 v10, v16, v10, v17
	v_cndmask_b32_e32 v149, 0, v10, vcc_lo
.LBB6_4959:                             ;   in Loop: Header=BB6_4903 Depth=2
	s_or_b32 exec_lo, exec_lo, s25
.LBB6_4960:                             ;   in Loop: Header=BB6_4903 Depth=2
	s_delay_alu instid0(SALU_CYCLE_1) | instskip(SKIP_3) | instid1(VALU_DEP_1)
	s_or_b32 exec_lo, exec_lo, s24
	v_and_b32_e32 v14, 0xff, v11
	s_mov_b32 s7, 0
	s_mov_b32 s25, exec_lo
                                        ; implicit-def: $sgpr24
	v_cmpx_lt_i16_e32 0x7f, v14
	s_xor_b32 s25, exec_lo, s25
	s_cbranch_execnz .LBB6_6718
; %bb.4961:                             ;   in Loop: Header=BB6_4903 Depth=2
	s_or_saveexec_b32 s25, s25
	v_mov_b32_e32 v10, s24
	s_xor_b32 exec_lo, exec_lo, s25
	s_cbranch_execnz .LBB6_6721
.LBB6_4962:                             ;   in Loop: Header=BB6_4903 Depth=2
	s_or_b32 exec_lo, exec_lo, s25
	s_and_saveexec_b32 s24, s7
	s_cbranch_execz .LBB6_4964
.LBB6_4963:                             ;   in Loop: Header=BB6_4903 Depth=2
	v_and_b32_e32 v10, 7, v11
	v_bfe_u32 v16, v11, 3, 4
	v_lshlrev_b32_e32 v17, 24, v11
	s_delay_alu instid0(VALU_DEP_3) | instskip(NEXT) | instid1(VALU_DEP_3)
	v_clz_i32_u32_e32 v14, v10
	v_cmp_eq_u32_e32 vcc_lo, 0, v16
	s_delay_alu instid0(VALU_DEP_2) | instskip(NEXT) | instid1(VALU_DEP_1)
	v_min_u32_e32 v14, 32, v14
	v_subrev_nc_u32_e32 v15, 28, v14
	v_sub_nc_u32_e32 v14, 29, v14
	s_delay_alu instid0(VALU_DEP_1) | instskip(NEXT) | instid1(VALU_DEP_1)
	v_dual_cndmask_b32 v14, v16, v14 :: v_dual_lshlrev_b32 v15, v15, v11
	v_and_b32_e32 v15, 7, v15
	s_delay_alu instid0(VALU_DEP_2) | instskip(NEXT) | instid1(VALU_DEP_2)
	v_lshl_add_u32 v14, v14, 23, 0x3b800000
	v_dual_cndmask_b32 v10, v10, v15 :: v_dual_and_b32 v15, 0x80000000, v17
	s_delay_alu instid0(VALU_DEP_1) | instskip(NEXT) | instid1(VALU_DEP_1)
	v_lshlrev_b32_e32 v10, 20, v10
	v_or3_b32 v10, v15, v14, v10
.LBB6_4964:                             ;   in Loop: Header=BB6_4903 Depth=2
	s_or_b32 exec_lo, exec_lo, s24
	s_delay_alu instid0(VALU_DEP_1) | instskip(SKIP_1) | instid1(VALU_DEP_1)
	v_dual_mul_f32 v10, s23, v10 :: v_dual_mov_b32 v145, 0x80
	s_mov_b32 s24, exec_lo
	v_and_b32_e32 v14, 0x7f800000, v10
	s_delay_alu instid0(VALU_DEP_1)
	v_cmpx_ne_u32_e32 0x7f800000, v14
	s_cbranch_execz .LBB6_4972
; %bb.4965:                             ;   in Loop: Header=BB6_4903 Depth=2
	v_mov_b32_e32 v145, 0
	s_mov_b32 s25, exec_lo
	v_cmpx_ne_u32_e32 0, v10
	s_cbranch_execz .LBB6_4971
; %bb.4966:                             ;   in Loop: Header=BB6_4903 Depth=2
	v_bfe_u32 v14, v10, 23, 8
	s_delay_alu instid0(VALU_DEP_1) | instskip(SKIP_1) | instid1(VALU_DEP_2)
	v_sub_nc_u32_e32 v16, 0x78, v14
	v_cmp_gt_u32_e32 vcc_lo, 0x79, v14
	v_dual_cndmask_b32 v16, 0, v16 :: v_dual_and_b32 v15, 0x7fffff, v10
	s_delay_alu instid0(VALU_DEP_1) | instskip(SKIP_2) | instid1(VALU_DEP_4)
	v_or_b32_e32 v17, 0x800000, v15
	v_cmp_eq_u32_e32 vcc_lo, 0, v14
	v_add_nc_u32_e32 v14, 0xffffff89, v14
	v_cndmask_b32_e64 v16, v16, 0x77, vcc_lo
	s_delay_alu instid0(VALU_DEP_4) | instskip(NEXT) | instid1(VALU_DEP_3)
	v_cndmask_b32_e32 v15, v17, v15, vcc_lo
	v_cndmask_b32_e64 v14, v14, 0xffffff8a, vcc_lo
	s_delay_alu instid0(VALU_DEP_3) | instskip(NEXT) | instid1(VALU_DEP_3)
	v_lshl_add_u32 v17, 0x100000, v16, -1
	v_lshrrev_b32_e32 v18, v16, v15
	v_lshlrev_b32_e64 v20, v16, 0x80000
	s_delay_alu instid0(VALU_DEP_4) | instskip(NEXT) | instid1(VALU_DEP_4)
	v_add_nc_u32_e32 v16, v16, v14
	v_and_b32_e32 v15, v17, v15
	s_delay_alu instid0(VALU_DEP_4) | instskip(NEXT) | instid1(VALU_DEP_2)
	v_bfe_u32 v19, v18, 20, 1
	v_cmp_eq_u32_e64 s7, v15, v20
	s_delay_alu instid0(VALU_DEP_2) | instskip(NEXT) | instid1(VALU_DEP_1)
	v_add_nc_u32_e32 v17, -1, v19
	v_cndmask_b32_e64 v15, 0, v17, s7
	v_lshrrev_b32_e32 v17, 23, v18
	s_mov_b32 s7, exec_lo
	s_delay_alu instid0(VALU_DEP_2) | instskip(NEXT) | instid1(VALU_DEP_2)
	v_add_nc_u32_e32 v15, v15, v18
	v_xor_b32_e32 v17, 1, v17
	s_delay_alu instid0(VALU_DEP_2) | instskip(NEXT) | instid1(VALU_DEP_1)
	v_and_b32_e32 v14, 0xfffff, v15
	v_add_nc_u32_e32 v15, v14, v18
                                        ; implicit-def: $vgpr14
	s_delay_alu instid0(VALU_DEP_3)
	v_cmpx_ne_u32_e64 v16, v17
	s_xor_b32 s7, exec_lo, s7
; %bb.4967:                             ;   in Loop: Header=BB6_4903 Depth=2
	s_delay_alu instid0(VALU_DEP_2) | instskip(SKIP_2) | instid1(VALU_DEP_2)
	v_cmp_lt_u32_e32 vcc_lo, 0xffffff, v15
	v_sub_nc_u32_e32 v14, v16, v17
	v_cndmask_b32_e64 v16, 0, 1, vcc_lo
	v_add_co_ci_u32_e32 v14, vcc_lo, 0, v14, vcc_lo
	s_delay_alu instid0(VALU_DEP_2)
	v_lshrrev_b32_e32 v15, v16, v15
; %bb.4968:                             ;   in Loop: Header=BB6_4903 Depth=2
	s_and_not1_saveexec_b32 s7, s7
; %bb.4969:                             ;   in Loop: Header=BB6_4903 Depth=2
	s_delay_alu instid0(VALU_DEP_1)
	v_bfe_u32 v14, v15, 23, 1
; %bb.4970:                             ;   in Loop: Header=BB6_4903 Depth=2
	s_or_b32 exec_lo, exec_lo, s7
	v_lshrrev_b32_e32 v15, 20, v15
	s_delay_alu instid0(VALU_DEP_2) | instskip(SKIP_2) | instid1(VALU_DEP_2)
	v_cmp_gt_i32_e32 vcc_lo, 16, v14
	v_min_i32_e32 v16, 15, v14
	v_lshrrev_b32_e32 v10, 24, v10
	v_dual_cndmask_b32 v15, 7, v15 :: v_dual_lshlrev_b32 v16, 3, v16
	s_delay_alu instid0(VALU_DEP_2) | instskip(NEXT) | instid1(VALU_DEP_2)
	v_and_b32_e32 v10, 0x80, v10
	v_or_b32_e32 v14, v14, v15
	v_and_b32_e32 v17, 7, v15
	s_delay_alu instid0(VALU_DEP_2) | instskip(SKIP_1) | instid1(VALU_DEP_1)
	v_cmp_ne_u32_e32 vcc_lo, 0, v14
	v_and_b32_e32 v16, 0xf8, v16
	v_or3_b32 v10, v16, v10, v17
	s_delay_alu instid0(VALU_DEP_1)
	v_cndmask_b32_e32 v145, 0, v10, vcc_lo
.LBB6_4971:                             ;   in Loop: Header=BB6_4903 Depth=2
	s_or_b32 exec_lo, exec_lo, s25
.LBB6_4972:                             ;   in Loop: Header=BB6_4903 Depth=2
	s_delay_alu instid0(SALU_CYCLE_1) | instskip(SKIP_3) | instid1(VALU_DEP_1)
	s_or_b32 exec_lo, exec_lo, s24
	v_lshrrev_b16 v10, 8, v11
	s_mov_b32 s7, 0
	s_mov_b32 s25, exec_lo
                                        ; implicit-def: $sgpr24
	v_cmpx_lt_i16_e32 0x7f, v10
	s_xor_b32 s25, exec_lo, s25
	s_cbranch_execnz .LBB6_6722
; %bb.4973:                             ;   in Loop: Header=BB6_4903 Depth=2
	s_or_saveexec_b32 s25, s25
	v_mov_b32_e32 v14, s24
	s_xor_b32 exec_lo, exec_lo, s25
	s_cbranch_execnz .LBB6_6725
.LBB6_4974:                             ;   in Loop: Header=BB6_4903 Depth=2
	s_or_b32 exec_lo, exec_lo, s25
	s_and_saveexec_b32 s24, s7
	s_cbranch_execz .LBB6_4976
.LBB6_4975:                             ;   in Loop: Header=BB6_4903 Depth=2
	v_and_b32_e32 v14, 0xffff, v10
	v_lshlrev_b32_e32 v10, 24, v10
	s_delay_alu instid0(VALU_DEP_2) | instskip(NEXT) | instid1(VALU_DEP_2)
	v_and_b32_e32 v15, 7, v14
	v_and_b32_e32 v10, 0x80000000, v10
	s_delay_alu instid0(VALU_DEP_2) | instskip(NEXT) | instid1(VALU_DEP_1)
	v_clz_i32_u32_e32 v16, v15
	v_min_u32_e32 v16, 32, v16
	s_delay_alu instid0(VALU_DEP_1) | instskip(SKIP_1) | instid1(VALU_DEP_2)
	v_subrev_nc_u32_e32 v17, 28, v16
	v_sub_nc_u32_e32 v16, 29, v16
	v_lshlrev_b32_e32 v17, v17, v14
	v_bfe_u32 v14, v14, 3, 4
	s_delay_alu instid0(VALU_DEP_2) | instskip(NEXT) | instid1(VALU_DEP_2)
	v_and_b32_e32 v17, 7, v17
	v_cmp_eq_u32_e32 vcc_lo, 0, v14
	s_delay_alu instid0(VALU_DEP_2) | instskip(NEXT) | instid1(VALU_DEP_1)
	v_dual_cndmask_b32 v14, v14, v16 :: v_dual_cndmask_b32 v15, v15, v17
	v_lshl_add_u32 v14, v14, 23, 0x3b800000
	s_delay_alu instid0(VALU_DEP_2) | instskip(NEXT) | instid1(VALU_DEP_1)
	v_lshlrev_b32_e32 v15, 20, v15
	v_or3_b32 v14, v10, v14, v15
.LBB6_4976:                             ;   in Loop: Header=BB6_4903 Depth=2
	s_or_b32 exec_lo, exec_lo, s24
	s_delay_alu instid0(VALU_DEP_1) | instskip(SKIP_2) | instid1(VALU_DEP_2)
	v_mul_f32_e32 v10, s23, v14
	v_mov_b32_e32 v88, 0x8000
	s_mov_b32 s24, exec_lo
	v_and_b32_e32 v14, 0x7f800000, v10
	s_delay_alu instid0(VALU_DEP_1)
	v_cmpx_ne_u32_e32 0x7f800000, v14
	s_cbranch_execz .LBB6_4984
; %bb.4977:                             ;   in Loop: Header=BB6_4903 Depth=2
	v_mov_b32_e32 v88, 0
	s_mov_b32 s25, exec_lo
	v_cmpx_ne_u32_e32 0, v10
	s_cbranch_execz .LBB6_4983
; %bb.4978:                             ;   in Loop: Header=BB6_4903 Depth=2
	v_bfe_u32 v14, v10, 23, 8
	s_delay_alu instid0(VALU_DEP_1) | instskip(SKIP_1) | instid1(VALU_DEP_2)
	v_sub_nc_u32_e32 v16, 0x78, v14
	v_cmp_gt_u32_e32 vcc_lo, 0x79, v14
	v_dual_cndmask_b32 v16, 0, v16 :: v_dual_and_b32 v15, 0x7fffff, v10
	s_delay_alu instid0(VALU_DEP_1) | instskip(SKIP_2) | instid1(VALU_DEP_4)
	v_or_b32_e32 v17, 0x800000, v15
	v_cmp_eq_u32_e32 vcc_lo, 0, v14
	v_add_nc_u32_e32 v14, 0xffffff89, v14
	v_cndmask_b32_e64 v16, v16, 0x77, vcc_lo
	s_delay_alu instid0(VALU_DEP_4) | instskip(NEXT) | instid1(VALU_DEP_3)
	v_cndmask_b32_e32 v15, v17, v15, vcc_lo
	v_cndmask_b32_e64 v14, v14, 0xffffff8a, vcc_lo
	s_delay_alu instid0(VALU_DEP_3) | instskip(NEXT) | instid1(VALU_DEP_3)
	v_lshl_add_u32 v17, 0x100000, v16, -1
	v_lshrrev_b32_e32 v18, v16, v15
	v_lshlrev_b32_e64 v20, v16, 0x80000
	s_delay_alu instid0(VALU_DEP_4) | instskip(NEXT) | instid1(VALU_DEP_4)
	v_add_nc_u32_e32 v16, v16, v14
	v_and_b32_e32 v15, v17, v15
	s_delay_alu instid0(VALU_DEP_4) | instskip(NEXT) | instid1(VALU_DEP_2)
	v_bfe_u32 v19, v18, 20, 1
	v_cmp_eq_u32_e64 s7, v15, v20
	s_delay_alu instid0(VALU_DEP_2) | instskip(NEXT) | instid1(VALU_DEP_1)
	v_add_nc_u32_e32 v17, -1, v19
	v_cndmask_b32_e64 v15, 0, v17, s7
	v_lshrrev_b32_e32 v17, 23, v18
	s_mov_b32 s7, exec_lo
	s_delay_alu instid0(VALU_DEP_2) | instskip(NEXT) | instid1(VALU_DEP_2)
	v_add_nc_u32_e32 v15, v15, v18
	v_xor_b32_e32 v17, 1, v17
	s_delay_alu instid0(VALU_DEP_2) | instskip(NEXT) | instid1(VALU_DEP_1)
	v_and_b32_e32 v14, 0xfffff, v15
	v_add_nc_u32_e32 v15, v14, v18
                                        ; implicit-def: $vgpr14
	s_delay_alu instid0(VALU_DEP_3)
	v_cmpx_ne_u32_e64 v16, v17
	s_xor_b32 s7, exec_lo, s7
; %bb.4979:                             ;   in Loop: Header=BB6_4903 Depth=2
	s_delay_alu instid0(VALU_DEP_2) | instskip(SKIP_2) | instid1(VALU_DEP_2)
	v_cmp_lt_u32_e32 vcc_lo, 0xffffff, v15
	v_sub_nc_u32_e32 v14, v16, v17
	v_cndmask_b32_e64 v16, 0, 1, vcc_lo
	v_add_co_ci_u32_e32 v14, vcc_lo, 0, v14, vcc_lo
	s_delay_alu instid0(VALU_DEP_2)
	v_lshrrev_b32_e32 v15, v16, v15
; %bb.4980:                             ;   in Loop: Header=BB6_4903 Depth=2
	s_and_not1_saveexec_b32 s7, s7
; %bb.4981:                             ;   in Loop: Header=BB6_4903 Depth=2
	s_delay_alu instid0(VALU_DEP_1)
	v_bfe_u32 v14, v15, 23, 1
; %bb.4982:                             ;   in Loop: Header=BB6_4903 Depth=2
	s_or_b32 exec_lo, exec_lo, s7
	v_lshrrev_b32_e32 v15, 20, v15
	s_delay_alu instid0(VALU_DEP_2) | instskip(SKIP_2) | instid1(VALU_DEP_2)
	v_cmp_gt_i32_e32 vcc_lo, 16, v14
	v_min_i32_e32 v16, 15, v14
	v_lshrrev_b32_e32 v10, 24, v10
	v_dual_cndmask_b32 v15, 7, v15 :: v_dual_lshlrev_b32 v16, 3, v16
	s_delay_alu instid0(VALU_DEP_2) | instskip(NEXT) | instid1(VALU_DEP_2)
	v_and_b32_e32 v10, 0x80, v10
	v_or_b32_e32 v14, v14, v15
	s_delay_alu instid0(VALU_DEP_3) | instskip(NEXT) | instid1(VALU_DEP_2)
	v_and_b32_e32 v16, 0xf8, v16
	v_cmp_ne_u32_e32 vcc_lo, 0, v14
	v_and_b32_e32 v17, 7, v15
	s_delay_alu instid0(VALU_DEP_1) | instskip(NEXT) | instid1(VALU_DEP_1)
	v_or3_b32 v10, v10, v16, v17
	v_lshlrev_b32_e32 v10, 8, v10
	s_delay_alu instid0(VALU_DEP_1)
	v_cndmask_b32_e32 v88, 0, v10, vcc_lo
.LBB6_4983:                             ;   in Loop: Header=BB6_4903 Depth=2
	s_or_b32 exec_lo, exec_lo, s25
.LBB6_4984:                             ;   in Loop: Header=BB6_4903 Depth=2
	s_delay_alu instid0(SALU_CYCLE_1) | instskip(SKIP_3) | instid1(VALU_DEP_1)
	s_or_b32 exec_lo, exec_lo, s24
	v_lshrrev_b32_e32 v10, 16, v11
	s_mov_b32 s7, 0
	s_mov_b32 s25, exec_lo
                                        ; implicit-def: $sgpr24
	v_and_b32_e32 v15, 0xff, v10
	s_delay_alu instid0(VALU_DEP_1)
	v_cmpx_lt_i16_e32 0x7f, v15
	s_xor_b32 s25, exec_lo, s25
	s_cbranch_execnz .LBB6_6726
; %bb.4985:                             ;   in Loop: Header=BB6_4903 Depth=2
	s_or_saveexec_b32 s25, s25
	v_mov_b32_e32 v14, s24
	s_xor_b32 exec_lo, exec_lo, s25
	s_cbranch_execnz .LBB6_6729
.LBB6_4986:                             ;   in Loop: Header=BB6_4903 Depth=2
	s_or_b32 exec_lo, exec_lo, s25
	s_and_saveexec_b32 s24, s7
	s_cbranch_execz .LBB6_4988
.LBB6_4987:                             ;   in Loop: Header=BB6_4903 Depth=2
	v_bfe_u32 v14, v11, 16, 3
	s_delay_alu instid0(VALU_DEP_1) | instskip(NEXT) | instid1(VALU_DEP_1)
	v_clz_i32_u32_e32 v15, v14
	v_min_u32_e32 v15, 32, v15
	s_delay_alu instid0(VALU_DEP_1) | instskip(SKIP_1) | instid1(VALU_DEP_2)
	v_subrev_nc_u32_e32 v16, 28, v15
	v_sub_nc_u32_e32 v15, 29, v15
	v_lshlrev_b32_e32 v10, v16, v10
	v_bfe_u32 v16, v11, 19, 4
	s_delay_alu instid0(VALU_DEP_1) | instskip(NEXT) | instid1(VALU_DEP_3)
	v_cmp_eq_u32_e32 vcc_lo, 0, v16
	v_dual_cndmask_b32 v15, v16, v15 :: v_dual_and_b32 v10, 7, v10
	s_delay_alu instid0(VALU_DEP_1) | instskip(NEXT) | instid1(VALU_DEP_2)
	v_dual_cndmask_b32 v10, v14, v10 :: v_dual_lshlrev_b32 v17, 8, v11
	v_lshl_add_u32 v15, v15, 23, 0x3b800000
	s_delay_alu instid0(VALU_DEP_2) | instskip(NEXT) | instid1(VALU_DEP_3)
	v_and_b32_e32 v14, 0x80000000, v17
	v_lshlrev_b32_e32 v10, 20, v10
	s_delay_alu instid0(VALU_DEP_1)
	v_or3_b32 v14, v14, v15, v10
.LBB6_4988:                             ;   in Loop: Header=BB6_4903 Depth=2
	s_or_b32 exec_lo, exec_lo, s24
	s_delay_alu instid0(VALU_DEP_1) | instskip(SKIP_2) | instid1(VALU_DEP_2)
	v_mul_f32_e32 v10, s23, v14
	v_mov_b32_e32 v162, 0x80
	s_mov_b32 s24, exec_lo
	v_and_b32_e32 v14, 0x7f800000, v10
	s_delay_alu instid0(VALU_DEP_1)
	v_cmpx_ne_u32_e32 0x7f800000, v14
	s_cbranch_execz .LBB6_4996
; %bb.4989:                             ;   in Loop: Header=BB6_4903 Depth=2
	v_mov_b32_e32 v162, 0
	s_mov_b32 s25, exec_lo
	v_cmpx_ne_u32_e32 0, v10
	s_cbranch_execz .LBB6_4995
; %bb.4990:                             ;   in Loop: Header=BB6_4903 Depth=2
	v_bfe_u32 v14, v10, 23, 8
	s_delay_alu instid0(VALU_DEP_1) | instskip(SKIP_1) | instid1(VALU_DEP_2)
	v_sub_nc_u32_e32 v16, 0x78, v14
	v_cmp_gt_u32_e32 vcc_lo, 0x79, v14
	v_dual_cndmask_b32 v16, 0, v16 :: v_dual_and_b32 v15, 0x7fffff, v10
	s_delay_alu instid0(VALU_DEP_1) | instskip(SKIP_2) | instid1(VALU_DEP_4)
	v_or_b32_e32 v17, 0x800000, v15
	v_cmp_eq_u32_e32 vcc_lo, 0, v14
	v_add_nc_u32_e32 v14, 0xffffff89, v14
	v_cndmask_b32_e64 v16, v16, 0x77, vcc_lo
	s_delay_alu instid0(VALU_DEP_4) | instskip(NEXT) | instid1(VALU_DEP_3)
	v_cndmask_b32_e32 v15, v17, v15, vcc_lo
	v_cndmask_b32_e64 v14, v14, 0xffffff8a, vcc_lo
	s_delay_alu instid0(VALU_DEP_3) | instskip(NEXT) | instid1(VALU_DEP_3)
	v_lshl_add_u32 v17, 0x100000, v16, -1
	v_lshrrev_b32_e32 v18, v16, v15
	v_lshlrev_b32_e64 v20, v16, 0x80000
	s_delay_alu instid0(VALU_DEP_4) | instskip(NEXT) | instid1(VALU_DEP_4)
	v_add_nc_u32_e32 v16, v16, v14
	v_and_b32_e32 v15, v17, v15
	s_delay_alu instid0(VALU_DEP_4) | instskip(NEXT) | instid1(VALU_DEP_2)
	v_bfe_u32 v19, v18, 20, 1
	v_cmp_eq_u32_e64 s7, v15, v20
	s_delay_alu instid0(VALU_DEP_2) | instskip(NEXT) | instid1(VALU_DEP_1)
	v_add_nc_u32_e32 v17, -1, v19
	v_cndmask_b32_e64 v15, 0, v17, s7
	v_lshrrev_b32_e32 v17, 23, v18
	s_mov_b32 s7, exec_lo
	s_delay_alu instid0(VALU_DEP_2) | instskip(NEXT) | instid1(VALU_DEP_2)
	v_add_nc_u32_e32 v15, v15, v18
	v_xor_b32_e32 v17, 1, v17
	s_delay_alu instid0(VALU_DEP_2) | instskip(NEXT) | instid1(VALU_DEP_1)
	v_and_b32_e32 v14, 0xfffff, v15
	v_add_nc_u32_e32 v15, v14, v18
                                        ; implicit-def: $vgpr14
	s_delay_alu instid0(VALU_DEP_3)
	v_cmpx_ne_u32_e64 v16, v17
	s_xor_b32 s7, exec_lo, s7
; %bb.4991:                             ;   in Loop: Header=BB6_4903 Depth=2
	s_delay_alu instid0(VALU_DEP_2) | instskip(SKIP_2) | instid1(VALU_DEP_2)
	v_cmp_lt_u32_e32 vcc_lo, 0xffffff, v15
	v_sub_nc_u32_e32 v14, v16, v17
	v_cndmask_b32_e64 v16, 0, 1, vcc_lo
	v_add_co_ci_u32_e32 v14, vcc_lo, 0, v14, vcc_lo
	s_delay_alu instid0(VALU_DEP_2)
	v_lshrrev_b32_e32 v15, v16, v15
; %bb.4992:                             ;   in Loop: Header=BB6_4903 Depth=2
	s_and_not1_saveexec_b32 s7, s7
; %bb.4993:                             ;   in Loop: Header=BB6_4903 Depth=2
	s_delay_alu instid0(VALU_DEP_1)
	v_bfe_u32 v14, v15, 23, 1
; %bb.4994:                             ;   in Loop: Header=BB6_4903 Depth=2
	s_or_b32 exec_lo, exec_lo, s7
	v_lshrrev_b32_e32 v15, 20, v15
	s_delay_alu instid0(VALU_DEP_2) | instskip(SKIP_2) | instid1(VALU_DEP_2)
	v_cmp_gt_i32_e32 vcc_lo, 16, v14
	v_min_i32_e32 v16, 15, v14
	v_lshrrev_b32_e32 v10, 24, v10
	v_dual_cndmask_b32 v15, 7, v15 :: v_dual_lshlrev_b32 v16, 3, v16
	s_delay_alu instid0(VALU_DEP_2) | instskip(NEXT) | instid1(VALU_DEP_2)
	v_and_b32_e32 v10, 0x80, v10
	v_or_b32_e32 v14, v14, v15
	s_delay_alu instid0(VALU_DEP_3) | instskip(NEXT) | instid1(VALU_DEP_2)
	v_and_b32_e32 v16, 0xf8, v16
	v_cmp_ne_u32_e32 vcc_lo, 0, v14
	v_and_b32_e32 v17, 7, v15
	s_delay_alu instid0(VALU_DEP_1) | instskip(NEXT) | instid1(VALU_DEP_1)
	v_or3_b32 v10, v16, v10, v17
	v_cndmask_b32_e32 v162, 0, v10, vcc_lo
.LBB6_4995:                             ;   in Loop: Header=BB6_4903 Depth=2
	s_or_b32 exec_lo, exec_lo, s25
.LBB6_4996:                             ;   in Loop: Header=BB6_4903 Depth=2
	s_delay_alu instid0(SALU_CYCLE_1) | instskip(SKIP_3) | instid1(VALU_DEP_1)
	s_or_b32 exec_lo, exec_lo, s24
	v_lshrrev_b32_e32 v10, 24, v11
	s_mov_b32 s7, 0
	s_mov_b32 s25, exec_lo
                                        ; implicit-def: $sgpr24
	v_cmpx_lt_i16_e32 0x7f, v10
	s_xor_b32 s25, exec_lo, s25
	s_cbranch_execnz .LBB6_6730
; %bb.4997:                             ;   in Loop: Header=BB6_4903 Depth=2
	s_or_saveexec_b32 s25, s25
	v_mov_b32_e32 v14, s24
	s_xor_b32 exec_lo, exec_lo, s25
	s_cbranch_execnz .LBB6_6733
.LBB6_4998:                             ;   in Loop: Header=BB6_4903 Depth=2
	s_or_b32 exec_lo, exec_lo, s25
	s_and_saveexec_b32 s24, s7
	s_cbranch_execz .LBB6_5000
.LBB6_4999:                             ;   in Loop: Header=BB6_4903 Depth=2
	v_bfe_u32 v14, v11, 24, 3
	s_delay_alu instid0(VALU_DEP_1) | instskip(NEXT) | instid1(VALU_DEP_1)
	v_clz_i32_u32_e32 v15, v14
	v_min_u32_e32 v15, 32, v15
	s_delay_alu instid0(VALU_DEP_1) | instskip(SKIP_1) | instid1(VALU_DEP_2)
	v_subrev_nc_u32_e32 v16, 28, v15
	v_sub_nc_u32_e32 v15, 29, v15
	v_lshlrev_b32_e32 v10, v16, v10
	v_bfe_u32 v16, v11, 27, 4
	v_and_b32_e32 v11, 0x80000000, v11
	s_delay_alu instid0(VALU_DEP_2) | instskip(NEXT) | instid1(VALU_DEP_4)
	v_cmp_eq_u32_e32 vcc_lo, 0, v16
	v_dual_cndmask_b32 v15, v16, v15 :: v_dual_and_b32 v10, 7, v10
	s_delay_alu instid0(VALU_DEP_1) | instskip(NEXT) | instid1(VALU_DEP_2)
	v_cndmask_b32_e32 v10, v14, v10, vcc_lo
	v_lshl_add_u32 v14, v15, 23, 0x3b800000
	s_delay_alu instid0(VALU_DEP_2) | instskip(NEXT) | instid1(VALU_DEP_1)
	v_lshlrev_b32_e32 v10, 20, v10
	v_or3_b32 v14, v11, v14, v10
.LBB6_5000:                             ;   in Loop: Header=BB6_4903 Depth=2
	s_or_b32 exec_lo, exec_lo, s24
	s_delay_alu instid0(VALU_DEP_1) | instskip(SKIP_1) | instid1(VALU_DEP_1)
	v_dual_mul_f32 v10, s23, v14 :: v_dual_mov_b32 v79, 0x8000
	s_mov_b32 s24, exec_lo
	v_and_b32_e32 v11, 0x7f800000, v10
	s_delay_alu instid0(VALU_DEP_1)
	v_cmpx_ne_u32_e32 0x7f800000, v11
	s_cbranch_execz .LBB6_5008
; %bb.5001:                             ;   in Loop: Header=BB6_4903 Depth=2
	v_mov_b32_e32 v79, 0
	s_mov_b32 s25, exec_lo
	v_cmpx_ne_u32_e32 0, v10
	s_cbranch_execz .LBB6_5007
; %bb.5002:                             ;   in Loop: Header=BB6_4903 Depth=2
	v_bfe_u32 v11, v10, 23, 8
	s_delay_alu instid0(VALU_DEP_1) | instskip(SKIP_1) | instid1(VALU_DEP_2)
	v_sub_nc_u32_e32 v15, 0x78, v11
	v_cmp_gt_u32_e32 vcc_lo, 0x79, v11
	v_dual_cndmask_b32 v15, 0, v15 :: v_dual_and_b32 v14, 0x7fffff, v10
	s_delay_alu instid0(VALU_DEP_1) | instskip(SKIP_2) | instid1(VALU_DEP_4)
	v_or_b32_e32 v16, 0x800000, v14
	v_cmp_eq_u32_e32 vcc_lo, 0, v11
	v_add_nc_u32_e32 v11, 0xffffff89, v11
	v_cndmask_b32_e64 v15, v15, 0x77, vcc_lo
	s_delay_alu instid0(VALU_DEP_4) | instskip(NEXT) | instid1(VALU_DEP_3)
	v_cndmask_b32_e32 v14, v16, v14, vcc_lo
	v_cndmask_b32_e64 v11, v11, 0xffffff8a, vcc_lo
	s_delay_alu instid0(VALU_DEP_3) | instskip(NEXT) | instid1(VALU_DEP_3)
	v_lshl_add_u32 v16, 0x100000, v15, -1
	v_lshrrev_b32_e32 v17, v15, v14
	v_lshlrev_b32_e64 v19, v15, 0x80000
	s_delay_alu instid0(VALU_DEP_4) | instskip(NEXT) | instid1(VALU_DEP_4)
	v_add_nc_u32_e32 v15, v15, v11
	v_and_b32_e32 v14, v16, v14
	s_delay_alu instid0(VALU_DEP_4) | instskip(NEXT) | instid1(VALU_DEP_2)
	v_bfe_u32 v18, v17, 20, 1
	v_cmp_eq_u32_e64 s7, v14, v19
	s_delay_alu instid0(VALU_DEP_2) | instskip(NEXT) | instid1(VALU_DEP_1)
	v_add_nc_u32_e32 v16, -1, v18
	v_cndmask_b32_e64 v14, 0, v16, s7
	v_lshrrev_b32_e32 v16, 23, v17
	s_mov_b32 s7, exec_lo
	s_delay_alu instid0(VALU_DEP_2) | instskip(NEXT) | instid1(VALU_DEP_2)
	v_add_nc_u32_e32 v14, v14, v17
	v_xor_b32_e32 v16, 1, v16
	s_delay_alu instid0(VALU_DEP_2) | instskip(NEXT) | instid1(VALU_DEP_1)
	v_and_b32_e32 v11, 0xfffff, v14
	v_add_nc_u32_e32 v14, v11, v17
                                        ; implicit-def: $vgpr11
	s_delay_alu instid0(VALU_DEP_3)
	v_cmpx_ne_u32_e64 v15, v16
	s_xor_b32 s7, exec_lo, s7
; %bb.5003:                             ;   in Loop: Header=BB6_4903 Depth=2
	s_delay_alu instid0(VALU_DEP_2) | instskip(SKIP_2) | instid1(VALU_DEP_2)
	v_cmp_lt_u32_e32 vcc_lo, 0xffffff, v14
	v_sub_nc_u32_e32 v11, v15, v16
	v_cndmask_b32_e64 v15, 0, 1, vcc_lo
	v_add_co_ci_u32_e32 v11, vcc_lo, 0, v11, vcc_lo
	s_delay_alu instid0(VALU_DEP_2)
	v_lshrrev_b32_e32 v14, v15, v14
; %bb.5004:                             ;   in Loop: Header=BB6_4903 Depth=2
	s_and_not1_saveexec_b32 s7, s7
; %bb.5005:                             ;   in Loop: Header=BB6_4903 Depth=2
	s_delay_alu instid0(VALU_DEP_1)
	v_bfe_u32 v11, v14, 23, 1
; %bb.5006:                             ;   in Loop: Header=BB6_4903 Depth=2
	s_or_b32 exec_lo, exec_lo, s7
	v_lshrrev_b32_e32 v14, 20, v14
	s_delay_alu instid0(VALU_DEP_2) | instskip(SKIP_2) | instid1(VALU_DEP_3)
	v_min_i32_e32 v15, 15, v11
	v_cmp_gt_i32_e32 vcc_lo, 16, v11
	v_lshrrev_b32_e32 v10, 24, v10
	v_dual_cndmask_b32 v14, 7, v14 :: v_dual_lshlrev_b32 v15, 3, v15
	s_delay_alu instid0(VALU_DEP_2) | instskip(NEXT) | instid1(VALU_DEP_2)
	v_and_b32_e32 v10, 0x80, v10
	v_and_b32_e32 v15, 0xf8, v15
	s_delay_alu instid0(VALU_DEP_3) | instskip(SKIP_1) | instid1(VALU_DEP_2)
	v_and_b32_e32 v16, 7, v14
	v_or_b32_e32 v11, v11, v14
	v_or3_b32 v10, v10, v15, v16
	s_delay_alu instid0(VALU_DEP_2) | instskip(NEXT) | instid1(VALU_DEP_2)
	v_cmp_ne_u32_e32 vcc_lo, 0, v11
	v_lshlrev_b32_e32 v10, 8, v10
	s_delay_alu instid0(VALU_DEP_1)
	v_cndmask_b32_e32 v79, 0, v10, vcc_lo
.LBB6_5007:                             ;   in Loop: Header=BB6_4903 Depth=2
	s_or_b32 exec_lo, exec_lo, s25
.LBB6_5008:                             ;   in Loop: Header=BB6_4903 Depth=2
	s_delay_alu instid0(SALU_CYCLE_1) | instskip(SKIP_3) | instid1(VALU_DEP_1)
	s_or_b32 exec_lo, exec_lo, s24
	v_and_b32_e32 v11, 0xff, v12
	s_mov_b32 s7, 0
	s_mov_b32 s25, exec_lo
                                        ; implicit-def: $sgpr24
	v_cmpx_lt_i16_e32 0x7f, v11
	s_xor_b32 s25, exec_lo, s25
	s_cbranch_execnz .LBB6_6734
; %bb.5009:                             ;   in Loop: Header=BB6_4903 Depth=2
	s_or_saveexec_b32 s25, s25
	v_mov_b32_e32 v10, s24
	s_xor_b32 exec_lo, exec_lo, s25
	s_cbranch_execnz .LBB6_6737
.LBB6_5010:                             ;   in Loop: Header=BB6_4903 Depth=2
	s_or_b32 exec_lo, exec_lo, s25
	s_and_saveexec_b32 s24, s7
	s_cbranch_execz .LBB6_5012
.LBB6_5011:                             ;   in Loop: Header=BB6_4903 Depth=2
	v_bfe_u32 v15, v12, 3, 4
	v_lshlrev_b32_e32 v16, 24, v12
	s_delay_alu instid0(VALU_DEP_2) | instskip(SKIP_1) | instid1(VALU_DEP_1)
	v_cmp_eq_u32_e32 vcc_lo, 0, v15
	v_and_b32_e32 v10, 7, v12
	v_clz_i32_u32_e32 v11, v10
	s_delay_alu instid0(VALU_DEP_1) | instskip(NEXT) | instid1(VALU_DEP_1)
	v_min_u32_e32 v11, 32, v11
	v_subrev_nc_u32_e32 v14, 28, v11
	v_sub_nc_u32_e32 v11, 29, v11
	s_delay_alu instid0(VALU_DEP_1) | instskip(NEXT) | instid1(VALU_DEP_1)
	v_dual_cndmask_b32 v11, v15, v11 :: v_dual_lshlrev_b32 v14, v14, v12
	v_and_b32_e32 v14, 7, v14
	s_delay_alu instid0(VALU_DEP_2) | instskip(NEXT) | instid1(VALU_DEP_2)
	v_lshl_add_u32 v11, v11, 23, 0x3b800000
	v_cndmask_b32_e32 v10, v10, v14, vcc_lo
	v_and_b32_e32 v14, 0x80000000, v16
	s_delay_alu instid0(VALU_DEP_2) | instskip(NEXT) | instid1(VALU_DEP_1)
	v_lshlrev_b32_e32 v10, 20, v10
	v_or3_b32 v10, v14, v11, v10
.LBB6_5012:                             ;   in Loop: Header=BB6_4903 Depth=2
	s_or_b32 exec_lo, exec_lo, s24
	s_delay_alu instid0(VALU_DEP_1) | instskip(SKIP_2) | instid1(VALU_DEP_2)
	v_mul_f32_e32 v10, s23, v10
	v_mov_b32_e32 v176, 0x80
	s_mov_b32 s24, exec_lo
	v_and_b32_e32 v11, 0x7f800000, v10
	s_delay_alu instid0(VALU_DEP_1)
	v_cmpx_ne_u32_e32 0x7f800000, v11
	s_cbranch_execz .LBB6_5020
; %bb.5013:                             ;   in Loop: Header=BB6_4903 Depth=2
	v_mov_b32_e32 v176, 0
	s_mov_b32 s25, exec_lo
	v_cmpx_ne_u32_e32 0, v10
	s_cbranch_execz .LBB6_5019
; %bb.5014:                             ;   in Loop: Header=BB6_4903 Depth=2
	v_bfe_u32 v11, v10, 23, 8
	s_delay_alu instid0(VALU_DEP_1) | instskip(SKIP_1) | instid1(VALU_DEP_2)
	v_sub_nc_u32_e32 v15, 0x78, v11
	v_cmp_gt_u32_e32 vcc_lo, 0x79, v11
	v_dual_cndmask_b32 v15, 0, v15 :: v_dual_and_b32 v14, 0x7fffff, v10
	s_delay_alu instid0(VALU_DEP_1) | instskip(SKIP_2) | instid1(VALU_DEP_4)
	v_or_b32_e32 v16, 0x800000, v14
	v_cmp_eq_u32_e32 vcc_lo, 0, v11
	v_add_nc_u32_e32 v11, 0xffffff89, v11
	v_cndmask_b32_e64 v15, v15, 0x77, vcc_lo
	s_delay_alu instid0(VALU_DEP_4) | instskip(NEXT) | instid1(VALU_DEP_3)
	v_cndmask_b32_e32 v14, v16, v14, vcc_lo
	v_cndmask_b32_e64 v11, v11, 0xffffff8a, vcc_lo
	s_delay_alu instid0(VALU_DEP_3) | instskip(NEXT) | instid1(VALU_DEP_3)
	v_lshl_add_u32 v16, 0x100000, v15, -1
	v_lshrrev_b32_e32 v17, v15, v14
	v_lshlrev_b32_e64 v19, v15, 0x80000
	s_delay_alu instid0(VALU_DEP_4) | instskip(NEXT) | instid1(VALU_DEP_4)
	v_add_nc_u32_e32 v15, v15, v11
	v_and_b32_e32 v14, v16, v14
	s_delay_alu instid0(VALU_DEP_4) | instskip(NEXT) | instid1(VALU_DEP_2)
	v_bfe_u32 v18, v17, 20, 1
	v_cmp_eq_u32_e64 s7, v14, v19
	s_delay_alu instid0(VALU_DEP_2) | instskip(NEXT) | instid1(VALU_DEP_1)
	v_add_nc_u32_e32 v16, -1, v18
	v_cndmask_b32_e64 v14, 0, v16, s7
	v_lshrrev_b32_e32 v16, 23, v17
	s_mov_b32 s7, exec_lo
	s_delay_alu instid0(VALU_DEP_2) | instskip(NEXT) | instid1(VALU_DEP_2)
	v_add_nc_u32_e32 v14, v14, v17
	v_xor_b32_e32 v16, 1, v16
	s_delay_alu instid0(VALU_DEP_2) | instskip(NEXT) | instid1(VALU_DEP_1)
	v_and_b32_e32 v11, 0xfffff, v14
	v_add_nc_u32_e32 v14, v11, v17
                                        ; implicit-def: $vgpr11
	s_delay_alu instid0(VALU_DEP_3)
	v_cmpx_ne_u32_e64 v15, v16
	s_xor_b32 s7, exec_lo, s7
; %bb.5015:                             ;   in Loop: Header=BB6_4903 Depth=2
	s_delay_alu instid0(VALU_DEP_2) | instskip(SKIP_2) | instid1(VALU_DEP_2)
	v_cmp_lt_u32_e32 vcc_lo, 0xffffff, v14
	v_sub_nc_u32_e32 v11, v15, v16
	v_cndmask_b32_e64 v15, 0, 1, vcc_lo
	v_add_co_ci_u32_e32 v11, vcc_lo, 0, v11, vcc_lo
	s_delay_alu instid0(VALU_DEP_2)
	v_lshrrev_b32_e32 v14, v15, v14
; %bb.5016:                             ;   in Loop: Header=BB6_4903 Depth=2
	s_and_not1_saveexec_b32 s7, s7
; %bb.5017:                             ;   in Loop: Header=BB6_4903 Depth=2
	s_delay_alu instid0(VALU_DEP_1)
	v_bfe_u32 v11, v14, 23, 1
; %bb.5018:                             ;   in Loop: Header=BB6_4903 Depth=2
	s_or_b32 exec_lo, exec_lo, s7
	v_lshrrev_b32_e32 v14, 20, v14
	s_delay_alu instid0(VALU_DEP_2) | instskip(SKIP_2) | instid1(VALU_DEP_4)
	v_cmp_gt_i32_e32 vcc_lo, 16, v11
	v_lshrrev_b32_e32 v10, 24, v10
	v_min_i32_e32 v15, 15, v11
	v_cndmask_b32_e32 v14, 7, v14, vcc_lo
	s_delay_alu instid0(VALU_DEP_3) | instskip(NEXT) | instid1(VALU_DEP_3)
	v_and_b32_e32 v10, 0x80, v10
	v_lshlrev_b32_e32 v15, 3, v15
	s_delay_alu instid0(VALU_DEP_3) | instskip(SKIP_1) | instid1(VALU_DEP_2)
	v_and_b32_e32 v16, 7, v14
	v_or_b32_e32 v11, v11, v14
	v_or3_b32 v10, v15, v10, v16
	s_delay_alu instid0(VALU_DEP_2) | instskip(NEXT) | instid1(VALU_DEP_2)
	v_cmp_ne_u32_e32 vcc_lo, 0, v11
	v_cndmask_b32_e32 v176, 0, v10, vcc_lo
.LBB6_5019:                             ;   in Loop: Header=BB6_4903 Depth=2
	s_or_b32 exec_lo, exec_lo, s25
.LBB6_5020:                             ;   in Loop: Header=BB6_4903 Depth=2
	s_delay_alu instid0(SALU_CYCLE_1) | instskip(SKIP_3) | instid1(VALU_DEP_1)
	s_or_b32 exec_lo, exec_lo, s24
	v_lshrrev_b16 v10, 8, v12
	s_mov_b32 s7, 0
	s_mov_b32 s25, exec_lo
                                        ; implicit-def: $sgpr24
	v_cmpx_lt_i16_e32 0x7f, v10
	s_xor_b32 s25, exec_lo, s25
	s_cbranch_execnz .LBB6_6738
; %bb.5021:                             ;   in Loop: Header=BB6_4903 Depth=2
	s_or_saveexec_b32 s25, s25
	v_mov_b32_e32 v11, s24
	s_xor_b32 exec_lo, exec_lo, s25
	s_cbranch_execnz .LBB6_6741
.LBB6_5022:                             ;   in Loop: Header=BB6_4903 Depth=2
	s_or_b32 exec_lo, exec_lo, s25
	s_and_saveexec_b32 s24, s7
	s_cbranch_execz .LBB6_5024
.LBB6_5023:                             ;   in Loop: Header=BB6_4903 Depth=2
	v_and_b32_e32 v11, 0xffff, v10
	v_lshlrev_b32_e32 v10, 24, v10
	s_delay_alu instid0(VALU_DEP_2) | instskip(NEXT) | instid1(VALU_DEP_2)
	v_and_b32_e32 v14, 7, v11
	v_and_b32_e32 v10, 0x80000000, v10
	s_delay_alu instid0(VALU_DEP_2) | instskip(NEXT) | instid1(VALU_DEP_1)
	v_clz_i32_u32_e32 v15, v14
	v_min_u32_e32 v15, 32, v15
	s_delay_alu instid0(VALU_DEP_1) | instskip(SKIP_1) | instid1(VALU_DEP_2)
	v_subrev_nc_u32_e32 v16, 28, v15
	v_sub_nc_u32_e32 v15, 29, v15
	v_lshlrev_b32_e32 v16, v16, v11
	v_bfe_u32 v11, v11, 3, 4
	s_delay_alu instid0(VALU_DEP_1) | instskip(NEXT) | instid1(VALU_DEP_3)
	v_cmp_eq_u32_e32 vcc_lo, 0, v11
	v_dual_cndmask_b32 v11, v11, v15 :: v_dual_and_b32 v16, 7, v16
	s_delay_alu instid0(VALU_DEP_1) | instskip(NEXT) | instid1(VALU_DEP_2)
	v_cndmask_b32_e32 v14, v14, v16, vcc_lo
	v_lshl_add_u32 v11, v11, 23, 0x3b800000
	s_delay_alu instid0(VALU_DEP_2) | instskip(NEXT) | instid1(VALU_DEP_1)
	v_lshlrev_b32_e32 v14, 20, v14
	v_or3_b32 v11, v10, v11, v14
.LBB6_5024:                             ;   in Loop: Header=BB6_4903 Depth=2
	s_or_b32 exec_lo, exec_lo, s24
	s_delay_alu instid0(VALU_DEP_1) | instskip(SKIP_1) | instid1(VALU_DEP_1)
	v_dual_mul_f32 v10, s23, v11 :: v_dual_mov_b32 v181, 0x80
	s_mov_b32 s24, exec_lo
	v_and_b32_e32 v11, 0x7f800000, v10
	s_delay_alu instid0(VALU_DEP_1)
	v_cmpx_ne_u32_e32 0x7f800000, v11
	s_cbranch_execz .LBB6_5032
; %bb.5025:                             ;   in Loop: Header=BB6_4903 Depth=2
	v_mov_b32_e32 v181, 0
	s_mov_b32 s25, exec_lo
	v_cmpx_ne_u32_e32 0, v10
	s_cbranch_execz .LBB6_5031
; %bb.5026:                             ;   in Loop: Header=BB6_4903 Depth=2
	v_bfe_u32 v11, v10, 23, 8
	s_delay_alu instid0(VALU_DEP_1) | instskip(SKIP_1) | instid1(VALU_DEP_2)
	v_sub_nc_u32_e32 v15, 0x78, v11
	v_cmp_gt_u32_e32 vcc_lo, 0x79, v11
	v_dual_cndmask_b32 v15, 0, v15 :: v_dual_and_b32 v14, 0x7fffff, v10
	s_delay_alu instid0(VALU_DEP_1) | instskip(SKIP_2) | instid1(VALU_DEP_4)
	v_or_b32_e32 v16, 0x800000, v14
	v_cmp_eq_u32_e32 vcc_lo, 0, v11
	v_add_nc_u32_e32 v11, 0xffffff89, v11
	v_cndmask_b32_e64 v15, v15, 0x77, vcc_lo
	s_delay_alu instid0(VALU_DEP_4) | instskip(NEXT) | instid1(VALU_DEP_3)
	v_cndmask_b32_e32 v14, v16, v14, vcc_lo
	v_cndmask_b32_e64 v11, v11, 0xffffff8a, vcc_lo
	s_delay_alu instid0(VALU_DEP_3) | instskip(NEXT) | instid1(VALU_DEP_3)
	v_lshl_add_u32 v16, 0x100000, v15, -1
	v_lshrrev_b32_e32 v17, v15, v14
	v_lshlrev_b32_e64 v19, v15, 0x80000
	s_delay_alu instid0(VALU_DEP_4) | instskip(NEXT) | instid1(VALU_DEP_4)
	v_add_nc_u32_e32 v15, v15, v11
	v_and_b32_e32 v14, v16, v14
	s_delay_alu instid0(VALU_DEP_4) | instskip(NEXT) | instid1(VALU_DEP_2)
	v_bfe_u32 v18, v17, 20, 1
	v_cmp_eq_u32_e64 s7, v14, v19
	s_delay_alu instid0(VALU_DEP_2) | instskip(NEXT) | instid1(VALU_DEP_1)
	v_add_nc_u32_e32 v16, -1, v18
	v_cndmask_b32_e64 v14, 0, v16, s7
	v_lshrrev_b32_e32 v16, 23, v17
	s_mov_b32 s7, exec_lo
	s_delay_alu instid0(VALU_DEP_2) | instskip(NEXT) | instid1(VALU_DEP_2)
	v_add_nc_u32_e32 v14, v14, v17
	v_xor_b32_e32 v16, 1, v16
	s_delay_alu instid0(VALU_DEP_2) | instskip(NEXT) | instid1(VALU_DEP_1)
	v_and_b32_e32 v11, 0xfffff, v14
	v_add_nc_u32_e32 v14, v11, v17
                                        ; implicit-def: $vgpr11
	s_delay_alu instid0(VALU_DEP_3)
	v_cmpx_ne_u32_e64 v15, v16
	s_xor_b32 s7, exec_lo, s7
; %bb.5027:                             ;   in Loop: Header=BB6_4903 Depth=2
	s_delay_alu instid0(VALU_DEP_2) | instskip(SKIP_2) | instid1(VALU_DEP_2)
	v_cmp_lt_u32_e32 vcc_lo, 0xffffff, v14
	v_sub_nc_u32_e32 v11, v15, v16
	v_cndmask_b32_e64 v15, 0, 1, vcc_lo
	v_add_co_ci_u32_e32 v11, vcc_lo, 0, v11, vcc_lo
	s_delay_alu instid0(VALU_DEP_2)
	v_lshrrev_b32_e32 v14, v15, v14
; %bb.5028:                             ;   in Loop: Header=BB6_4903 Depth=2
	s_and_not1_saveexec_b32 s7, s7
; %bb.5029:                             ;   in Loop: Header=BB6_4903 Depth=2
	s_delay_alu instid0(VALU_DEP_1)
	v_bfe_u32 v11, v14, 23, 1
; %bb.5030:                             ;   in Loop: Header=BB6_4903 Depth=2
	s_or_b32 exec_lo, exec_lo, s7
	v_lshrrev_b32_e32 v14, 20, v14
	s_delay_alu instid0(VALU_DEP_2) | instskip(SKIP_2) | instid1(VALU_DEP_4)
	v_cmp_gt_i32_e32 vcc_lo, 16, v11
	v_lshrrev_b32_e32 v10, 24, v10
	v_min_i32_e32 v15, 15, v11
	v_cndmask_b32_e32 v14, 7, v14, vcc_lo
	s_delay_alu instid0(VALU_DEP_3) | instskip(NEXT) | instid1(VALU_DEP_3)
	v_and_b32_e32 v10, 0x80, v10
	v_lshlrev_b32_e32 v15, 3, v15
	s_delay_alu instid0(VALU_DEP_3) | instskip(SKIP_1) | instid1(VALU_DEP_2)
	v_and_b32_e32 v16, 7, v14
	v_or_b32_e32 v11, v11, v14
	v_or3_b32 v10, v15, v10, v16
	s_delay_alu instid0(VALU_DEP_2) | instskip(NEXT) | instid1(VALU_DEP_2)
	v_cmp_ne_u32_e32 vcc_lo, 0, v11
	v_cndmask_b32_e32 v181, 0, v10, vcc_lo
.LBB6_5031:                             ;   in Loop: Header=BB6_4903 Depth=2
	s_or_b32 exec_lo, exec_lo, s25
.LBB6_5032:                             ;   in Loop: Header=BB6_4903 Depth=2
	s_delay_alu instid0(SALU_CYCLE_1) | instskip(SKIP_3) | instid1(VALU_DEP_1)
	s_or_b32 exec_lo, exec_lo, s24
	v_lshrrev_b32_e32 v10, 16, v12
	s_mov_b32 s7, 0
	s_mov_b32 s25, exec_lo
                                        ; implicit-def: $sgpr24
	v_and_b32_e32 v14, 0xff, v10
	s_delay_alu instid0(VALU_DEP_1)
	v_cmpx_lt_i16_e32 0x7f, v14
	s_xor_b32 s25, exec_lo, s25
	s_cbranch_execnz .LBB6_6742
; %bb.5033:                             ;   in Loop: Header=BB6_4903 Depth=2
	s_or_saveexec_b32 s25, s25
	v_mov_b32_e32 v11, s24
	s_xor_b32 exec_lo, exec_lo, s25
	s_cbranch_execnz .LBB6_6745
.LBB6_5034:                             ;   in Loop: Header=BB6_4903 Depth=2
	s_or_b32 exec_lo, exec_lo, s25
	s_and_saveexec_b32 s24, s7
	s_cbranch_execz .LBB6_5036
.LBB6_5035:                             ;   in Loop: Header=BB6_4903 Depth=2
	v_bfe_u32 v11, v12, 16, 3
	v_lshlrev_b32_e32 v16, 8, v12
	s_delay_alu instid0(VALU_DEP_2) | instskip(NEXT) | instid1(VALU_DEP_1)
	v_clz_i32_u32_e32 v14, v11
	v_min_u32_e32 v14, 32, v14
	s_delay_alu instid0(VALU_DEP_1) | instskip(SKIP_1) | instid1(VALU_DEP_2)
	v_subrev_nc_u32_e32 v15, 28, v14
	v_sub_nc_u32_e32 v14, 29, v14
	v_lshlrev_b32_e32 v10, v15, v10
	v_bfe_u32 v15, v12, 19, 4
	s_delay_alu instid0(VALU_DEP_2) | instskip(NEXT) | instid1(VALU_DEP_2)
	v_and_b32_e32 v10, 7, v10
	v_cmp_eq_u32_e32 vcc_lo, 0, v15
	v_cndmask_b32_e32 v14, v15, v14, vcc_lo
	s_delay_alu instid0(VALU_DEP_3) | instskip(NEXT) | instid1(VALU_DEP_2)
	v_dual_cndmask_b32 v10, v11, v10 :: v_dual_and_b32 v11, 0x80000000, v16
	v_lshl_add_u32 v14, v14, 23, 0x3b800000
	s_delay_alu instid0(VALU_DEP_2) | instskip(NEXT) | instid1(VALU_DEP_1)
	v_lshlrev_b32_e32 v10, 20, v10
	v_or3_b32 v11, v11, v14, v10
.LBB6_5036:                             ;   in Loop: Header=BB6_4903 Depth=2
	s_or_b32 exec_lo, exec_lo, s24
	s_delay_alu instid0(VALU_DEP_1) | instskip(SKIP_1) | instid1(VALU_DEP_1)
	v_dual_mul_f32 v10, s23, v11 :: v_dual_mov_b32 v41, 0x80
	s_mov_b32 s24, exec_lo
	v_and_b32_e32 v11, 0x7f800000, v10
	s_delay_alu instid0(VALU_DEP_1)
	v_cmpx_ne_u32_e32 0x7f800000, v11
	s_cbranch_execz .LBB6_5044
; %bb.5037:                             ;   in Loop: Header=BB6_4903 Depth=2
	v_mov_b32_e32 v41, 0
	s_mov_b32 s25, exec_lo
	v_cmpx_ne_u32_e32 0, v10
	s_cbranch_execz .LBB6_5043
; %bb.5038:                             ;   in Loop: Header=BB6_4903 Depth=2
	v_bfe_u32 v11, v10, 23, 8
	s_delay_alu instid0(VALU_DEP_1) | instskip(SKIP_1) | instid1(VALU_DEP_2)
	v_sub_nc_u32_e32 v15, 0x78, v11
	v_cmp_gt_u32_e32 vcc_lo, 0x79, v11
	v_dual_cndmask_b32 v15, 0, v15 :: v_dual_and_b32 v14, 0x7fffff, v10
	s_delay_alu instid0(VALU_DEP_1) | instskip(SKIP_2) | instid1(VALU_DEP_4)
	v_or_b32_e32 v16, 0x800000, v14
	v_cmp_eq_u32_e32 vcc_lo, 0, v11
	v_add_nc_u32_e32 v11, 0xffffff89, v11
	v_cndmask_b32_e64 v15, v15, 0x77, vcc_lo
	s_delay_alu instid0(VALU_DEP_4) | instskip(NEXT) | instid1(VALU_DEP_3)
	v_cndmask_b32_e32 v14, v16, v14, vcc_lo
	v_cndmask_b32_e64 v11, v11, 0xffffff8a, vcc_lo
	s_delay_alu instid0(VALU_DEP_3) | instskip(NEXT) | instid1(VALU_DEP_3)
	v_lshl_add_u32 v16, 0x100000, v15, -1
	v_lshrrev_b32_e32 v17, v15, v14
	v_lshlrev_b32_e64 v19, v15, 0x80000
	s_delay_alu instid0(VALU_DEP_4) | instskip(NEXT) | instid1(VALU_DEP_4)
	v_add_nc_u32_e32 v15, v15, v11
	v_and_b32_e32 v14, v16, v14
	s_delay_alu instid0(VALU_DEP_4) | instskip(NEXT) | instid1(VALU_DEP_2)
	v_bfe_u32 v18, v17, 20, 1
	v_cmp_eq_u32_e64 s7, v14, v19
	s_delay_alu instid0(VALU_DEP_2) | instskip(NEXT) | instid1(VALU_DEP_1)
	v_add_nc_u32_e32 v16, -1, v18
	v_cndmask_b32_e64 v14, 0, v16, s7
	v_lshrrev_b32_e32 v16, 23, v17
	s_mov_b32 s7, exec_lo
	s_delay_alu instid0(VALU_DEP_2) | instskip(NEXT) | instid1(VALU_DEP_2)
	v_add_nc_u32_e32 v14, v14, v17
	v_xor_b32_e32 v16, 1, v16
	s_delay_alu instid0(VALU_DEP_2) | instskip(NEXT) | instid1(VALU_DEP_1)
	v_and_b32_e32 v11, 0xfffff, v14
	v_add_nc_u32_e32 v14, v11, v17
                                        ; implicit-def: $vgpr11
	s_delay_alu instid0(VALU_DEP_3)
	v_cmpx_ne_u32_e64 v15, v16
	s_xor_b32 s7, exec_lo, s7
; %bb.5039:                             ;   in Loop: Header=BB6_4903 Depth=2
	s_delay_alu instid0(VALU_DEP_2) | instskip(SKIP_2) | instid1(VALU_DEP_2)
	v_cmp_lt_u32_e32 vcc_lo, 0xffffff, v14
	v_sub_nc_u32_e32 v11, v15, v16
	v_cndmask_b32_e64 v15, 0, 1, vcc_lo
	v_add_co_ci_u32_e32 v11, vcc_lo, 0, v11, vcc_lo
	s_delay_alu instid0(VALU_DEP_2)
	v_lshrrev_b32_e32 v14, v15, v14
; %bb.5040:                             ;   in Loop: Header=BB6_4903 Depth=2
	s_and_not1_saveexec_b32 s7, s7
; %bb.5041:                             ;   in Loop: Header=BB6_4903 Depth=2
	s_delay_alu instid0(VALU_DEP_1)
	v_bfe_u32 v11, v14, 23, 1
; %bb.5042:                             ;   in Loop: Header=BB6_4903 Depth=2
	s_or_b32 exec_lo, exec_lo, s7
	v_lshrrev_b32_e32 v14, 20, v14
	s_delay_alu instid0(VALU_DEP_2) | instskip(SKIP_2) | instid1(VALU_DEP_4)
	v_cmp_gt_i32_e32 vcc_lo, 16, v11
	v_lshrrev_b32_e32 v10, 24, v10
	v_min_i32_e32 v15, 15, v11
	v_cndmask_b32_e32 v14, 7, v14, vcc_lo
	s_delay_alu instid0(VALU_DEP_3) | instskip(NEXT) | instid1(VALU_DEP_3)
	v_and_b32_e32 v10, 0x80, v10
	v_lshlrev_b32_e32 v15, 3, v15
	s_delay_alu instid0(VALU_DEP_3) | instskip(SKIP_1) | instid1(VALU_DEP_2)
	v_and_b32_e32 v16, 7, v14
	v_or_b32_e32 v11, v11, v14
	v_or3_b32 v10, v15, v10, v16
	s_delay_alu instid0(VALU_DEP_2) | instskip(NEXT) | instid1(VALU_DEP_2)
	v_cmp_ne_u32_e32 vcc_lo, 0, v11
	v_cndmask_b32_e32 v41, 0, v10, vcc_lo
.LBB6_5043:                             ;   in Loop: Header=BB6_4903 Depth=2
	s_or_b32 exec_lo, exec_lo, s25
.LBB6_5044:                             ;   in Loop: Header=BB6_4903 Depth=2
	s_delay_alu instid0(SALU_CYCLE_1) | instskip(SKIP_3) | instid1(VALU_DEP_1)
	s_or_b32 exec_lo, exec_lo, s24
	v_lshrrev_b32_e32 v10, 24, v12
	s_mov_b32 s7, 0
	s_mov_b32 s25, exec_lo
                                        ; implicit-def: $sgpr24
	v_cmpx_lt_i16_e32 0x7f, v10
	s_xor_b32 s25, exec_lo, s25
	s_cbranch_execnz .LBB6_6746
; %bb.5045:                             ;   in Loop: Header=BB6_4903 Depth=2
	s_or_saveexec_b32 s25, s25
	v_mov_b32_e32 v11, s24
	s_xor_b32 exec_lo, exec_lo, s25
	s_cbranch_execnz .LBB6_6749
.LBB6_5046:                             ;   in Loop: Header=BB6_4903 Depth=2
	s_or_b32 exec_lo, exec_lo, s25
	s_and_saveexec_b32 s24, s7
	s_cbranch_execz .LBB6_5048
.LBB6_5047:                             ;   in Loop: Header=BB6_4903 Depth=2
	v_bfe_u32 v11, v12, 24, 3
	s_delay_alu instid0(VALU_DEP_1) | instskip(NEXT) | instid1(VALU_DEP_1)
	v_clz_i32_u32_e32 v14, v11
	v_min_u32_e32 v14, 32, v14
	s_delay_alu instid0(VALU_DEP_1) | instskip(SKIP_1) | instid1(VALU_DEP_2)
	v_subrev_nc_u32_e32 v15, 28, v14
	v_sub_nc_u32_e32 v14, 29, v14
	v_lshlrev_b32_e32 v10, v15, v10
	v_bfe_u32 v15, v12, 27, 4
	s_delay_alu instid0(VALU_DEP_2) | instskip(NEXT) | instid1(VALU_DEP_2)
	v_and_b32_e32 v10, 7, v10
	v_cmp_eq_u32_e32 vcc_lo, 0, v15
	v_cndmask_b32_e32 v14, v15, v14, vcc_lo
	s_delay_alu instid0(VALU_DEP_3) | instskip(NEXT) | instid1(VALU_DEP_2)
	v_dual_cndmask_b32 v10, v11, v10 :: v_dual_and_b32 v11, 0x80000000, v12
	v_lshl_add_u32 v12, v14, 23, 0x3b800000
	s_delay_alu instid0(VALU_DEP_2) | instskip(NEXT) | instid1(VALU_DEP_1)
	v_lshlrev_b32_e32 v10, 20, v10
	v_or3_b32 v11, v11, v12, v10
.LBB6_5048:                             ;   in Loop: Header=BB6_4903 Depth=2
	s_or_b32 exec_lo, exec_lo, s24
	s_delay_alu instid0(VALU_DEP_1) | instskip(SKIP_2) | instid1(VALU_DEP_2)
	v_mul_f32_e32 v10, s23, v11
	v_mov_b32_e32 v60, 0x80
	s_mov_b32 s24, exec_lo
	v_and_b32_e32 v11, 0x7f800000, v10
	s_delay_alu instid0(VALU_DEP_1)
	v_cmpx_ne_u32_e32 0x7f800000, v11
	s_cbranch_execz .LBB6_5056
; %bb.5049:                             ;   in Loop: Header=BB6_4903 Depth=2
	v_mov_b32_e32 v60, 0
	s_mov_b32 s25, exec_lo
	v_cmpx_ne_u32_e32 0, v10
	s_cbranch_execz .LBB6_5055
; %bb.5050:                             ;   in Loop: Header=BB6_4903 Depth=2
	v_bfe_u32 v11, v10, 23, 8
	v_and_b32_e32 v12, 0x7fffff, v10
	s_delay_alu instid0(VALU_DEP_2) | instskip(SKIP_1) | instid1(VALU_DEP_3)
	v_sub_nc_u32_e32 v14, 0x78, v11
	v_cmp_gt_u32_e32 vcc_lo, 0x79, v11
	v_or_b32_e32 v15, 0x800000, v12
	s_delay_alu instid0(VALU_DEP_3) | instskip(SKIP_2) | instid1(VALU_DEP_3)
	v_cndmask_b32_e32 v14, 0, v14, vcc_lo
	v_cmp_eq_u32_e32 vcc_lo, 0, v11
	v_add_nc_u32_e32 v11, 0xffffff89, v11
	v_cndmask_b32_e64 v14, v14, 0x77, vcc_lo
	v_cndmask_b32_e32 v12, v15, v12, vcc_lo
	s_delay_alu instid0(VALU_DEP_3) | instskip(NEXT) | instid1(VALU_DEP_3)
	v_cndmask_b32_e64 v11, v11, 0xffffff8a, vcc_lo
	v_lshl_add_u32 v15, 0x100000, v14, -1
	s_delay_alu instid0(VALU_DEP_3) | instskip(SKIP_1) | instid1(VALU_DEP_4)
	v_lshrrev_b32_e32 v16, v14, v12
	v_lshlrev_b32_e64 v18, v14, 0x80000
	v_add_nc_u32_e32 v14, v14, v11
	s_delay_alu instid0(VALU_DEP_4) | instskip(NEXT) | instid1(VALU_DEP_4)
	v_and_b32_e32 v12, v15, v12
	v_bfe_u32 v17, v16, 20, 1
	s_delay_alu instid0(VALU_DEP_2) | instskip(NEXT) | instid1(VALU_DEP_2)
	v_cmp_eq_u32_e64 s7, v12, v18
	v_add_nc_u32_e32 v15, -1, v17
	s_delay_alu instid0(VALU_DEP_1) | instskip(SKIP_2) | instid1(VALU_DEP_2)
	v_cndmask_b32_e64 v12, 0, v15, s7
	v_lshrrev_b32_e32 v15, 23, v16
	s_mov_b32 s7, exec_lo
	v_add_nc_u32_e32 v12, v12, v16
	s_delay_alu instid0(VALU_DEP_2) | instskip(NEXT) | instid1(VALU_DEP_2)
	v_xor_b32_e32 v15, 1, v15
	v_and_b32_e32 v11, 0xfffff, v12
	s_delay_alu instid0(VALU_DEP_1) | instskip(NEXT) | instid1(VALU_DEP_3)
	v_add_nc_u32_e32 v12, v11, v16
                                        ; implicit-def: $vgpr11
	v_cmpx_ne_u32_e64 v14, v15
	s_xor_b32 s7, exec_lo, s7
; %bb.5051:                             ;   in Loop: Header=BB6_4903 Depth=2
	s_delay_alu instid0(VALU_DEP_2) | instskip(SKIP_2) | instid1(VALU_DEP_2)
	v_cmp_lt_u32_e32 vcc_lo, 0xffffff, v12
	v_sub_nc_u32_e32 v11, v14, v15
	v_cndmask_b32_e64 v14, 0, 1, vcc_lo
	v_add_co_ci_u32_e32 v11, vcc_lo, 0, v11, vcc_lo
	s_delay_alu instid0(VALU_DEP_2)
	v_lshrrev_b32_e32 v12, v14, v12
; %bb.5052:                             ;   in Loop: Header=BB6_4903 Depth=2
	s_and_not1_saveexec_b32 s7, s7
; %bb.5053:                             ;   in Loop: Header=BB6_4903 Depth=2
	s_delay_alu instid0(VALU_DEP_1)
	v_bfe_u32 v11, v12, 23, 1
; %bb.5054:                             ;   in Loop: Header=BB6_4903 Depth=2
	s_or_b32 exec_lo, exec_lo, s7
	v_lshrrev_b32_e32 v12, 20, v12
	s_delay_alu instid0(VALU_DEP_2) | instskip(SKIP_2) | instid1(VALU_DEP_4)
	v_cmp_gt_i32_e32 vcc_lo, 16, v11
	v_lshrrev_b32_e32 v10, 24, v10
	v_min_i32_e32 v14, 15, v11
	v_cndmask_b32_e32 v12, 7, v12, vcc_lo
	s_delay_alu instid0(VALU_DEP_3) | instskip(NEXT) | instid1(VALU_DEP_3)
	v_and_b32_e32 v10, 0x80, v10
	v_lshlrev_b32_e32 v14, 3, v14
	s_delay_alu instid0(VALU_DEP_3) | instskip(NEXT) | instid1(VALU_DEP_1)
	v_or_b32_e32 v11, v11, v12
	v_cmp_ne_u32_e32 vcc_lo, 0, v11
	v_and_b32_e32 v15, 7, v12
	s_delay_alu instid0(VALU_DEP_1) | instskip(NEXT) | instid1(VALU_DEP_1)
	v_or3_b32 v10, v14, v10, v15
	v_cndmask_b32_e32 v60, 0, v10, vcc_lo
.LBB6_5055:                             ;   in Loop: Header=BB6_4903 Depth=2
	s_or_b32 exec_lo, exec_lo, s25
.LBB6_5056:                             ;   in Loop: Header=BB6_4903 Depth=2
	s_delay_alu instid0(SALU_CYCLE_1) | instskip(SKIP_3) | instid1(VALU_DEP_1)
	s_or_b32 exec_lo, exec_lo, s24
	v_and_b32_e32 v11, 0xff, v13
	s_mov_b32 s7, 0
	s_mov_b32 s25, exec_lo
                                        ; implicit-def: $sgpr24
	v_cmpx_lt_i16_e32 0x7f, v11
	s_xor_b32 s25, exec_lo, s25
	s_cbranch_execnz .LBB6_6750
; %bb.5057:                             ;   in Loop: Header=BB6_4903 Depth=2
	s_or_saveexec_b32 s25, s25
	v_mov_b32_e32 v10, s24
	s_xor_b32 exec_lo, exec_lo, s25
	s_cbranch_execnz .LBB6_6753
.LBB6_5058:                             ;   in Loop: Header=BB6_4903 Depth=2
	s_or_b32 exec_lo, exec_lo, s25
	s_and_saveexec_b32 s24, s7
	s_cbranch_execz .LBB6_5060
.LBB6_5059:                             ;   in Loop: Header=BB6_4903 Depth=2
	v_bfe_u32 v14, v13, 3, 4
	s_delay_alu instid0(VALU_DEP_1) | instskip(SKIP_1) | instid1(VALU_DEP_1)
	v_cmp_eq_u32_e32 vcc_lo, 0, v14
	v_and_b32_e32 v10, 7, v13
	v_clz_i32_u32_e32 v11, v10
	s_delay_alu instid0(VALU_DEP_1) | instskip(NEXT) | instid1(VALU_DEP_1)
	v_min_u32_e32 v11, 32, v11
	v_subrev_nc_u32_e32 v12, 28, v11
	v_sub_nc_u32_e32 v11, 29, v11
	s_delay_alu instid0(VALU_DEP_1) | instskip(NEXT) | instid1(VALU_DEP_1)
	v_dual_cndmask_b32 v11, v14, v11 :: v_dual_lshlrev_b32 v12, v12, v13
	v_and_b32_e32 v12, 7, v12
	v_lshlrev_b32_e32 v15, 24, v13
	s_delay_alu instid0(VALU_DEP_3) | instskip(NEXT) | instid1(VALU_DEP_3)
	v_lshl_add_u32 v11, v11, 23, 0x3b800000
	v_cndmask_b32_e32 v10, v10, v12, vcc_lo
	s_delay_alu instid0(VALU_DEP_3) | instskip(NEXT) | instid1(VALU_DEP_2)
	v_and_b32_e32 v12, 0x80000000, v15
	v_lshlrev_b32_e32 v10, 20, v10
	s_delay_alu instid0(VALU_DEP_1)
	v_or3_b32 v10, v12, v11, v10
.LBB6_5060:                             ;   in Loop: Header=BB6_4903 Depth=2
	s_or_b32 exec_lo, exec_lo, s24
	s_delay_alu instid0(VALU_DEP_1) | instskip(SKIP_2) | instid1(VALU_DEP_2)
	v_mul_f32_e32 v10, s23, v10
	v_mov_b32_e32 v58, 0x80
	s_mov_b32 s24, exec_lo
	v_and_b32_e32 v11, 0x7f800000, v10
	s_delay_alu instid0(VALU_DEP_1)
	v_cmpx_ne_u32_e32 0x7f800000, v11
	s_cbranch_execz .LBB6_5068
; %bb.5061:                             ;   in Loop: Header=BB6_4903 Depth=2
	v_mov_b32_e32 v58, 0
	s_mov_b32 s25, exec_lo
	v_cmpx_ne_u32_e32 0, v10
	s_cbranch_execz .LBB6_5067
; %bb.5062:                             ;   in Loop: Header=BB6_4903 Depth=2
	v_bfe_u32 v11, v10, 23, 8
	v_and_b32_e32 v12, 0x7fffff, v10
	s_delay_alu instid0(VALU_DEP_2) | instskip(SKIP_1) | instid1(VALU_DEP_3)
	v_sub_nc_u32_e32 v14, 0x78, v11
	v_cmp_gt_u32_e32 vcc_lo, 0x79, v11
	v_or_b32_e32 v15, 0x800000, v12
	s_delay_alu instid0(VALU_DEP_3) | instskip(SKIP_2) | instid1(VALU_DEP_3)
	v_cndmask_b32_e32 v14, 0, v14, vcc_lo
	v_cmp_eq_u32_e32 vcc_lo, 0, v11
	v_add_nc_u32_e32 v11, 0xffffff89, v11
	v_cndmask_b32_e64 v14, v14, 0x77, vcc_lo
	v_cndmask_b32_e32 v12, v15, v12, vcc_lo
	s_delay_alu instid0(VALU_DEP_3) | instskip(NEXT) | instid1(VALU_DEP_3)
	v_cndmask_b32_e64 v11, v11, 0xffffff8a, vcc_lo
	v_lshl_add_u32 v15, 0x100000, v14, -1
	s_delay_alu instid0(VALU_DEP_3) | instskip(SKIP_1) | instid1(VALU_DEP_4)
	v_lshrrev_b32_e32 v16, v14, v12
	v_lshlrev_b32_e64 v18, v14, 0x80000
	v_add_nc_u32_e32 v14, v14, v11
	s_delay_alu instid0(VALU_DEP_4) | instskip(NEXT) | instid1(VALU_DEP_4)
	v_and_b32_e32 v12, v15, v12
	v_bfe_u32 v17, v16, 20, 1
	s_delay_alu instid0(VALU_DEP_2) | instskip(NEXT) | instid1(VALU_DEP_2)
	v_cmp_eq_u32_e64 s7, v12, v18
	v_add_nc_u32_e32 v15, -1, v17
	s_delay_alu instid0(VALU_DEP_1) | instskip(SKIP_2) | instid1(VALU_DEP_2)
	v_cndmask_b32_e64 v12, 0, v15, s7
	v_lshrrev_b32_e32 v15, 23, v16
	s_mov_b32 s7, exec_lo
	v_add_nc_u32_e32 v12, v12, v16
	s_delay_alu instid0(VALU_DEP_2) | instskip(NEXT) | instid1(VALU_DEP_2)
	v_xor_b32_e32 v15, 1, v15
	v_and_b32_e32 v11, 0xfffff, v12
	s_delay_alu instid0(VALU_DEP_1) | instskip(NEXT) | instid1(VALU_DEP_3)
	v_add_nc_u32_e32 v12, v11, v16
                                        ; implicit-def: $vgpr11
	v_cmpx_ne_u32_e64 v14, v15
	s_xor_b32 s7, exec_lo, s7
; %bb.5063:                             ;   in Loop: Header=BB6_4903 Depth=2
	s_delay_alu instid0(VALU_DEP_2) | instskip(SKIP_2) | instid1(VALU_DEP_2)
	v_cmp_lt_u32_e32 vcc_lo, 0xffffff, v12
	v_sub_nc_u32_e32 v11, v14, v15
	v_cndmask_b32_e64 v14, 0, 1, vcc_lo
	v_add_co_ci_u32_e32 v11, vcc_lo, 0, v11, vcc_lo
	s_delay_alu instid0(VALU_DEP_2)
	v_lshrrev_b32_e32 v12, v14, v12
; %bb.5064:                             ;   in Loop: Header=BB6_4903 Depth=2
	s_and_not1_saveexec_b32 s7, s7
; %bb.5065:                             ;   in Loop: Header=BB6_4903 Depth=2
	s_delay_alu instid0(VALU_DEP_1)
	v_bfe_u32 v11, v12, 23, 1
; %bb.5066:                             ;   in Loop: Header=BB6_4903 Depth=2
	s_or_b32 exec_lo, exec_lo, s7
	v_lshrrev_b32_e32 v12, 20, v12
	s_delay_alu instid0(VALU_DEP_2) | instskip(SKIP_2) | instid1(VALU_DEP_4)
	v_cmp_gt_i32_e32 vcc_lo, 16, v11
	v_min_i32_e32 v14, 15, v11
	v_lshrrev_b32_e32 v10, 24, v10
	v_cndmask_b32_e32 v12, 7, v12, vcc_lo
	s_delay_alu instid0(VALU_DEP_3) | instskip(NEXT) | instid1(VALU_DEP_3)
	v_lshlrev_b32_e32 v14, 3, v14
	v_and_b32_e32 v10, 0x80, v10
	s_delay_alu instid0(VALU_DEP_3) | instskip(NEXT) | instid1(VALU_DEP_3)
	v_or_b32_e32 v11, v11, v12
	v_and_b32_e32 v14, 0xf8, v14
	s_delay_alu instid0(VALU_DEP_2) | instskip(SKIP_1) | instid1(VALU_DEP_1)
	v_cmp_ne_u32_e32 vcc_lo, 0, v11
	v_and_b32_e32 v15, 7, v12
	v_or3_b32 v10, v14, v10, v15
	s_delay_alu instid0(VALU_DEP_1)
	v_cndmask_b32_e32 v58, 0, v10, vcc_lo
.LBB6_5067:                             ;   in Loop: Header=BB6_4903 Depth=2
	s_or_b32 exec_lo, exec_lo, s25
.LBB6_5068:                             ;   in Loop: Header=BB6_4903 Depth=2
	s_delay_alu instid0(SALU_CYCLE_1) | instskip(SKIP_3) | instid1(VALU_DEP_1)
	s_or_b32 exec_lo, exec_lo, s24
	v_lshrrev_b16 v10, 8, v13
	s_mov_b32 s7, 0
	s_mov_b32 s25, exec_lo
                                        ; implicit-def: $sgpr24
	v_cmpx_lt_i16_e32 0x7f, v10
	s_xor_b32 s25, exec_lo, s25
	s_cbranch_execnz .LBB6_6754
; %bb.5069:                             ;   in Loop: Header=BB6_4903 Depth=2
	s_or_saveexec_b32 s25, s25
	v_mov_b32_e32 v11, s24
	s_xor_b32 exec_lo, exec_lo, s25
	s_cbranch_execnz .LBB6_6757
.LBB6_5070:                             ;   in Loop: Header=BB6_4903 Depth=2
	s_or_b32 exec_lo, exec_lo, s25
	s_and_saveexec_b32 s24, s7
	s_cbranch_execz .LBB6_5072
.LBB6_5071:                             ;   in Loop: Header=BB6_4903 Depth=2
	v_and_b32_e32 v11, 0xffff, v10
	v_lshlrev_b32_e32 v10, 24, v10
	s_delay_alu instid0(VALU_DEP_2) | instskip(NEXT) | instid1(VALU_DEP_2)
	v_and_b32_e32 v12, 7, v11
	v_and_b32_e32 v10, 0x80000000, v10
	s_delay_alu instid0(VALU_DEP_2) | instskip(NEXT) | instid1(VALU_DEP_1)
	v_clz_i32_u32_e32 v14, v12
	v_min_u32_e32 v14, 32, v14
	s_delay_alu instid0(VALU_DEP_1) | instskip(SKIP_1) | instid1(VALU_DEP_2)
	v_subrev_nc_u32_e32 v15, 28, v14
	v_sub_nc_u32_e32 v14, 29, v14
	v_lshlrev_b32_e32 v15, v15, v11
	v_bfe_u32 v11, v11, 3, 4
	s_delay_alu instid0(VALU_DEP_2) | instskip(NEXT) | instid1(VALU_DEP_2)
	v_and_b32_e32 v15, 7, v15
	v_cmp_eq_u32_e32 vcc_lo, 0, v11
	s_delay_alu instid0(VALU_DEP_2) | instskip(NEXT) | instid1(VALU_DEP_1)
	v_dual_cndmask_b32 v11, v11, v14 :: v_dual_cndmask_b32 v12, v12, v15
	v_lshl_add_u32 v11, v11, 23, 0x3b800000
	s_delay_alu instid0(VALU_DEP_2) | instskip(NEXT) | instid1(VALU_DEP_1)
	v_lshlrev_b32_e32 v12, 20, v12
	v_or3_b32 v11, v10, v11, v12
.LBB6_5072:                             ;   in Loop: Header=BB6_4903 Depth=2
	s_or_b32 exec_lo, exec_lo, s24
	s_delay_alu instid0(VALU_DEP_1) | instskip(SKIP_2) | instid1(VALU_DEP_2)
	v_mul_f32_e32 v10, s23, v11
	v_mov_b32_e32 v78, 0x8000
	s_mov_b32 s24, exec_lo
	v_and_b32_e32 v11, 0x7f800000, v10
	s_delay_alu instid0(VALU_DEP_1)
	v_cmpx_ne_u32_e32 0x7f800000, v11
	s_cbranch_execz .LBB6_5080
; %bb.5073:                             ;   in Loop: Header=BB6_4903 Depth=2
	v_mov_b32_e32 v78, 0
	s_mov_b32 s25, exec_lo
	v_cmpx_ne_u32_e32 0, v10
	s_cbranch_execz .LBB6_5079
; %bb.5074:                             ;   in Loop: Header=BB6_4903 Depth=2
	v_bfe_u32 v11, v10, 23, 8
	v_and_b32_e32 v12, 0x7fffff, v10
	s_delay_alu instid0(VALU_DEP_2) | instskip(SKIP_1) | instid1(VALU_DEP_3)
	v_sub_nc_u32_e32 v14, 0x78, v11
	v_cmp_gt_u32_e32 vcc_lo, 0x79, v11
	v_or_b32_e32 v15, 0x800000, v12
	s_delay_alu instid0(VALU_DEP_3) | instskip(SKIP_2) | instid1(VALU_DEP_3)
	v_cndmask_b32_e32 v14, 0, v14, vcc_lo
	v_cmp_eq_u32_e32 vcc_lo, 0, v11
	v_add_nc_u32_e32 v11, 0xffffff89, v11
	v_cndmask_b32_e64 v14, v14, 0x77, vcc_lo
	v_cndmask_b32_e32 v12, v15, v12, vcc_lo
	s_delay_alu instid0(VALU_DEP_3) | instskip(NEXT) | instid1(VALU_DEP_3)
	v_cndmask_b32_e64 v11, v11, 0xffffff8a, vcc_lo
	v_lshl_add_u32 v15, 0x100000, v14, -1
	s_delay_alu instid0(VALU_DEP_3) | instskip(SKIP_1) | instid1(VALU_DEP_4)
	v_lshrrev_b32_e32 v16, v14, v12
	v_lshlrev_b32_e64 v18, v14, 0x80000
	v_add_nc_u32_e32 v14, v14, v11
	s_delay_alu instid0(VALU_DEP_4) | instskip(NEXT) | instid1(VALU_DEP_4)
	v_and_b32_e32 v12, v15, v12
	v_bfe_u32 v17, v16, 20, 1
	s_delay_alu instid0(VALU_DEP_2) | instskip(NEXT) | instid1(VALU_DEP_2)
	v_cmp_eq_u32_e64 s7, v12, v18
	v_add_nc_u32_e32 v15, -1, v17
	s_delay_alu instid0(VALU_DEP_1) | instskip(SKIP_2) | instid1(VALU_DEP_2)
	v_cndmask_b32_e64 v12, 0, v15, s7
	v_lshrrev_b32_e32 v15, 23, v16
	s_mov_b32 s7, exec_lo
	v_add_nc_u32_e32 v12, v12, v16
	s_delay_alu instid0(VALU_DEP_2) | instskip(NEXT) | instid1(VALU_DEP_2)
	v_xor_b32_e32 v15, 1, v15
	v_and_b32_e32 v11, 0xfffff, v12
	s_delay_alu instid0(VALU_DEP_1) | instskip(NEXT) | instid1(VALU_DEP_3)
	v_add_nc_u32_e32 v12, v11, v16
                                        ; implicit-def: $vgpr11
	v_cmpx_ne_u32_e64 v14, v15
	s_xor_b32 s7, exec_lo, s7
; %bb.5075:                             ;   in Loop: Header=BB6_4903 Depth=2
	s_delay_alu instid0(VALU_DEP_2) | instskip(SKIP_2) | instid1(VALU_DEP_2)
	v_cmp_lt_u32_e32 vcc_lo, 0xffffff, v12
	v_sub_nc_u32_e32 v11, v14, v15
	v_cndmask_b32_e64 v14, 0, 1, vcc_lo
	v_add_co_ci_u32_e32 v11, vcc_lo, 0, v11, vcc_lo
	s_delay_alu instid0(VALU_DEP_2)
	v_lshrrev_b32_e32 v12, v14, v12
; %bb.5076:                             ;   in Loop: Header=BB6_4903 Depth=2
	s_and_not1_saveexec_b32 s7, s7
; %bb.5077:                             ;   in Loop: Header=BB6_4903 Depth=2
	s_delay_alu instid0(VALU_DEP_1)
	v_bfe_u32 v11, v12, 23, 1
; %bb.5078:                             ;   in Loop: Header=BB6_4903 Depth=2
	s_or_b32 exec_lo, exec_lo, s7
	v_lshrrev_b32_e32 v12, 20, v12
	s_delay_alu instid0(VALU_DEP_2) | instskip(SKIP_2) | instid1(VALU_DEP_4)
	v_cmp_gt_i32_e32 vcc_lo, 16, v11
	v_min_i32_e32 v14, 15, v11
	v_lshrrev_b32_e32 v10, 24, v10
	v_cndmask_b32_e32 v12, 7, v12, vcc_lo
	s_delay_alu instid0(VALU_DEP_3) | instskip(NEXT) | instid1(VALU_DEP_3)
	v_lshlrev_b32_e32 v14, 3, v14
	v_and_b32_e32 v10, 0x80, v10
	s_delay_alu instid0(VALU_DEP_3) | instskip(NEXT) | instid1(VALU_DEP_3)
	v_or_b32_e32 v11, v11, v12
	v_and_b32_e32 v14, 0xf8, v14
	s_delay_alu instid0(VALU_DEP_2) | instskip(SKIP_1) | instid1(VALU_DEP_1)
	v_cmp_ne_u32_e32 vcc_lo, 0, v11
	v_and_b32_e32 v15, 7, v12
	v_or3_b32 v10, v10, v14, v15
	s_delay_alu instid0(VALU_DEP_1) | instskip(NEXT) | instid1(VALU_DEP_1)
	v_lshlrev_b32_e32 v10, 8, v10
	v_cndmask_b32_e32 v78, 0, v10, vcc_lo
.LBB6_5079:                             ;   in Loop: Header=BB6_4903 Depth=2
	s_or_b32 exec_lo, exec_lo, s25
.LBB6_5080:                             ;   in Loop: Header=BB6_4903 Depth=2
	s_delay_alu instid0(SALU_CYCLE_1) | instskip(SKIP_3) | instid1(VALU_DEP_1)
	s_or_b32 exec_lo, exec_lo, s24
	v_lshrrev_b32_e32 v10, 16, v13
	s_mov_b32 s7, 0
	s_mov_b32 s25, exec_lo
                                        ; implicit-def: $sgpr24
	v_and_b32_e32 v12, 0xff, v10
	s_delay_alu instid0(VALU_DEP_1)
	v_cmpx_lt_i16_e32 0x7f, v12
	s_xor_b32 s25, exec_lo, s25
	s_cbranch_execnz .LBB6_6758
; %bb.5081:                             ;   in Loop: Header=BB6_4903 Depth=2
	s_or_saveexec_b32 s25, s25
	v_mov_b32_e32 v11, s24
	s_xor_b32 exec_lo, exec_lo, s25
	s_cbranch_execnz .LBB6_6761
.LBB6_5082:                             ;   in Loop: Header=BB6_4903 Depth=2
	s_or_b32 exec_lo, exec_lo, s25
	s_and_saveexec_b32 s24, s7
	s_cbranch_execz .LBB6_5084
.LBB6_5083:                             ;   in Loop: Header=BB6_4903 Depth=2
	v_bfe_u32 v11, v13, 16, 3
	s_delay_alu instid0(VALU_DEP_1) | instskip(NEXT) | instid1(VALU_DEP_1)
	v_clz_i32_u32_e32 v12, v11
	v_min_u32_e32 v12, 32, v12
	s_delay_alu instid0(VALU_DEP_1) | instskip(SKIP_1) | instid1(VALU_DEP_2)
	v_subrev_nc_u32_e32 v14, 28, v12
	v_sub_nc_u32_e32 v12, 29, v12
	v_lshlrev_b32_e32 v10, v14, v10
	v_bfe_u32 v14, v13, 19, 4
	s_delay_alu instid0(VALU_DEP_2) | instskip(NEXT) | instid1(VALU_DEP_2)
	v_and_b32_e32 v10, 7, v10
	v_cmp_eq_u32_e32 vcc_lo, 0, v14
	v_dual_cndmask_b32 v12, v14, v12 :: v_dual_lshlrev_b32 v15, 8, v13
	s_delay_alu instid0(VALU_DEP_1) | instskip(NEXT) | instid1(VALU_DEP_2)
	v_dual_cndmask_b32 v10, v11, v10 :: v_dual_and_b32 v11, 0x80000000, v15
	v_lshl_add_u32 v12, v12, 23, 0x3b800000
	s_delay_alu instid0(VALU_DEP_2) | instskip(NEXT) | instid1(VALU_DEP_1)
	v_lshlrev_b32_e32 v10, 20, v10
	v_or3_b32 v11, v11, v12, v10
.LBB6_5084:                             ;   in Loop: Header=BB6_4903 Depth=2
	s_or_b32 exec_lo, exec_lo, s24
	s_delay_alu instid0(VALU_DEP_1) | instskip(SKIP_1) | instid1(VALU_DEP_1)
	v_dual_mul_f32 v10, s23, v11 :: v_dual_mov_b32 v75, 0x80
	s_mov_b32 s24, exec_lo
	v_and_b32_e32 v11, 0x7f800000, v10
	s_delay_alu instid0(VALU_DEP_1)
	v_cmpx_ne_u32_e32 0x7f800000, v11
	s_cbranch_execz .LBB6_5092
; %bb.5085:                             ;   in Loop: Header=BB6_4903 Depth=2
	v_mov_b32_e32 v75, 0
	s_mov_b32 s25, exec_lo
	v_cmpx_ne_u32_e32 0, v10
	s_cbranch_execz .LBB6_5091
; %bb.5086:                             ;   in Loop: Header=BB6_4903 Depth=2
	v_bfe_u32 v11, v10, 23, 8
	v_and_b32_e32 v12, 0x7fffff, v10
	s_delay_alu instid0(VALU_DEP_2) | instskip(SKIP_1) | instid1(VALU_DEP_3)
	v_sub_nc_u32_e32 v14, 0x78, v11
	v_cmp_gt_u32_e32 vcc_lo, 0x79, v11
	v_or_b32_e32 v15, 0x800000, v12
	s_delay_alu instid0(VALU_DEP_3) | instskip(SKIP_2) | instid1(VALU_DEP_3)
	v_cndmask_b32_e32 v14, 0, v14, vcc_lo
	v_cmp_eq_u32_e32 vcc_lo, 0, v11
	v_add_nc_u32_e32 v11, 0xffffff89, v11
	v_cndmask_b32_e64 v14, v14, 0x77, vcc_lo
	v_cndmask_b32_e32 v12, v15, v12, vcc_lo
	s_delay_alu instid0(VALU_DEP_3) | instskip(NEXT) | instid1(VALU_DEP_3)
	v_cndmask_b32_e64 v11, v11, 0xffffff8a, vcc_lo
	v_lshl_add_u32 v15, 0x100000, v14, -1
	s_delay_alu instid0(VALU_DEP_3) | instskip(SKIP_1) | instid1(VALU_DEP_4)
	v_lshrrev_b32_e32 v16, v14, v12
	v_lshlrev_b32_e64 v18, v14, 0x80000
	v_add_nc_u32_e32 v14, v14, v11
	s_delay_alu instid0(VALU_DEP_4) | instskip(NEXT) | instid1(VALU_DEP_4)
	v_and_b32_e32 v12, v15, v12
	v_bfe_u32 v17, v16, 20, 1
	s_delay_alu instid0(VALU_DEP_2) | instskip(NEXT) | instid1(VALU_DEP_2)
	v_cmp_eq_u32_e64 s7, v12, v18
	v_add_nc_u32_e32 v15, -1, v17
	s_delay_alu instid0(VALU_DEP_1) | instskip(SKIP_2) | instid1(VALU_DEP_2)
	v_cndmask_b32_e64 v12, 0, v15, s7
	v_lshrrev_b32_e32 v15, 23, v16
	s_mov_b32 s7, exec_lo
	v_add_nc_u32_e32 v12, v12, v16
	s_delay_alu instid0(VALU_DEP_2) | instskip(NEXT) | instid1(VALU_DEP_2)
	v_xor_b32_e32 v15, 1, v15
	v_and_b32_e32 v11, 0xfffff, v12
	s_delay_alu instid0(VALU_DEP_1) | instskip(NEXT) | instid1(VALU_DEP_3)
	v_add_nc_u32_e32 v12, v11, v16
                                        ; implicit-def: $vgpr11
	v_cmpx_ne_u32_e64 v14, v15
	s_xor_b32 s7, exec_lo, s7
; %bb.5087:                             ;   in Loop: Header=BB6_4903 Depth=2
	s_delay_alu instid0(VALU_DEP_2) | instskip(SKIP_2) | instid1(VALU_DEP_2)
	v_cmp_lt_u32_e32 vcc_lo, 0xffffff, v12
	v_sub_nc_u32_e32 v11, v14, v15
	v_cndmask_b32_e64 v14, 0, 1, vcc_lo
	v_add_co_ci_u32_e32 v11, vcc_lo, 0, v11, vcc_lo
	s_delay_alu instid0(VALU_DEP_2)
	v_lshrrev_b32_e32 v12, v14, v12
; %bb.5088:                             ;   in Loop: Header=BB6_4903 Depth=2
	s_and_not1_saveexec_b32 s7, s7
; %bb.5089:                             ;   in Loop: Header=BB6_4903 Depth=2
	s_delay_alu instid0(VALU_DEP_1)
	v_bfe_u32 v11, v12, 23, 1
; %bb.5090:                             ;   in Loop: Header=BB6_4903 Depth=2
	s_or_b32 exec_lo, exec_lo, s7
	v_lshrrev_b32_e32 v12, 20, v12
	s_delay_alu instid0(VALU_DEP_2) | instskip(SKIP_2) | instid1(VALU_DEP_3)
	v_min_i32_e32 v14, 15, v11
	v_cmp_gt_i32_e32 vcc_lo, 16, v11
	v_lshrrev_b32_e32 v10, 24, v10
	v_lshlrev_b32_e32 v14, 3, v14
	v_cndmask_b32_e32 v12, 7, v12, vcc_lo
	s_delay_alu instid0(VALU_DEP_3) | instskip(NEXT) | instid1(VALU_DEP_3)
	v_and_b32_e32 v10, 0x80, v10
	v_and_b32_e32 v14, 0xf8, v14
	s_delay_alu instid0(VALU_DEP_3) | instskip(SKIP_1) | instid1(VALU_DEP_2)
	v_and_b32_e32 v15, 7, v12
	v_or_b32_e32 v11, v11, v12
	v_or3_b32 v10, v14, v10, v15
	s_delay_alu instid0(VALU_DEP_2) | instskip(NEXT) | instid1(VALU_DEP_2)
	v_cmp_ne_u32_e32 vcc_lo, 0, v11
	v_cndmask_b32_e32 v75, 0, v10, vcc_lo
.LBB6_5091:                             ;   in Loop: Header=BB6_4903 Depth=2
	s_or_b32 exec_lo, exec_lo, s25
.LBB6_5092:                             ;   in Loop: Header=BB6_4903 Depth=2
	s_delay_alu instid0(SALU_CYCLE_1) | instskip(SKIP_3) | instid1(VALU_DEP_1)
	s_or_b32 exec_lo, exec_lo, s24
	v_lshrrev_b32_e32 v10, 24, v13
	s_mov_b32 s7, 0
	s_mov_b32 s25, exec_lo
                                        ; implicit-def: $sgpr24
	v_cmpx_lt_i16_e32 0x7f, v10
	s_xor_b32 s25, exec_lo, s25
	s_cbranch_execnz .LBB6_6762
; %bb.5093:                             ;   in Loop: Header=BB6_4903 Depth=2
	s_or_saveexec_b32 s25, s25
	v_mov_b32_e32 v11, s24
	s_xor_b32 exec_lo, exec_lo, s25
	s_cbranch_execnz .LBB6_6765
.LBB6_5094:                             ;   in Loop: Header=BB6_4903 Depth=2
	s_or_b32 exec_lo, exec_lo, s25
	s_and_saveexec_b32 s24, s7
	s_cbranch_execz .LBB6_5096
.LBB6_5095:                             ;   in Loop: Header=BB6_4903 Depth=2
	v_bfe_u32 v11, v13, 24, 3
	s_delay_alu instid0(VALU_DEP_1) | instskip(NEXT) | instid1(VALU_DEP_1)
	v_clz_i32_u32_e32 v12, v11
	v_min_u32_e32 v12, 32, v12
	s_delay_alu instid0(VALU_DEP_1) | instskip(SKIP_1) | instid1(VALU_DEP_2)
	v_subrev_nc_u32_e32 v14, 28, v12
	v_sub_nc_u32_e32 v12, 29, v12
	v_lshlrev_b32_e32 v10, v14, v10
	v_bfe_u32 v14, v13, 27, 4
	s_delay_alu instid0(VALU_DEP_2) | instskip(NEXT) | instid1(VALU_DEP_2)
	v_and_b32_e32 v10, 7, v10
	v_cmp_eq_u32_e32 vcc_lo, 0, v14
	v_cndmask_b32_e32 v12, v14, v12, vcc_lo
	s_delay_alu instid0(VALU_DEP_3) | instskip(NEXT) | instid1(VALU_DEP_2)
	v_dual_cndmask_b32 v10, v11, v10 :: v_dual_and_b32 v11, 0x80000000, v13
	v_lshl_add_u32 v12, v12, 23, 0x3b800000
	s_delay_alu instid0(VALU_DEP_2) | instskip(NEXT) | instid1(VALU_DEP_1)
	v_lshlrev_b32_e32 v10, 20, v10
	v_or3_b32 v11, v11, v12, v10
.LBB6_5096:                             ;   in Loop: Header=BB6_4903 Depth=2
	s_or_b32 exec_lo, exec_lo, s24
	s_delay_alu instid0(VALU_DEP_1) | instskip(SKIP_1) | instid1(VALU_DEP_1)
	v_dual_mul_f32 v10, s23, v11 :: v_dual_mov_b32 v77, 0x8000
	s_mov_b32 s24, exec_lo
	v_and_b32_e32 v11, 0x7f800000, v10
	s_delay_alu instid0(VALU_DEP_1)
	v_cmpx_ne_u32_e32 0x7f800000, v11
	s_cbranch_execz .LBB6_5104
; %bb.5097:                             ;   in Loop: Header=BB6_4903 Depth=2
	v_mov_b32_e32 v77, 0
	s_mov_b32 s25, exec_lo
	v_cmpx_ne_u32_e32 0, v10
	s_cbranch_execz .LBB6_5103
; %bb.5098:                             ;   in Loop: Header=BB6_4903 Depth=2
	v_bfe_u32 v11, v10, 23, 8
	s_delay_alu instid0(VALU_DEP_1) | instskip(SKIP_1) | instid1(VALU_DEP_2)
	v_sub_nc_u32_e32 v13, 0x78, v11
	v_cmp_gt_u32_e32 vcc_lo, 0x79, v11
	v_dual_cndmask_b32 v13, 0, v13 :: v_dual_and_b32 v12, 0x7fffff, v10
	s_delay_alu instid0(VALU_DEP_1) | instskip(SKIP_2) | instid1(VALU_DEP_4)
	v_or_b32_e32 v14, 0x800000, v12
	v_cmp_eq_u32_e32 vcc_lo, 0, v11
	v_add_nc_u32_e32 v11, 0xffffff89, v11
	v_cndmask_b32_e64 v13, v13, 0x77, vcc_lo
	s_delay_alu instid0(VALU_DEP_4) | instskip(NEXT) | instid1(VALU_DEP_3)
	v_cndmask_b32_e32 v12, v14, v12, vcc_lo
	v_cndmask_b32_e64 v11, v11, 0xffffff8a, vcc_lo
	s_delay_alu instid0(VALU_DEP_3) | instskip(NEXT) | instid1(VALU_DEP_3)
	v_lshl_add_u32 v14, 0x100000, v13, -1
	v_lshrrev_b32_e32 v15, v13, v12
	v_lshlrev_b32_e64 v17, v13, 0x80000
	s_delay_alu instid0(VALU_DEP_4) | instskip(NEXT) | instid1(VALU_DEP_4)
	v_add_nc_u32_e32 v13, v13, v11
	v_and_b32_e32 v12, v14, v12
	s_delay_alu instid0(VALU_DEP_4) | instskip(NEXT) | instid1(VALU_DEP_2)
	v_bfe_u32 v16, v15, 20, 1
	v_cmp_eq_u32_e64 s7, v12, v17
	s_delay_alu instid0(VALU_DEP_2) | instskip(NEXT) | instid1(VALU_DEP_1)
	v_add_nc_u32_e32 v14, -1, v16
	v_cndmask_b32_e64 v12, 0, v14, s7
	v_lshrrev_b32_e32 v14, 23, v15
	s_mov_b32 s7, exec_lo
	s_delay_alu instid0(VALU_DEP_2) | instskip(NEXT) | instid1(VALU_DEP_2)
	v_add_nc_u32_e32 v12, v12, v15
	v_xor_b32_e32 v14, 1, v14
	s_delay_alu instid0(VALU_DEP_2) | instskip(NEXT) | instid1(VALU_DEP_1)
	v_and_b32_e32 v11, 0xfffff, v12
	v_add_nc_u32_e32 v12, v11, v15
                                        ; implicit-def: $vgpr11
	s_delay_alu instid0(VALU_DEP_3)
	v_cmpx_ne_u32_e64 v13, v14
	s_xor_b32 s7, exec_lo, s7
; %bb.5099:                             ;   in Loop: Header=BB6_4903 Depth=2
	s_delay_alu instid0(VALU_DEP_2) | instskip(SKIP_2) | instid1(VALU_DEP_2)
	v_cmp_lt_u32_e32 vcc_lo, 0xffffff, v12
	v_sub_nc_u32_e32 v11, v13, v14
	v_cndmask_b32_e64 v13, 0, 1, vcc_lo
	v_add_co_ci_u32_e32 v11, vcc_lo, 0, v11, vcc_lo
	s_delay_alu instid0(VALU_DEP_2)
	v_lshrrev_b32_e32 v12, v13, v12
; %bb.5100:                             ;   in Loop: Header=BB6_4903 Depth=2
	s_and_not1_saveexec_b32 s7, s7
; %bb.5101:                             ;   in Loop: Header=BB6_4903 Depth=2
	s_delay_alu instid0(VALU_DEP_1)
	v_bfe_u32 v11, v12, 23, 1
; %bb.5102:                             ;   in Loop: Header=BB6_4903 Depth=2
	s_or_b32 exec_lo, exec_lo, s7
	v_lshrrev_b32_e32 v12, 20, v12
	s_delay_alu instid0(VALU_DEP_2) | instskip(SKIP_2) | instid1(VALU_DEP_2)
	v_cmp_gt_i32_e32 vcc_lo, 16, v11
	v_min_i32_e32 v13, 15, v11
	v_lshrrev_b32_e32 v10, 24, v10
	v_dual_cndmask_b32 v12, 7, v12 :: v_dual_lshlrev_b32 v13, 3, v13
	s_delay_alu instid0(VALU_DEP_2) | instskip(NEXT) | instid1(VALU_DEP_2)
	v_and_b32_e32 v10, 0x80, v10
	v_or_b32_e32 v11, v11, v12
	s_delay_alu instid0(VALU_DEP_3) | instskip(NEXT) | instid1(VALU_DEP_2)
	v_and_b32_e32 v13, 0xf8, v13
	v_cmp_ne_u32_e32 vcc_lo, 0, v11
	v_and_b32_e32 v14, 7, v12
	s_delay_alu instid0(VALU_DEP_1) | instskip(NEXT) | instid1(VALU_DEP_1)
	v_or3_b32 v10, v10, v13, v14
	v_lshlrev_b32_e32 v10, 8, v10
	s_delay_alu instid0(VALU_DEP_1)
	v_cndmask_b32_e32 v77, 0, v10, vcc_lo
.LBB6_5103:                             ;   in Loop: Header=BB6_4903 Depth=2
	s_or_b32 exec_lo, exec_lo, s25
.LBB6_5104:                             ;   in Loop: Header=BB6_4903 Depth=2
	s_delay_alu instid0(SALU_CYCLE_1)
	s_or_b32 exec_lo, exec_lo, s24
	global_load_b128 v[10:13], v[64:65], off offset:512 slc dlc
	s_mov_b32 s7, 0
	s_mov_b32 s25, exec_lo
                                        ; implicit-def: $sgpr24
	s_waitcnt vmcnt(0)
	v_and_b32_e32 v15, 0xff, v10
	s_delay_alu instid0(VALU_DEP_1)
	v_cmpx_lt_i16_e32 0x7f, v15
	s_xor_b32 s25, exec_lo, s25
	s_cbranch_execnz .LBB6_6766
; %bb.5105:                             ;   in Loop: Header=BB6_4903 Depth=2
	s_or_saveexec_b32 s25, s25
	v_mov_b32_e32 v14, s24
	s_xor_b32 exec_lo, exec_lo, s25
	s_cbranch_execnz .LBB6_6769
.LBB6_5106:                             ;   in Loop: Header=BB6_4903 Depth=2
	s_or_b32 exec_lo, exec_lo, s25
	s_and_saveexec_b32 s24, s7
	s_cbranch_execz .LBB6_5108
.LBB6_5107:                             ;   in Loop: Header=BB6_4903 Depth=2
	v_bfe_u32 v17, v10, 3, 4
	v_lshlrev_b32_e32 v18, 24, v10
	s_delay_alu instid0(VALU_DEP_2) | instskip(SKIP_1) | instid1(VALU_DEP_1)
	v_cmp_eq_u32_e32 vcc_lo, 0, v17
	v_and_b32_e32 v14, 7, v10
	v_clz_i32_u32_e32 v15, v14
	s_delay_alu instid0(VALU_DEP_1) | instskip(NEXT) | instid1(VALU_DEP_1)
	v_min_u32_e32 v15, 32, v15
	v_subrev_nc_u32_e32 v16, 28, v15
	v_sub_nc_u32_e32 v15, 29, v15
	s_delay_alu instid0(VALU_DEP_1) | instskip(NEXT) | instid1(VALU_DEP_1)
	v_dual_cndmask_b32 v15, v17, v15 :: v_dual_lshlrev_b32 v16, v16, v10
	v_and_b32_e32 v16, 7, v16
	s_delay_alu instid0(VALU_DEP_2) | instskip(NEXT) | instid1(VALU_DEP_2)
	v_lshl_add_u32 v15, v15, 23, 0x3b800000
	v_cndmask_b32_e32 v14, v14, v16, vcc_lo
	v_and_b32_e32 v16, 0x80000000, v18
	s_delay_alu instid0(VALU_DEP_2) | instskip(NEXT) | instid1(VALU_DEP_1)
	v_lshlrev_b32_e32 v14, 20, v14
	v_or3_b32 v14, v16, v15, v14
.LBB6_5108:                             ;   in Loop: Header=BB6_4903 Depth=2
	s_or_b32 exec_lo, exec_lo, s24
	s_delay_alu instid0(VALU_DEP_1) | instskip(SKIP_2) | instid1(VALU_DEP_2)
	v_mul_f32_e32 v14, s23, v14
	v_mov_b32_e32 v76, 0x80
	s_mov_b32 s24, exec_lo
	v_and_b32_e32 v15, 0x7f800000, v14
	s_delay_alu instid0(VALU_DEP_1)
	v_cmpx_ne_u32_e32 0x7f800000, v15
	s_cbranch_execz .LBB6_5116
; %bb.5109:                             ;   in Loop: Header=BB6_4903 Depth=2
	v_mov_b32_e32 v76, 0
	s_mov_b32 s25, exec_lo
	v_cmpx_ne_u32_e32 0, v14
	s_cbranch_execz .LBB6_5115
; %bb.5110:                             ;   in Loop: Header=BB6_4903 Depth=2
	v_bfe_u32 v15, v14, 23, 8
	s_delay_alu instid0(VALU_DEP_1) | instskip(SKIP_1) | instid1(VALU_DEP_2)
	v_sub_nc_u32_e32 v17, 0x78, v15
	v_cmp_gt_u32_e32 vcc_lo, 0x79, v15
	v_dual_cndmask_b32 v17, 0, v17 :: v_dual_and_b32 v16, 0x7fffff, v14
	s_delay_alu instid0(VALU_DEP_1) | instskip(SKIP_2) | instid1(VALU_DEP_4)
	v_or_b32_e32 v18, 0x800000, v16
	v_cmp_eq_u32_e32 vcc_lo, 0, v15
	v_add_nc_u32_e32 v15, 0xffffff89, v15
	v_cndmask_b32_e64 v17, v17, 0x77, vcc_lo
	s_delay_alu instid0(VALU_DEP_4) | instskip(NEXT) | instid1(VALU_DEP_3)
	v_cndmask_b32_e32 v16, v18, v16, vcc_lo
	v_cndmask_b32_e64 v15, v15, 0xffffff8a, vcc_lo
	s_delay_alu instid0(VALU_DEP_3) | instskip(NEXT) | instid1(VALU_DEP_3)
	v_lshl_add_u32 v18, 0x100000, v17, -1
	v_lshrrev_b32_e32 v19, v17, v16
	v_lshlrev_b32_e64 v21, v17, 0x80000
	s_delay_alu instid0(VALU_DEP_4) | instskip(NEXT) | instid1(VALU_DEP_4)
	v_add_nc_u32_e32 v17, v17, v15
	v_and_b32_e32 v16, v18, v16
	s_delay_alu instid0(VALU_DEP_4) | instskip(NEXT) | instid1(VALU_DEP_2)
	v_bfe_u32 v20, v19, 20, 1
	v_cmp_eq_u32_e64 s7, v16, v21
	s_delay_alu instid0(VALU_DEP_2) | instskip(NEXT) | instid1(VALU_DEP_1)
	v_add_nc_u32_e32 v18, -1, v20
	v_cndmask_b32_e64 v16, 0, v18, s7
	v_lshrrev_b32_e32 v18, 23, v19
	s_mov_b32 s7, exec_lo
	s_delay_alu instid0(VALU_DEP_2) | instskip(NEXT) | instid1(VALU_DEP_2)
	v_add_nc_u32_e32 v16, v16, v19
	v_xor_b32_e32 v18, 1, v18
	s_delay_alu instid0(VALU_DEP_2) | instskip(NEXT) | instid1(VALU_DEP_1)
	v_and_b32_e32 v15, 0xfffff, v16
	v_add_nc_u32_e32 v16, v15, v19
                                        ; implicit-def: $vgpr15
	s_delay_alu instid0(VALU_DEP_3)
	v_cmpx_ne_u32_e64 v17, v18
	s_xor_b32 s7, exec_lo, s7
; %bb.5111:                             ;   in Loop: Header=BB6_4903 Depth=2
	s_delay_alu instid0(VALU_DEP_2) | instskip(SKIP_2) | instid1(VALU_DEP_2)
	v_cmp_lt_u32_e32 vcc_lo, 0xffffff, v16
	v_sub_nc_u32_e32 v15, v17, v18
	v_cndmask_b32_e64 v17, 0, 1, vcc_lo
	v_add_co_ci_u32_e32 v15, vcc_lo, 0, v15, vcc_lo
	s_delay_alu instid0(VALU_DEP_2)
	v_lshrrev_b32_e32 v16, v17, v16
; %bb.5112:                             ;   in Loop: Header=BB6_4903 Depth=2
	s_and_not1_saveexec_b32 s7, s7
; %bb.5113:                             ;   in Loop: Header=BB6_4903 Depth=2
	s_delay_alu instid0(VALU_DEP_1)
	v_bfe_u32 v15, v16, 23, 1
; %bb.5114:                             ;   in Loop: Header=BB6_4903 Depth=2
	s_or_b32 exec_lo, exec_lo, s7
	v_lshrrev_b32_e32 v16, 20, v16
	s_delay_alu instid0(VALU_DEP_2) | instskip(SKIP_2) | instid1(VALU_DEP_4)
	v_cmp_gt_i32_e32 vcc_lo, 16, v15
	v_lshrrev_b32_e32 v14, 24, v14
	v_min_i32_e32 v17, 15, v15
	v_cndmask_b32_e32 v16, 7, v16, vcc_lo
	s_delay_alu instid0(VALU_DEP_3) | instskip(NEXT) | instid1(VALU_DEP_3)
	v_and_b32_e32 v14, 0x80, v14
	v_lshlrev_b32_e32 v17, 3, v17
	s_delay_alu instid0(VALU_DEP_3) | instskip(SKIP_1) | instid1(VALU_DEP_2)
	v_and_b32_e32 v18, 7, v16
	v_or_b32_e32 v15, v15, v16
	v_or3_b32 v14, v17, v14, v18
	s_delay_alu instid0(VALU_DEP_2) | instskip(NEXT) | instid1(VALU_DEP_2)
	v_cmp_ne_u32_e32 vcc_lo, 0, v15
	v_cndmask_b32_e32 v76, 0, v14, vcc_lo
.LBB6_5115:                             ;   in Loop: Header=BB6_4903 Depth=2
	s_or_b32 exec_lo, exec_lo, s25
.LBB6_5116:                             ;   in Loop: Header=BB6_4903 Depth=2
	s_delay_alu instid0(SALU_CYCLE_1) | instskip(SKIP_3) | instid1(VALU_DEP_1)
	s_or_b32 exec_lo, exec_lo, s24
	v_lshrrev_b16 v14, 8, v10
	s_mov_b32 s7, 0
	s_mov_b32 s25, exec_lo
                                        ; implicit-def: $sgpr24
	v_cmpx_lt_i16_e32 0x7f, v14
	s_xor_b32 s25, exec_lo, s25
	s_cbranch_execnz .LBB6_6770
; %bb.5117:                             ;   in Loop: Header=BB6_4903 Depth=2
	s_or_saveexec_b32 s25, s25
	v_mov_b32_e32 v15, s24
	s_xor_b32 exec_lo, exec_lo, s25
	s_cbranch_execnz .LBB6_6773
.LBB6_5118:                             ;   in Loop: Header=BB6_4903 Depth=2
	s_or_b32 exec_lo, exec_lo, s25
	s_and_saveexec_b32 s24, s7
	s_cbranch_execz .LBB6_5120
.LBB6_5119:                             ;   in Loop: Header=BB6_4903 Depth=2
	v_and_b32_e32 v15, 0xffff, v14
	v_lshlrev_b32_e32 v14, 24, v14
	s_delay_alu instid0(VALU_DEP_2) | instskip(NEXT) | instid1(VALU_DEP_2)
	v_and_b32_e32 v16, 7, v15
	v_and_b32_e32 v14, 0x80000000, v14
	s_delay_alu instid0(VALU_DEP_2) | instskip(NEXT) | instid1(VALU_DEP_1)
	v_clz_i32_u32_e32 v17, v16
	v_min_u32_e32 v17, 32, v17
	s_delay_alu instid0(VALU_DEP_1) | instskip(SKIP_1) | instid1(VALU_DEP_2)
	v_subrev_nc_u32_e32 v18, 28, v17
	v_sub_nc_u32_e32 v17, 29, v17
	v_lshlrev_b32_e32 v18, v18, v15
	v_bfe_u32 v15, v15, 3, 4
	s_delay_alu instid0(VALU_DEP_2) | instskip(NEXT) | instid1(VALU_DEP_2)
	v_and_b32_e32 v18, 7, v18
	v_cmp_eq_u32_e32 vcc_lo, 0, v15
	s_delay_alu instid0(VALU_DEP_2) | instskip(NEXT) | instid1(VALU_DEP_1)
	v_dual_cndmask_b32 v15, v15, v17 :: v_dual_cndmask_b32 v16, v16, v18
	v_lshl_add_u32 v15, v15, 23, 0x3b800000
	s_delay_alu instid0(VALU_DEP_2) | instskip(NEXT) | instid1(VALU_DEP_1)
	v_lshlrev_b32_e32 v16, 20, v16
	v_or3_b32 v15, v14, v15, v16
.LBB6_5120:                             ;   in Loop: Header=BB6_4903 Depth=2
	s_or_b32 exec_lo, exec_lo, s24
	s_delay_alu instid0(VALU_DEP_1) | instskip(SKIP_1) | instid1(VALU_DEP_1)
	v_dual_mul_f32 v14, s23, v15 :: v_dual_mov_b32 v73, 0x80
	s_mov_b32 s24, exec_lo
	v_and_b32_e32 v15, 0x7f800000, v14
	s_delay_alu instid0(VALU_DEP_1)
	v_cmpx_ne_u32_e32 0x7f800000, v15
	s_cbranch_execz .LBB6_5128
; %bb.5121:                             ;   in Loop: Header=BB6_4903 Depth=2
	v_mov_b32_e32 v73, 0
	s_mov_b32 s25, exec_lo
	v_cmpx_ne_u32_e32 0, v14
	s_cbranch_execz .LBB6_5127
; %bb.5122:                             ;   in Loop: Header=BB6_4903 Depth=2
	v_bfe_u32 v15, v14, 23, 8
	s_delay_alu instid0(VALU_DEP_1) | instskip(SKIP_1) | instid1(VALU_DEP_2)
	v_sub_nc_u32_e32 v17, 0x78, v15
	v_cmp_gt_u32_e32 vcc_lo, 0x79, v15
	v_dual_cndmask_b32 v17, 0, v17 :: v_dual_and_b32 v16, 0x7fffff, v14
	s_delay_alu instid0(VALU_DEP_1) | instskip(SKIP_2) | instid1(VALU_DEP_4)
	v_or_b32_e32 v18, 0x800000, v16
	v_cmp_eq_u32_e32 vcc_lo, 0, v15
	v_add_nc_u32_e32 v15, 0xffffff89, v15
	v_cndmask_b32_e64 v17, v17, 0x77, vcc_lo
	s_delay_alu instid0(VALU_DEP_4) | instskip(NEXT) | instid1(VALU_DEP_3)
	v_cndmask_b32_e32 v16, v18, v16, vcc_lo
	v_cndmask_b32_e64 v15, v15, 0xffffff8a, vcc_lo
	s_delay_alu instid0(VALU_DEP_3) | instskip(NEXT) | instid1(VALU_DEP_3)
	v_lshl_add_u32 v18, 0x100000, v17, -1
	v_lshrrev_b32_e32 v19, v17, v16
	v_lshlrev_b32_e64 v21, v17, 0x80000
	s_delay_alu instid0(VALU_DEP_4) | instskip(NEXT) | instid1(VALU_DEP_4)
	v_add_nc_u32_e32 v17, v17, v15
	v_and_b32_e32 v16, v18, v16
	s_delay_alu instid0(VALU_DEP_4) | instskip(NEXT) | instid1(VALU_DEP_2)
	v_bfe_u32 v20, v19, 20, 1
	v_cmp_eq_u32_e64 s7, v16, v21
	s_delay_alu instid0(VALU_DEP_2) | instskip(NEXT) | instid1(VALU_DEP_1)
	v_add_nc_u32_e32 v18, -1, v20
	v_cndmask_b32_e64 v16, 0, v18, s7
	v_lshrrev_b32_e32 v18, 23, v19
	s_mov_b32 s7, exec_lo
	s_delay_alu instid0(VALU_DEP_2) | instskip(NEXT) | instid1(VALU_DEP_2)
	v_add_nc_u32_e32 v16, v16, v19
	v_xor_b32_e32 v18, 1, v18
	s_delay_alu instid0(VALU_DEP_2) | instskip(NEXT) | instid1(VALU_DEP_1)
	v_and_b32_e32 v15, 0xfffff, v16
	v_add_nc_u32_e32 v16, v15, v19
                                        ; implicit-def: $vgpr15
	s_delay_alu instid0(VALU_DEP_3)
	v_cmpx_ne_u32_e64 v17, v18
	s_xor_b32 s7, exec_lo, s7
; %bb.5123:                             ;   in Loop: Header=BB6_4903 Depth=2
	s_delay_alu instid0(VALU_DEP_2) | instskip(SKIP_2) | instid1(VALU_DEP_2)
	v_cmp_lt_u32_e32 vcc_lo, 0xffffff, v16
	v_sub_nc_u32_e32 v15, v17, v18
	v_cndmask_b32_e64 v17, 0, 1, vcc_lo
	v_add_co_ci_u32_e32 v15, vcc_lo, 0, v15, vcc_lo
	s_delay_alu instid0(VALU_DEP_2)
	v_lshrrev_b32_e32 v16, v17, v16
; %bb.5124:                             ;   in Loop: Header=BB6_4903 Depth=2
	s_and_not1_saveexec_b32 s7, s7
; %bb.5125:                             ;   in Loop: Header=BB6_4903 Depth=2
	s_delay_alu instid0(VALU_DEP_1)
	v_bfe_u32 v15, v16, 23, 1
; %bb.5126:                             ;   in Loop: Header=BB6_4903 Depth=2
	s_or_b32 exec_lo, exec_lo, s7
	v_lshrrev_b32_e32 v16, 20, v16
	s_delay_alu instid0(VALU_DEP_2) | instskip(SKIP_2) | instid1(VALU_DEP_2)
	v_cmp_gt_i32_e32 vcc_lo, 16, v15
	v_min_i32_e32 v17, 15, v15
	v_lshrrev_b32_e32 v14, 24, v14
	v_dual_cndmask_b32 v16, 7, v16 :: v_dual_lshlrev_b32 v17, 3, v17
	s_delay_alu instid0(VALU_DEP_2) | instskip(NEXT) | instid1(VALU_DEP_2)
	v_and_b32_e32 v14, 0x80, v14
	v_or_b32_e32 v15, v15, v16
	s_delay_alu instid0(VALU_DEP_1) | instskip(SKIP_1) | instid1(VALU_DEP_1)
	v_cmp_ne_u32_e32 vcc_lo, 0, v15
	v_and_b32_e32 v18, 7, v16
	v_or3_b32 v14, v17, v14, v18
	s_delay_alu instid0(VALU_DEP_1)
	v_cndmask_b32_e32 v73, 0, v14, vcc_lo
.LBB6_5127:                             ;   in Loop: Header=BB6_4903 Depth=2
	s_or_b32 exec_lo, exec_lo, s25
.LBB6_5128:                             ;   in Loop: Header=BB6_4903 Depth=2
	s_delay_alu instid0(SALU_CYCLE_1) | instskip(SKIP_3) | instid1(VALU_DEP_1)
	s_or_b32 exec_lo, exec_lo, s24
	v_lshrrev_b32_e32 v14, 16, v10
	s_mov_b32 s7, 0
	s_mov_b32 s25, exec_lo
                                        ; implicit-def: $sgpr24
	v_and_b32_e32 v16, 0xff, v14
	s_delay_alu instid0(VALU_DEP_1)
	v_cmpx_lt_i16_e32 0x7f, v16
	s_xor_b32 s25, exec_lo, s25
	s_cbranch_execnz .LBB6_6774
; %bb.5129:                             ;   in Loop: Header=BB6_4903 Depth=2
	s_or_saveexec_b32 s25, s25
	v_mov_b32_e32 v15, s24
	s_xor_b32 exec_lo, exec_lo, s25
	s_cbranch_execnz .LBB6_6777
.LBB6_5130:                             ;   in Loop: Header=BB6_4903 Depth=2
	s_or_b32 exec_lo, exec_lo, s25
	s_and_saveexec_b32 s24, s7
	s_cbranch_execz .LBB6_5132
.LBB6_5131:                             ;   in Loop: Header=BB6_4903 Depth=2
	v_bfe_u32 v15, v10, 16, 3
	v_lshlrev_b32_e32 v18, 8, v10
	s_delay_alu instid0(VALU_DEP_2) | instskip(NEXT) | instid1(VALU_DEP_1)
	v_clz_i32_u32_e32 v16, v15
	v_min_u32_e32 v16, 32, v16
	s_delay_alu instid0(VALU_DEP_1) | instskip(SKIP_1) | instid1(VALU_DEP_2)
	v_subrev_nc_u32_e32 v17, 28, v16
	v_sub_nc_u32_e32 v16, 29, v16
	v_lshlrev_b32_e32 v14, v17, v14
	v_bfe_u32 v17, v10, 19, 4
	s_delay_alu instid0(VALU_DEP_2) | instskip(NEXT) | instid1(VALU_DEP_2)
	v_and_b32_e32 v14, 7, v14
	v_cmp_eq_u32_e32 vcc_lo, 0, v17
	v_cndmask_b32_e32 v16, v17, v16, vcc_lo
	s_delay_alu instid0(VALU_DEP_3) | instskip(SKIP_1) | instid1(VALU_DEP_3)
	v_cndmask_b32_e32 v14, v15, v14, vcc_lo
	v_and_b32_e32 v15, 0x80000000, v18
	v_lshl_add_u32 v16, v16, 23, 0x3b800000
	s_delay_alu instid0(VALU_DEP_3) | instskip(NEXT) | instid1(VALU_DEP_1)
	v_lshlrev_b32_e32 v14, 20, v14
	v_or3_b32 v15, v15, v16, v14
.LBB6_5132:                             ;   in Loop: Header=BB6_4903 Depth=2
	s_or_b32 exec_lo, exec_lo, s24
	s_delay_alu instid0(VALU_DEP_1) | instskip(SKIP_2) | instid1(VALU_DEP_2)
	v_mul_f32_e32 v14, s23, v15
	v_mov_b32_e32 v72, 0x80
	s_mov_b32 s24, exec_lo
	v_and_b32_e32 v15, 0x7f800000, v14
	s_delay_alu instid0(VALU_DEP_1)
	v_cmpx_ne_u32_e32 0x7f800000, v15
	s_cbranch_execz .LBB6_5140
; %bb.5133:                             ;   in Loop: Header=BB6_4903 Depth=2
	v_mov_b32_e32 v72, 0
	s_mov_b32 s25, exec_lo
	v_cmpx_ne_u32_e32 0, v14
	s_cbranch_execz .LBB6_5139
; %bb.5134:                             ;   in Loop: Header=BB6_4903 Depth=2
	v_bfe_u32 v15, v14, 23, 8
	s_delay_alu instid0(VALU_DEP_1) | instskip(SKIP_1) | instid1(VALU_DEP_2)
	v_sub_nc_u32_e32 v17, 0x78, v15
	v_cmp_gt_u32_e32 vcc_lo, 0x79, v15
	v_dual_cndmask_b32 v17, 0, v17 :: v_dual_and_b32 v16, 0x7fffff, v14
	s_delay_alu instid0(VALU_DEP_1) | instskip(SKIP_2) | instid1(VALU_DEP_4)
	v_or_b32_e32 v18, 0x800000, v16
	v_cmp_eq_u32_e32 vcc_lo, 0, v15
	v_add_nc_u32_e32 v15, 0xffffff89, v15
	v_cndmask_b32_e64 v17, v17, 0x77, vcc_lo
	s_delay_alu instid0(VALU_DEP_4) | instskip(NEXT) | instid1(VALU_DEP_3)
	v_cndmask_b32_e32 v16, v18, v16, vcc_lo
	v_cndmask_b32_e64 v15, v15, 0xffffff8a, vcc_lo
	s_delay_alu instid0(VALU_DEP_3) | instskip(NEXT) | instid1(VALU_DEP_3)
	v_lshl_add_u32 v18, 0x100000, v17, -1
	v_lshrrev_b32_e32 v19, v17, v16
	v_lshlrev_b32_e64 v21, v17, 0x80000
	s_delay_alu instid0(VALU_DEP_4) | instskip(NEXT) | instid1(VALU_DEP_4)
	v_add_nc_u32_e32 v17, v17, v15
	v_and_b32_e32 v16, v18, v16
	s_delay_alu instid0(VALU_DEP_4) | instskip(NEXT) | instid1(VALU_DEP_2)
	v_bfe_u32 v20, v19, 20, 1
	v_cmp_eq_u32_e64 s7, v16, v21
	s_delay_alu instid0(VALU_DEP_2) | instskip(NEXT) | instid1(VALU_DEP_1)
	v_add_nc_u32_e32 v18, -1, v20
	v_cndmask_b32_e64 v16, 0, v18, s7
	v_lshrrev_b32_e32 v18, 23, v19
	s_mov_b32 s7, exec_lo
	s_delay_alu instid0(VALU_DEP_2) | instskip(NEXT) | instid1(VALU_DEP_2)
	v_add_nc_u32_e32 v16, v16, v19
	v_xor_b32_e32 v18, 1, v18
	s_delay_alu instid0(VALU_DEP_2) | instskip(NEXT) | instid1(VALU_DEP_1)
	v_and_b32_e32 v15, 0xfffff, v16
	v_add_nc_u32_e32 v16, v15, v19
                                        ; implicit-def: $vgpr15
	s_delay_alu instid0(VALU_DEP_3)
	v_cmpx_ne_u32_e64 v17, v18
	s_xor_b32 s7, exec_lo, s7
; %bb.5135:                             ;   in Loop: Header=BB6_4903 Depth=2
	s_delay_alu instid0(VALU_DEP_2) | instskip(SKIP_2) | instid1(VALU_DEP_2)
	v_cmp_lt_u32_e32 vcc_lo, 0xffffff, v16
	v_sub_nc_u32_e32 v15, v17, v18
	v_cndmask_b32_e64 v17, 0, 1, vcc_lo
	v_add_co_ci_u32_e32 v15, vcc_lo, 0, v15, vcc_lo
	s_delay_alu instid0(VALU_DEP_2)
	v_lshrrev_b32_e32 v16, v17, v16
; %bb.5136:                             ;   in Loop: Header=BB6_4903 Depth=2
	s_and_not1_saveexec_b32 s7, s7
; %bb.5137:                             ;   in Loop: Header=BB6_4903 Depth=2
	s_delay_alu instid0(VALU_DEP_1)
	v_bfe_u32 v15, v16, 23, 1
; %bb.5138:                             ;   in Loop: Header=BB6_4903 Depth=2
	s_or_b32 exec_lo, exec_lo, s7
	v_lshrrev_b32_e32 v16, 20, v16
	s_delay_alu instid0(VALU_DEP_2) | instskip(SKIP_2) | instid1(VALU_DEP_4)
	v_cmp_gt_i32_e32 vcc_lo, 16, v15
	v_lshrrev_b32_e32 v14, 24, v14
	v_min_i32_e32 v17, 15, v15
	v_cndmask_b32_e32 v16, 7, v16, vcc_lo
	s_delay_alu instid0(VALU_DEP_3) | instskip(NEXT) | instid1(VALU_DEP_3)
	v_and_b32_e32 v14, 0x80, v14
	v_lshlrev_b32_e32 v17, 3, v17
	s_delay_alu instid0(VALU_DEP_3) | instskip(SKIP_1) | instid1(VALU_DEP_2)
	v_and_b32_e32 v18, 7, v16
	v_or_b32_e32 v15, v15, v16
	v_or3_b32 v14, v17, v14, v18
	s_delay_alu instid0(VALU_DEP_2) | instskip(NEXT) | instid1(VALU_DEP_2)
	v_cmp_ne_u32_e32 vcc_lo, 0, v15
	v_cndmask_b32_e32 v72, 0, v14, vcc_lo
.LBB6_5139:                             ;   in Loop: Header=BB6_4903 Depth=2
	s_or_b32 exec_lo, exec_lo, s25
.LBB6_5140:                             ;   in Loop: Header=BB6_4903 Depth=2
	s_delay_alu instid0(SALU_CYCLE_1) | instskip(SKIP_3) | instid1(VALU_DEP_1)
	s_or_b32 exec_lo, exec_lo, s24
	v_lshrrev_b32_e32 v14, 24, v10
	s_mov_b32 s7, 0
	s_mov_b32 s25, exec_lo
                                        ; implicit-def: $sgpr24
	v_cmpx_lt_i16_e32 0x7f, v14
	s_xor_b32 s25, exec_lo, s25
	s_cbranch_execnz .LBB6_6778
; %bb.5141:                             ;   in Loop: Header=BB6_4903 Depth=2
	s_or_saveexec_b32 s25, s25
	v_mov_b32_e32 v15, s24
	s_xor_b32 exec_lo, exec_lo, s25
	s_cbranch_execnz .LBB6_6781
.LBB6_5142:                             ;   in Loop: Header=BB6_4903 Depth=2
	s_or_b32 exec_lo, exec_lo, s25
	s_and_saveexec_b32 s24, s7
	s_cbranch_execz .LBB6_5144
.LBB6_5143:                             ;   in Loop: Header=BB6_4903 Depth=2
	v_bfe_u32 v15, v10, 24, 3
	s_delay_alu instid0(VALU_DEP_1) | instskip(NEXT) | instid1(VALU_DEP_1)
	v_clz_i32_u32_e32 v16, v15
	v_min_u32_e32 v16, 32, v16
	s_delay_alu instid0(VALU_DEP_1) | instskip(SKIP_1) | instid1(VALU_DEP_2)
	v_subrev_nc_u32_e32 v17, 28, v16
	v_sub_nc_u32_e32 v16, 29, v16
	v_lshlrev_b32_e32 v14, v17, v14
	v_bfe_u32 v17, v10, 27, 4
	v_and_b32_e32 v10, 0x80000000, v10
	s_delay_alu instid0(VALU_DEP_3) | instskip(NEXT) | instid1(VALU_DEP_3)
	v_and_b32_e32 v14, 7, v14
	v_cmp_eq_u32_e32 vcc_lo, 0, v17
	v_cndmask_b32_e32 v16, v17, v16, vcc_lo
	s_delay_alu instid0(VALU_DEP_3) | instskip(NEXT) | instid1(VALU_DEP_2)
	v_cndmask_b32_e32 v14, v15, v14, vcc_lo
	v_lshl_add_u32 v15, v16, 23, 0x3b800000
	s_delay_alu instid0(VALU_DEP_2) | instskip(NEXT) | instid1(VALU_DEP_1)
	v_lshlrev_b32_e32 v14, 20, v14
	v_or3_b32 v15, v10, v15, v14
.LBB6_5144:                             ;   in Loop: Header=BB6_4903 Depth=2
	s_or_b32 exec_lo, exec_lo, s24
	s_delay_alu instid0(VALU_DEP_1) | instskip(SKIP_2) | instid1(VALU_DEP_2)
	v_mul_f32_e32 v10, s23, v15
	v_mov_b32_e32 v62, 0x80
	s_mov_b32 s24, exec_lo
	v_and_b32_e32 v14, 0x7f800000, v10
	s_delay_alu instid0(VALU_DEP_1)
	v_cmpx_ne_u32_e32 0x7f800000, v14
	s_cbranch_execz .LBB6_5152
; %bb.5145:                             ;   in Loop: Header=BB6_4903 Depth=2
	v_mov_b32_e32 v62, 0
	s_mov_b32 s25, exec_lo
	v_cmpx_ne_u32_e32 0, v10
	s_cbranch_execz .LBB6_5151
; %bb.5146:                             ;   in Loop: Header=BB6_4903 Depth=2
	v_bfe_u32 v14, v10, 23, 8
	s_delay_alu instid0(VALU_DEP_1) | instskip(SKIP_1) | instid1(VALU_DEP_2)
	v_sub_nc_u32_e32 v16, 0x78, v14
	v_cmp_gt_u32_e32 vcc_lo, 0x79, v14
	v_dual_cndmask_b32 v16, 0, v16 :: v_dual_and_b32 v15, 0x7fffff, v10
	s_delay_alu instid0(VALU_DEP_1) | instskip(SKIP_2) | instid1(VALU_DEP_4)
	v_or_b32_e32 v17, 0x800000, v15
	v_cmp_eq_u32_e32 vcc_lo, 0, v14
	v_add_nc_u32_e32 v14, 0xffffff89, v14
	v_cndmask_b32_e64 v16, v16, 0x77, vcc_lo
	s_delay_alu instid0(VALU_DEP_4) | instskip(NEXT) | instid1(VALU_DEP_3)
	v_cndmask_b32_e32 v15, v17, v15, vcc_lo
	v_cndmask_b32_e64 v14, v14, 0xffffff8a, vcc_lo
	s_delay_alu instid0(VALU_DEP_3) | instskip(NEXT) | instid1(VALU_DEP_3)
	v_lshl_add_u32 v17, 0x100000, v16, -1
	v_lshrrev_b32_e32 v18, v16, v15
	v_lshlrev_b32_e64 v20, v16, 0x80000
	s_delay_alu instid0(VALU_DEP_4) | instskip(NEXT) | instid1(VALU_DEP_4)
	v_add_nc_u32_e32 v16, v16, v14
	v_and_b32_e32 v15, v17, v15
	s_delay_alu instid0(VALU_DEP_4) | instskip(NEXT) | instid1(VALU_DEP_2)
	v_bfe_u32 v19, v18, 20, 1
	v_cmp_eq_u32_e64 s7, v15, v20
	s_delay_alu instid0(VALU_DEP_2) | instskip(NEXT) | instid1(VALU_DEP_1)
	v_add_nc_u32_e32 v17, -1, v19
	v_cndmask_b32_e64 v15, 0, v17, s7
	v_lshrrev_b32_e32 v17, 23, v18
	s_mov_b32 s7, exec_lo
	s_delay_alu instid0(VALU_DEP_2) | instskip(NEXT) | instid1(VALU_DEP_2)
	v_add_nc_u32_e32 v15, v15, v18
	v_xor_b32_e32 v17, 1, v17
	s_delay_alu instid0(VALU_DEP_2) | instskip(NEXT) | instid1(VALU_DEP_1)
	v_and_b32_e32 v14, 0xfffff, v15
	v_add_nc_u32_e32 v15, v14, v18
                                        ; implicit-def: $vgpr14
	s_delay_alu instid0(VALU_DEP_3)
	v_cmpx_ne_u32_e64 v16, v17
	s_xor_b32 s7, exec_lo, s7
; %bb.5147:                             ;   in Loop: Header=BB6_4903 Depth=2
	s_delay_alu instid0(VALU_DEP_2) | instskip(SKIP_2) | instid1(VALU_DEP_2)
	v_cmp_lt_u32_e32 vcc_lo, 0xffffff, v15
	v_sub_nc_u32_e32 v14, v16, v17
	v_cndmask_b32_e64 v16, 0, 1, vcc_lo
	v_add_co_ci_u32_e32 v14, vcc_lo, 0, v14, vcc_lo
	s_delay_alu instid0(VALU_DEP_2)
	v_lshrrev_b32_e32 v15, v16, v15
; %bb.5148:                             ;   in Loop: Header=BB6_4903 Depth=2
	s_and_not1_saveexec_b32 s7, s7
; %bb.5149:                             ;   in Loop: Header=BB6_4903 Depth=2
	s_delay_alu instid0(VALU_DEP_1)
	v_bfe_u32 v14, v15, 23, 1
; %bb.5150:                             ;   in Loop: Header=BB6_4903 Depth=2
	s_or_b32 exec_lo, exec_lo, s7
	v_lshrrev_b32_e32 v15, 20, v15
	s_delay_alu instid0(VALU_DEP_2) | instskip(SKIP_2) | instid1(VALU_DEP_2)
	v_cmp_gt_i32_e32 vcc_lo, 16, v14
	v_lshrrev_b32_e32 v10, 24, v10
	v_min_i32_e32 v16, 15, v14
	v_dual_cndmask_b32 v15, 7, v15 :: v_dual_and_b32 v10, 0x80, v10
	s_delay_alu instid0(VALU_DEP_2) | instskip(NEXT) | instid1(VALU_DEP_2)
	v_lshlrev_b32_e32 v16, 3, v16
	v_or_b32_e32 v14, v14, v15
	s_delay_alu instid0(VALU_DEP_1) | instskip(SKIP_1) | instid1(VALU_DEP_1)
	v_cmp_ne_u32_e32 vcc_lo, 0, v14
	v_and_b32_e32 v17, 7, v15
	v_or3_b32 v10, v16, v10, v17
	s_delay_alu instid0(VALU_DEP_1)
	v_cndmask_b32_e32 v62, 0, v10, vcc_lo
.LBB6_5151:                             ;   in Loop: Header=BB6_4903 Depth=2
	s_or_b32 exec_lo, exec_lo, s25
.LBB6_5152:                             ;   in Loop: Header=BB6_4903 Depth=2
	s_delay_alu instid0(SALU_CYCLE_1) | instskip(SKIP_3) | instid1(VALU_DEP_1)
	s_or_b32 exec_lo, exec_lo, s24
	v_and_b32_e32 v14, 0xff, v11
	s_mov_b32 s7, 0
	s_mov_b32 s25, exec_lo
                                        ; implicit-def: $sgpr24
	v_cmpx_lt_i16_e32 0x7f, v14
	s_xor_b32 s25, exec_lo, s25
	s_cbranch_execnz .LBB6_6782
; %bb.5153:                             ;   in Loop: Header=BB6_4903 Depth=2
	s_or_saveexec_b32 s25, s25
	v_mov_b32_e32 v10, s24
	s_xor_b32 exec_lo, exec_lo, s25
	s_cbranch_execnz .LBB6_6785
.LBB6_5154:                             ;   in Loop: Header=BB6_4903 Depth=2
	s_or_b32 exec_lo, exec_lo, s25
	s_and_saveexec_b32 s24, s7
	s_cbranch_execz .LBB6_5156
.LBB6_5155:                             ;   in Loop: Header=BB6_4903 Depth=2
	v_and_b32_e32 v10, 7, v11
	v_bfe_u32 v16, v11, 3, 4
	v_lshlrev_b32_e32 v17, 24, v11
	s_delay_alu instid0(VALU_DEP_3) | instskip(NEXT) | instid1(VALU_DEP_3)
	v_clz_i32_u32_e32 v14, v10
	v_cmp_eq_u32_e32 vcc_lo, 0, v16
	s_delay_alu instid0(VALU_DEP_2) | instskip(NEXT) | instid1(VALU_DEP_1)
	v_min_u32_e32 v14, 32, v14
	v_subrev_nc_u32_e32 v15, 28, v14
	v_sub_nc_u32_e32 v14, 29, v14
	s_delay_alu instid0(VALU_DEP_1) | instskip(NEXT) | instid1(VALU_DEP_1)
	v_dual_cndmask_b32 v14, v16, v14 :: v_dual_lshlrev_b32 v15, v15, v11
	v_and_b32_e32 v15, 7, v15
	s_delay_alu instid0(VALU_DEP_2) | instskip(NEXT) | instid1(VALU_DEP_2)
	v_lshl_add_u32 v14, v14, 23, 0x3b800000
	v_dual_cndmask_b32 v10, v10, v15 :: v_dual_and_b32 v15, 0x80000000, v17
	s_delay_alu instid0(VALU_DEP_1) | instskip(NEXT) | instid1(VALU_DEP_1)
	v_lshlrev_b32_e32 v10, 20, v10
	v_or3_b32 v10, v15, v14, v10
.LBB6_5156:                             ;   in Loop: Header=BB6_4903 Depth=2
	s_or_b32 exec_lo, exec_lo, s24
	s_delay_alu instid0(VALU_DEP_1) | instskip(SKIP_1) | instid1(VALU_DEP_1)
	v_dual_mul_f32 v10, s23, v10 :: v_dual_mov_b32 v61, 0x80
	s_mov_b32 s24, exec_lo
	v_and_b32_e32 v14, 0x7f800000, v10
	s_delay_alu instid0(VALU_DEP_1)
	v_cmpx_ne_u32_e32 0x7f800000, v14
	s_cbranch_execz .LBB6_5164
; %bb.5157:                             ;   in Loop: Header=BB6_4903 Depth=2
	v_mov_b32_e32 v61, 0
	s_mov_b32 s25, exec_lo
	v_cmpx_ne_u32_e32 0, v10
	s_cbranch_execz .LBB6_5163
; %bb.5158:                             ;   in Loop: Header=BB6_4903 Depth=2
	v_bfe_u32 v14, v10, 23, 8
	s_delay_alu instid0(VALU_DEP_1) | instskip(SKIP_1) | instid1(VALU_DEP_2)
	v_sub_nc_u32_e32 v16, 0x78, v14
	v_cmp_gt_u32_e32 vcc_lo, 0x79, v14
	v_dual_cndmask_b32 v16, 0, v16 :: v_dual_and_b32 v15, 0x7fffff, v10
	s_delay_alu instid0(VALU_DEP_1) | instskip(SKIP_2) | instid1(VALU_DEP_4)
	v_or_b32_e32 v17, 0x800000, v15
	v_cmp_eq_u32_e32 vcc_lo, 0, v14
	v_add_nc_u32_e32 v14, 0xffffff89, v14
	v_cndmask_b32_e64 v16, v16, 0x77, vcc_lo
	s_delay_alu instid0(VALU_DEP_4) | instskip(NEXT) | instid1(VALU_DEP_3)
	v_cndmask_b32_e32 v15, v17, v15, vcc_lo
	v_cndmask_b32_e64 v14, v14, 0xffffff8a, vcc_lo
	s_delay_alu instid0(VALU_DEP_3) | instskip(NEXT) | instid1(VALU_DEP_3)
	v_lshl_add_u32 v17, 0x100000, v16, -1
	v_lshrrev_b32_e32 v18, v16, v15
	v_lshlrev_b32_e64 v20, v16, 0x80000
	s_delay_alu instid0(VALU_DEP_4) | instskip(NEXT) | instid1(VALU_DEP_4)
	v_add_nc_u32_e32 v16, v16, v14
	v_and_b32_e32 v15, v17, v15
	s_delay_alu instid0(VALU_DEP_4) | instskip(NEXT) | instid1(VALU_DEP_2)
	v_bfe_u32 v19, v18, 20, 1
	v_cmp_eq_u32_e64 s7, v15, v20
	s_delay_alu instid0(VALU_DEP_2) | instskip(NEXT) | instid1(VALU_DEP_1)
	v_add_nc_u32_e32 v17, -1, v19
	v_cndmask_b32_e64 v15, 0, v17, s7
	v_lshrrev_b32_e32 v17, 23, v18
	s_mov_b32 s7, exec_lo
	s_delay_alu instid0(VALU_DEP_2) | instskip(NEXT) | instid1(VALU_DEP_2)
	v_add_nc_u32_e32 v15, v15, v18
	v_xor_b32_e32 v17, 1, v17
	s_delay_alu instid0(VALU_DEP_2) | instskip(NEXT) | instid1(VALU_DEP_1)
	v_and_b32_e32 v14, 0xfffff, v15
	v_add_nc_u32_e32 v15, v14, v18
                                        ; implicit-def: $vgpr14
	s_delay_alu instid0(VALU_DEP_3)
	v_cmpx_ne_u32_e64 v16, v17
	s_xor_b32 s7, exec_lo, s7
; %bb.5159:                             ;   in Loop: Header=BB6_4903 Depth=2
	s_delay_alu instid0(VALU_DEP_2) | instskip(SKIP_2) | instid1(VALU_DEP_2)
	v_cmp_lt_u32_e32 vcc_lo, 0xffffff, v15
	v_sub_nc_u32_e32 v14, v16, v17
	v_cndmask_b32_e64 v16, 0, 1, vcc_lo
	v_add_co_ci_u32_e32 v14, vcc_lo, 0, v14, vcc_lo
	s_delay_alu instid0(VALU_DEP_2)
	v_lshrrev_b32_e32 v15, v16, v15
; %bb.5160:                             ;   in Loop: Header=BB6_4903 Depth=2
	s_and_not1_saveexec_b32 s7, s7
; %bb.5161:                             ;   in Loop: Header=BB6_4903 Depth=2
	s_delay_alu instid0(VALU_DEP_1)
	v_bfe_u32 v14, v15, 23, 1
; %bb.5162:                             ;   in Loop: Header=BB6_4903 Depth=2
	s_or_b32 exec_lo, exec_lo, s7
	v_lshrrev_b32_e32 v15, 20, v15
	s_delay_alu instid0(VALU_DEP_2) | instskip(SKIP_2) | instid1(VALU_DEP_2)
	v_cmp_gt_i32_e32 vcc_lo, 16, v14
	v_min_i32_e32 v16, 15, v14
	v_lshrrev_b32_e32 v10, 24, v10
	v_dual_cndmask_b32 v15, 7, v15 :: v_dual_lshlrev_b32 v16, 3, v16
	s_delay_alu instid0(VALU_DEP_2) | instskip(NEXT) | instid1(VALU_DEP_2)
	v_and_b32_e32 v10, 0x80, v10
	v_or_b32_e32 v14, v14, v15
	v_and_b32_e32 v17, 7, v15
	s_delay_alu instid0(VALU_DEP_2) | instskip(SKIP_1) | instid1(VALU_DEP_1)
	v_cmp_ne_u32_e32 vcc_lo, 0, v14
	v_and_b32_e32 v16, 0xf8, v16
	v_or3_b32 v10, v16, v10, v17
	s_delay_alu instid0(VALU_DEP_1)
	v_cndmask_b32_e32 v61, 0, v10, vcc_lo
.LBB6_5163:                             ;   in Loop: Header=BB6_4903 Depth=2
	s_or_b32 exec_lo, exec_lo, s25
.LBB6_5164:                             ;   in Loop: Header=BB6_4903 Depth=2
	s_delay_alu instid0(SALU_CYCLE_1) | instskip(SKIP_3) | instid1(VALU_DEP_1)
	s_or_b32 exec_lo, exec_lo, s24
	v_lshrrev_b16 v10, 8, v11
	s_mov_b32 s7, 0
	s_mov_b32 s25, exec_lo
                                        ; implicit-def: $sgpr24
	v_cmpx_lt_i16_e32 0x7f, v10
	s_xor_b32 s25, exec_lo, s25
	s_cbranch_execnz .LBB6_6786
; %bb.5165:                             ;   in Loop: Header=BB6_4903 Depth=2
	s_or_saveexec_b32 s25, s25
	v_mov_b32_e32 v14, s24
	s_xor_b32 exec_lo, exec_lo, s25
	s_cbranch_execnz .LBB6_6789
.LBB6_5166:                             ;   in Loop: Header=BB6_4903 Depth=2
	s_or_b32 exec_lo, exec_lo, s25
	s_and_saveexec_b32 s24, s7
	s_cbranch_execz .LBB6_5168
.LBB6_5167:                             ;   in Loop: Header=BB6_4903 Depth=2
	v_and_b32_e32 v14, 0xffff, v10
	v_lshlrev_b32_e32 v10, 24, v10
	s_delay_alu instid0(VALU_DEP_2) | instskip(NEXT) | instid1(VALU_DEP_2)
	v_and_b32_e32 v15, 7, v14
	v_and_b32_e32 v10, 0x80000000, v10
	s_delay_alu instid0(VALU_DEP_2) | instskip(NEXT) | instid1(VALU_DEP_1)
	v_clz_i32_u32_e32 v16, v15
	v_min_u32_e32 v16, 32, v16
	s_delay_alu instid0(VALU_DEP_1) | instskip(SKIP_1) | instid1(VALU_DEP_2)
	v_subrev_nc_u32_e32 v17, 28, v16
	v_sub_nc_u32_e32 v16, 29, v16
	v_lshlrev_b32_e32 v17, v17, v14
	v_bfe_u32 v14, v14, 3, 4
	s_delay_alu instid0(VALU_DEP_2) | instskip(NEXT) | instid1(VALU_DEP_2)
	v_and_b32_e32 v17, 7, v17
	v_cmp_eq_u32_e32 vcc_lo, 0, v14
	s_delay_alu instid0(VALU_DEP_2) | instskip(NEXT) | instid1(VALU_DEP_1)
	v_dual_cndmask_b32 v14, v14, v16 :: v_dual_cndmask_b32 v15, v15, v17
	v_lshl_add_u32 v14, v14, 23, 0x3b800000
	s_delay_alu instid0(VALU_DEP_2) | instskip(NEXT) | instid1(VALU_DEP_1)
	v_lshlrev_b32_e32 v15, 20, v15
	v_or3_b32 v14, v10, v14, v15
.LBB6_5168:                             ;   in Loop: Header=BB6_4903 Depth=2
	s_or_b32 exec_lo, exec_lo, s24
	s_delay_alu instid0(VALU_DEP_1) | instskip(SKIP_2) | instid1(VALU_DEP_2)
	v_mul_f32_e32 v10, s23, v14
	v_mov_b32_e32 v74, 0x8000
	s_mov_b32 s24, exec_lo
	v_and_b32_e32 v14, 0x7f800000, v10
	s_delay_alu instid0(VALU_DEP_1)
	v_cmpx_ne_u32_e32 0x7f800000, v14
	s_cbranch_execz .LBB6_5176
; %bb.5169:                             ;   in Loop: Header=BB6_4903 Depth=2
	v_mov_b32_e32 v74, 0
	s_mov_b32 s25, exec_lo
	v_cmpx_ne_u32_e32 0, v10
	s_cbranch_execz .LBB6_5175
; %bb.5170:                             ;   in Loop: Header=BB6_4903 Depth=2
	v_bfe_u32 v14, v10, 23, 8
	s_delay_alu instid0(VALU_DEP_1) | instskip(SKIP_1) | instid1(VALU_DEP_2)
	v_sub_nc_u32_e32 v16, 0x78, v14
	v_cmp_gt_u32_e32 vcc_lo, 0x79, v14
	v_dual_cndmask_b32 v16, 0, v16 :: v_dual_and_b32 v15, 0x7fffff, v10
	s_delay_alu instid0(VALU_DEP_1) | instskip(SKIP_2) | instid1(VALU_DEP_4)
	v_or_b32_e32 v17, 0x800000, v15
	v_cmp_eq_u32_e32 vcc_lo, 0, v14
	v_add_nc_u32_e32 v14, 0xffffff89, v14
	v_cndmask_b32_e64 v16, v16, 0x77, vcc_lo
	s_delay_alu instid0(VALU_DEP_4) | instskip(NEXT) | instid1(VALU_DEP_3)
	v_cndmask_b32_e32 v15, v17, v15, vcc_lo
	v_cndmask_b32_e64 v14, v14, 0xffffff8a, vcc_lo
	s_delay_alu instid0(VALU_DEP_3) | instskip(NEXT) | instid1(VALU_DEP_3)
	v_lshl_add_u32 v17, 0x100000, v16, -1
	v_lshrrev_b32_e32 v18, v16, v15
	v_lshlrev_b32_e64 v20, v16, 0x80000
	s_delay_alu instid0(VALU_DEP_4) | instskip(NEXT) | instid1(VALU_DEP_4)
	v_add_nc_u32_e32 v16, v16, v14
	v_and_b32_e32 v15, v17, v15
	s_delay_alu instid0(VALU_DEP_4) | instskip(NEXT) | instid1(VALU_DEP_2)
	v_bfe_u32 v19, v18, 20, 1
	v_cmp_eq_u32_e64 s7, v15, v20
	s_delay_alu instid0(VALU_DEP_2) | instskip(NEXT) | instid1(VALU_DEP_1)
	v_add_nc_u32_e32 v17, -1, v19
	v_cndmask_b32_e64 v15, 0, v17, s7
	v_lshrrev_b32_e32 v17, 23, v18
	s_mov_b32 s7, exec_lo
	s_delay_alu instid0(VALU_DEP_2) | instskip(NEXT) | instid1(VALU_DEP_2)
	v_add_nc_u32_e32 v15, v15, v18
	v_xor_b32_e32 v17, 1, v17
	s_delay_alu instid0(VALU_DEP_2) | instskip(NEXT) | instid1(VALU_DEP_1)
	v_and_b32_e32 v14, 0xfffff, v15
	v_add_nc_u32_e32 v15, v14, v18
                                        ; implicit-def: $vgpr14
	s_delay_alu instid0(VALU_DEP_3)
	v_cmpx_ne_u32_e64 v16, v17
	s_xor_b32 s7, exec_lo, s7
; %bb.5171:                             ;   in Loop: Header=BB6_4903 Depth=2
	s_delay_alu instid0(VALU_DEP_2) | instskip(SKIP_2) | instid1(VALU_DEP_2)
	v_cmp_lt_u32_e32 vcc_lo, 0xffffff, v15
	v_sub_nc_u32_e32 v14, v16, v17
	v_cndmask_b32_e64 v16, 0, 1, vcc_lo
	v_add_co_ci_u32_e32 v14, vcc_lo, 0, v14, vcc_lo
	s_delay_alu instid0(VALU_DEP_2)
	v_lshrrev_b32_e32 v15, v16, v15
; %bb.5172:                             ;   in Loop: Header=BB6_4903 Depth=2
	s_and_not1_saveexec_b32 s7, s7
; %bb.5173:                             ;   in Loop: Header=BB6_4903 Depth=2
	s_delay_alu instid0(VALU_DEP_1)
	v_bfe_u32 v14, v15, 23, 1
; %bb.5174:                             ;   in Loop: Header=BB6_4903 Depth=2
	s_or_b32 exec_lo, exec_lo, s7
	v_lshrrev_b32_e32 v15, 20, v15
	s_delay_alu instid0(VALU_DEP_2) | instskip(SKIP_2) | instid1(VALU_DEP_2)
	v_cmp_gt_i32_e32 vcc_lo, 16, v14
	v_min_i32_e32 v16, 15, v14
	v_lshrrev_b32_e32 v10, 24, v10
	v_dual_cndmask_b32 v15, 7, v15 :: v_dual_lshlrev_b32 v16, 3, v16
	s_delay_alu instid0(VALU_DEP_2) | instskip(NEXT) | instid1(VALU_DEP_2)
	v_and_b32_e32 v10, 0x80, v10
	v_or_b32_e32 v14, v14, v15
	s_delay_alu instid0(VALU_DEP_3) | instskip(NEXT) | instid1(VALU_DEP_2)
	v_and_b32_e32 v16, 0xf8, v16
	v_cmp_ne_u32_e32 vcc_lo, 0, v14
	v_and_b32_e32 v17, 7, v15
	s_delay_alu instid0(VALU_DEP_1) | instskip(NEXT) | instid1(VALU_DEP_1)
	v_or3_b32 v10, v10, v16, v17
	v_lshlrev_b32_e32 v10, 8, v10
	s_delay_alu instid0(VALU_DEP_1)
	v_cndmask_b32_e32 v74, 0, v10, vcc_lo
.LBB6_5175:                             ;   in Loop: Header=BB6_4903 Depth=2
	s_or_b32 exec_lo, exec_lo, s25
.LBB6_5176:                             ;   in Loop: Header=BB6_4903 Depth=2
	s_delay_alu instid0(SALU_CYCLE_1) | instskip(SKIP_3) | instid1(VALU_DEP_1)
	s_or_b32 exec_lo, exec_lo, s24
	v_lshrrev_b32_e32 v10, 16, v11
	s_mov_b32 s7, 0
	s_mov_b32 s25, exec_lo
                                        ; implicit-def: $sgpr24
	v_and_b32_e32 v15, 0xff, v10
	s_delay_alu instid0(VALU_DEP_1)
	v_cmpx_lt_i16_e32 0x7f, v15
	s_xor_b32 s25, exec_lo, s25
	s_cbranch_execnz .LBB6_6790
; %bb.5177:                             ;   in Loop: Header=BB6_4903 Depth=2
	s_or_saveexec_b32 s25, s25
	v_mov_b32_e32 v14, s24
	s_xor_b32 exec_lo, exec_lo, s25
	s_cbranch_execnz .LBB6_6793
.LBB6_5178:                             ;   in Loop: Header=BB6_4903 Depth=2
	s_or_b32 exec_lo, exec_lo, s25
	s_and_saveexec_b32 s24, s7
	s_cbranch_execz .LBB6_5180
.LBB6_5179:                             ;   in Loop: Header=BB6_4903 Depth=2
	v_bfe_u32 v14, v11, 16, 3
	s_delay_alu instid0(VALU_DEP_1) | instskip(NEXT) | instid1(VALU_DEP_1)
	v_clz_i32_u32_e32 v15, v14
	v_min_u32_e32 v15, 32, v15
	s_delay_alu instid0(VALU_DEP_1) | instskip(SKIP_1) | instid1(VALU_DEP_2)
	v_subrev_nc_u32_e32 v16, 28, v15
	v_sub_nc_u32_e32 v15, 29, v15
	v_lshlrev_b32_e32 v10, v16, v10
	v_bfe_u32 v16, v11, 19, 4
	s_delay_alu instid0(VALU_DEP_1) | instskip(NEXT) | instid1(VALU_DEP_3)
	v_cmp_eq_u32_e32 vcc_lo, 0, v16
	v_dual_cndmask_b32 v15, v16, v15 :: v_dual_and_b32 v10, 7, v10
	s_delay_alu instid0(VALU_DEP_1) | instskip(NEXT) | instid1(VALU_DEP_2)
	v_dual_cndmask_b32 v10, v14, v10 :: v_dual_lshlrev_b32 v17, 8, v11
	v_lshl_add_u32 v15, v15, 23, 0x3b800000
	s_delay_alu instid0(VALU_DEP_2) | instskip(NEXT) | instid1(VALU_DEP_3)
	v_and_b32_e32 v14, 0x80000000, v17
	v_lshlrev_b32_e32 v10, 20, v10
	s_delay_alu instid0(VALU_DEP_1)
	v_or3_b32 v14, v14, v15, v10
.LBB6_5180:                             ;   in Loop: Header=BB6_4903 Depth=2
	s_or_b32 exec_lo, exec_lo, s24
	s_delay_alu instid0(VALU_DEP_1) | instskip(SKIP_1) | instid1(VALU_DEP_1)
	v_dual_mul_f32 v10, s23, v14 :: v_dual_mov_b32 v59, 0x80
	s_mov_b32 s24, exec_lo
	v_and_b32_e32 v14, 0x7f800000, v10
	s_delay_alu instid0(VALU_DEP_1)
	v_cmpx_ne_u32_e32 0x7f800000, v14
	s_cbranch_execz .LBB6_5188
; %bb.5181:                             ;   in Loop: Header=BB6_4903 Depth=2
	v_mov_b32_e32 v59, 0
	s_mov_b32 s25, exec_lo
	v_cmpx_ne_u32_e32 0, v10
	s_cbranch_execz .LBB6_5187
; %bb.5182:                             ;   in Loop: Header=BB6_4903 Depth=2
	v_bfe_u32 v14, v10, 23, 8
	s_delay_alu instid0(VALU_DEP_1) | instskip(SKIP_1) | instid1(VALU_DEP_2)
	v_sub_nc_u32_e32 v16, 0x78, v14
	v_cmp_gt_u32_e32 vcc_lo, 0x79, v14
	v_dual_cndmask_b32 v16, 0, v16 :: v_dual_and_b32 v15, 0x7fffff, v10
	s_delay_alu instid0(VALU_DEP_1) | instskip(SKIP_2) | instid1(VALU_DEP_4)
	v_or_b32_e32 v17, 0x800000, v15
	v_cmp_eq_u32_e32 vcc_lo, 0, v14
	v_add_nc_u32_e32 v14, 0xffffff89, v14
	v_cndmask_b32_e64 v16, v16, 0x77, vcc_lo
	s_delay_alu instid0(VALU_DEP_4) | instskip(NEXT) | instid1(VALU_DEP_3)
	v_cndmask_b32_e32 v15, v17, v15, vcc_lo
	v_cndmask_b32_e64 v14, v14, 0xffffff8a, vcc_lo
	s_delay_alu instid0(VALU_DEP_3) | instskip(NEXT) | instid1(VALU_DEP_3)
	v_lshl_add_u32 v17, 0x100000, v16, -1
	v_lshrrev_b32_e32 v18, v16, v15
	v_lshlrev_b32_e64 v20, v16, 0x80000
	s_delay_alu instid0(VALU_DEP_4) | instskip(NEXT) | instid1(VALU_DEP_4)
	v_add_nc_u32_e32 v16, v16, v14
	v_and_b32_e32 v15, v17, v15
	s_delay_alu instid0(VALU_DEP_4) | instskip(NEXT) | instid1(VALU_DEP_2)
	v_bfe_u32 v19, v18, 20, 1
	v_cmp_eq_u32_e64 s7, v15, v20
	s_delay_alu instid0(VALU_DEP_2) | instskip(NEXT) | instid1(VALU_DEP_1)
	v_add_nc_u32_e32 v17, -1, v19
	v_cndmask_b32_e64 v15, 0, v17, s7
	v_lshrrev_b32_e32 v17, 23, v18
	s_mov_b32 s7, exec_lo
	s_delay_alu instid0(VALU_DEP_2) | instskip(NEXT) | instid1(VALU_DEP_2)
	v_add_nc_u32_e32 v15, v15, v18
	v_xor_b32_e32 v17, 1, v17
	s_delay_alu instid0(VALU_DEP_2) | instskip(NEXT) | instid1(VALU_DEP_1)
	v_and_b32_e32 v14, 0xfffff, v15
	v_add_nc_u32_e32 v15, v14, v18
                                        ; implicit-def: $vgpr14
	s_delay_alu instid0(VALU_DEP_3)
	v_cmpx_ne_u32_e64 v16, v17
	s_xor_b32 s7, exec_lo, s7
; %bb.5183:                             ;   in Loop: Header=BB6_4903 Depth=2
	s_delay_alu instid0(VALU_DEP_2) | instskip(SKIP_2) | instid1(VALU_DEP_2)
	v_cmp_lt_u32_e32 vcc_lo, 0xffffff, v15
	v_sub_nc_u32_e32 v14, v16, v17
	v_cndmask_b32_e64 v16, 0, 1, vcc_lo
	v_add_co_ci_u32_e32 v14, vcc_lo, 0, v14, vcc_lo
	s_delay_alu instid0(VALU_DEP_2)
	v_lshrrev_b32_e32 v15, v16, v15
; %bb.5184:                             ;   in Loop: Header=BB6_4903 Depth=2
	s_and_not1_saveexec_b32 s7, s7
; %bb.5185:                             ;   in Loop: Header=BB6_4903 Depth=2
	s_delay_alu instid0(VALU_DEP_1)
	v_bfe_u32 v14, v15, 23, 1
; %bb.5186:                             ;   in Loop: Header=BB6_4903 Depth=2
	s_or_b32 exec_lo, exec_lo, s7
	v_lshrrev_b32_e32 v15, 20, v15
	s_delay_alu instid0(VALU_DEP_2) | instskip(SKIP_2) | instid1(VALU_DEP_2)
	v_cmp_gt_i32_e32 vcc_lo, 16, v14
	v_min_i32_e32 v16, 15, v14
	v_lshrrev_b32_e32 v10, 24, v10
	v_dual_cndmask_b32 v15, 7, v15 :: v_dual_lshlrev_b32 v16, 3, v16
	s_delay_alu instid0(VALU_DEP_2) | instskip(NEXT) | instid1(VALU_DEP_2)
	v_and_b32_e32 v10, 0x80, v10
	v_or_b32_e32 v14, v14, v15
	v_and_b32_e32 v17, 7, v15
	s_delay_alu instid0(VALU_DEP_2) | instskip(SKIP_1) | instid1(VALU_DEP_1)
	v_cmp_ne_u32_e32 vcc_lo, 0, v14
	v_and_b32_e32 v16, 0xf8, v16
	v_or3_b32 v10, v16, v10, v17
	s_delay_alu instid0(VALU_DEP_1)
	v_cndmask_b32_e32 v59, 0, v10, vcc_lo
.LBB6_5187:                             ;   in Loop: Header=BB6_4903 Depth=2
	s_or_b32 exec_lo, exec_lo, s25
.LBB6_5188:                             ;   in Loop: Header=BB6_4903 Depth=2
	s_delay_alu instid0(SALU_CYCLE_1) | instskip(SKIP_3) | instid1(VALU_DEP_1)
	s_or_b32 exec_lo, exec_lo, s24
	v_lshrrev_b32_e32 v10, 24, v11
	s_mov_b32 s7, 0
	s_mov_b32 s25, exec_lo
                                        ; implicit-def: $sgpr24
	v_cmpx_lt_i16_e32 0x7f, v10
	s_xor_b32 s25, exec_lo, s25
	s_cbranch_execnz .LBB6_6794
; %bb.5189:                             ;   in Loop: Header=BB6_4903 Depth=2
	s_or_saveexec_b32 s25, s25
	v_mov_b32_e32 v14, s24
	s_xor_b32 exec_lo, exec_lo, s25
	s_cbranch_execnz .LBB6_6797
.LBB6_5190:                             ;   in Loop: Header=BB6_4903 Depth=2
	s_or_b32 exec_lo, exec_lo, s25
	s_and_saveexec_b32 s24, s7
	s_cbranch_execz .LBB6_5192
.LBB6_5191:                             ;   in Loop: Header=BB6_4903 Depth=2
	v_bfe_u32 v14, v11, 24, 3
	s_delay_alu instid0(VALU_DEP_1) | instskip(NEXT) | instid1(VALU_DEP_1)
	v_clz_i32_u32_e32 v15, v14
	v_min_u32_e32 v15, 32, v15
	s_delay_alu instid0(VALU_DEP_1) | instskip(SKIP_1) | instid1(VALU_DEP_2)
	v_subrev_nc_u32_e32 v16, 28, v15
	v_sub_nc_u32_e32 v15, 29, v15
	v_lshlrev_b32_e32 v10, v16, v10
	v_bfe_u32 v16, v11, 27, 4
	v_and_b32_e32 v11, 0x80000000, v11
	s_delay_alu instid0(VALU_DEP_2) | instskip(NEXT) | instid1(VALU_DEP_4)
	v_cmp_eq_u32_e32 vcc_lo, 0, v16
	v_dual_cndmask_b32 v15, v16, v15 :: v_dual_and_b32 v10, 7, v10
	s_delay_alu instid0(VALU_DEP_1) | instskip(NEXT) | instid1(VALU_DEP_2)
	v_cndmask_b32_e32 v10, v14, v10, vcc_lo
	v_lshl_add_u32 v14, v15, 23, 0x3b800000
	s_delay_alu instid0(VALU_DEP_2) | instskip(NEXT) | instid1(VALU_DEP_1)
	v_lshlrev_b32_e32 v10, 20, v10
	v_or3_b32 v14, v11, v14, v10
.LBB6_5192:                             ;   in Loop: Header=BB6_4903 Depth=2
	s_or_b32 exec_lo, exec_lo, s24
	s_delay_alu instid0(VALU_DEP_1) | instskip(SKIP_1) | instid1(VALU_DEP_1)
	v_dual_mul_f32 v10, s23, v14 :: v_dual_mov_b32 v63, 0x8000
	s_mov_b32 s24, exec_lo
	v_and_b32_e32 v11, 0x7f800000, v10
	s_delay_alu instid0(VALU_DEP_1)
	v_cmpx_ne_u32_e32 0x7f800000, v11
	s_cbranch_execz .LBB6_5200
; %bb.5193:                             ;   in Loop: Header=BB6_4903 Depth=2
	v_mov_b32_e32 v63, 0
	s_mov_b32 s25, exec_lo
	v_cmpx_ne_u32_e32 0, v10
	s_cbranch_execz .LBB6_5199
; %bb.5194:                             ;   in Loop: Header=BB6_4903 Depth=2
	v_bfe_u32 v11, v10, 23, 8
	s_delay_alu instid0(VALU_DEP_1) | instskip(SKIP_1) | instid1(VALU_DEP_2)
	v_sub_nc_u32_e32 v15, 0x78, v11
	v_cmp_gt_u32_e32 vcc_lo, 0x79, v11
	v_dual_cndmask_b32 v15, 0, v15 :: v_dual_and_b32 v14, 0x7fffff, v10
	s_delay_alu instid0(VALU_DEP_1) | instskip(SKIP_2) | instid1(VALU_DEP_4)
	v_or_b32_e32 v16, 0x800000, v14
	v_cmp_eq_u32_e32 vcc_lo, 0, v11
	v_add_nc_u32_e32 v11, 0xffffff89, v11
	v_cndmask_b32_e64 v15, v15, 0x77, vcc_lo
	s_delay_alu instid0(VALU_DEP_4) | instskip(NEXT) | instid1(VALU_DEP_3)
	v_cndmask_b32_e32 v14, v16, v14, vcc_lo
	v_cndmask_b32_e64 v11, v11, 0xffffff8a, vcc_lo
	s_delay_alu instid0(VALU_DEP_3) | instskip(NEXT) | instid1(VALU_DEP_3)
	v_lshl_add_u32 v16, 0x100000, v15, -1
	v_lshrrev_b32_e32 v17, v15, v14
	v_lshlrev_b32_e64 v19, v15, 0x80000
	s_delay_alu instid0(VALU_DEP_4) | instskip(NEXT) | instid1(VALU_DEP_4)
	v_add_nc_u32_e32 v15, v15, v11
	v_and_b32_e32 v14, v16, v14
	s_delay_alu instid0(VALU_DEP_4) | instskip(NEXT) | instid1(VALU_DEP_2)
	v_bfe_u32 v18, v17, 20, 1
	v_cmp_eq_u32_e64 s7, v14, v19
	s_delay_alu instid0(VALU_DEP_2) | instskip(NEXT) | instid1(VALU_DEP_1)
	v_add_nc_u32_e32 v16, -1, v18
	v_cndmask_b32_e64 v14, 0, v16, s7
	v_lshrrev_b32_e32 v16, 23, v17
	s_mov_b32 s7, exec_lo
	s_delay_alu instid0(VALU_DEP_2) | instskip(NEXT) | instid1(VALU_DEP_2)
	v_add_nc_u32_e32 v14, v14, v17
	v_xor_b32_e32 v16, 1, v16
	s_delay_alu instid0(VALU_DEP_2) | instskip(NEXT) | instid1(VALU_DEP_1)
	v_and_b32_e32 v11, 0xfffff, v14
	v_add_nc_u32_e32 v14, v11, v17
                                        ; implicit-def: $vgpr11
	s_delay_alu instid0(VALU_DEP_3)
	v_cmpx_ne_u32_e64 v15, v16
	s_xor_b32 s7, exec_lo, s7
; %bb.5195:                             ;   in Loop: Header=BB6_4903 Depth=2
	s_delay_alu instid0(VALU_DEP_2) | instskip(SKIP_2) | instid1(VALU_DEP_2)
	v_cmp_lt_u32_e32 vcc_lo, 0xffffff, v14
	v_sub_nc_u32_e32 v11, v15, v16
	v_cndmask_b32_e64 v15, 0, 1, vcc_lo
	v_add_co_ci_u32_e32 v11, vcc_lo, 0, v11, vcc_lo
	s_delay_alu instid0(VALU_DEP_2)
	v_lshrrev_b32_e32 v14, v15, v14
; %bb.5196:                             ;   in Loop: Header=BB6_4903 Depth=2
	s_and_not1_saveexec_b32 s7, s7
; %bb.5197:                             ;   in Loop: Header=BB6_4903 Depth=2
	s_delay_alu instid0(VALU_DEP_1)
	v_bfe_u32 v11, v14, 23, 1
; %bb.5198:                             ;   in Loop: Header=BB6_4903 Depth=2
	s_or_b32 exec_lo, exec_lo, s7
	v_lshrrev_b32_e32 v14, 20, v14
	s_delay_alu instid0(VALU_DEP_2) | instskip(SKIP_2) | instid1(VALU_DEP_3)
	v_min_i32_e32 v15, 15, v11
	v_cmp_gt_i32_e32 vcc_lo, 16, v11
	v_lshrrev_b32_e32 v10, 24, v10
	v_dual_cndmask_b32 v14, 7, v14 :: v_dual_lshlrev_b32 v15, 3, v15
	s_delay_alu instid0(VALU_DEP_2) | instskip(NEXT) | instid1(VALU_DEP_2)
	v_and_b32_e32 v10, 0x80, v10
	v_and_b32_e32 v15, 0xf8, v15
	s_delay_alu instid0(VALU_DEP_3) | instskip(SKIP_1) | instid1(VALU_DEP_2)
	v_and_b32_e32 v16, 7, v14
	v_or_b32_e32 v11, v11, v14
	v_or3_b32 v10, v10, v15, v16
	s_delay_alu instid0(VALU_DEP_2) | instskip(NEXT) | instid1(VALU_DEP_2)
	v_cmp_ne_u32_e32 vcc_lo, 0, v11
	v_lshlrev_b32_e32 v10, 8, v10
	s_delay_alu instid0(VALU_DEP_1)
	v_cndmask_b32_e32 v63, 0, v10, vcc_lo
.LBB6_5199:                             ;   in Loop: Header=BB6_4903 Depth=2
	s_or_b32 exec_lo, exec_lo, s25
.LBB6_5200:                             ;   in Loop: Header=BB6_4903 Depth=2
	s_delay_alu instid0(SALU_CYCLE_1) | instskip(SKIP_3) | instid1(VALU_DEP_1)
	s_or_b32 exec_lo, exec_lo, s24
	v_and_b32_e32 v11, 0xff, v12
	s_mov_b32 s7, 0
	s_mov_b32 s25, exec_lo
                                        ; implicit-def: $sgpr24
	v_cmpx_lt_i16_e32 0x7f, v11
	s_xor_b32 s25, exec_lo, s25
	s_cbranch_execnz .LBB6_6798
; %bb.5201:                             ;   in Loop: Header=BB6_4903 Depth=2
	s_or_saveexec_b32 s25, s25
	v_mov_b32_e32 v10, s24
	s_xor_b32 exec_lo, exec_lo, s25
	s_cbranch_execnz .LBB6_6801
.LBB6_5202:                             ;   in Loop: Header=BB6_4903 Depth=2
	s_or_b32 exec_lo, exec_lo, s25
	s_and_saveexec_b32 s24, s7
	s_cbranch_execz .LBB6_5204
.LBB6_5203:                             ;   in Loop: Header=BB6_4903 Depth=2
	v_bfe_u32 v15, v12, 3, 4
	v_lshlrev_b32_e32 v16, 24, v12
	s_delay_alu instid0(VALU_DEP_2) | instskip(SKIP_1) | instid1(VALU_DEP_1)
	v_cmp_eq_u32_e32 vcc_lo, 0, v15
	v_and_b32_e32 v10, 7, v12
	v_clz_i32_u32_e32 v11, v10
	s_delay_alu instid0(VALU_DEP_1) | instskip(NEXT) | instid1(VALU_DEP_1)
	v_min_u32_e32 v11, 32, v11
	v_subrev_nc_u32_e32 v14, 28, v11
	v_sub_nc_u32_e32 v11, 29, v11
	s_delay_alu instid0(VALU_DEP_1) | instskip(NEXT) | instid1(VALU_DEP_1)
	v_dual_cndmask_b32 v11, v15, v11 :: v_dual_lshlrev_b32 v14, v14, v12
	v_and_b32_e32 v14, 7, v14
	s_delay_alu instid0(VALU_DEP_2) | instskip(NEXT) | instid1(VALU_DEP_2)
	v_lshl_add_u32 v11, v11, 23, 0x3b800000
	v_cndmask_b32_e32 v10, v10, v14, vcc_lo
	v_and_b32_e32 v14, 0x80000000, v16
	s_delay_alu instid0(VALU_DEP_2) | instskip(NEXT) | instid1(VALU_DEP_1)
	v_lshlrev_b32_e32 v10, 20, v10
	v_or3_b32 v10, v14, v11, v10
.LBB6_5204:                             ;   in Loop: Header=BB6_4903 Depth=2
	s_or_b32 exec_lo, exec_lo, s24
	s_delay_alu instid0(VALU_DEP_1) | instskip(SKIP_1) | instid1(VALU_DEP_1)
	v_dual_mul_f32 v10, s23, v10 :: v_dual_mov_b32 v57, 0x80
	s_mov_b32 s24, exec_lo
	v_and_b32_e32 v11, 0x7f800000, v10
	s_delay_alu instid0(VALU_DEP_1)
	v_cmpx_ne_u32_e32 0x7f800000, v11
	s_cbranch_execz .LBB6_5212
; %bb.5205:                             ;   in Loop: Header=BB6_4903 Depth=2
	v_mov_b32_e32 v57, 0
	s_mov_b32 s25, exec_lo
	v_cmpx_ne_u32_e32 0, v10
	s_cbranch_execz .LBB6_5211
; %bb.5206:                             ;   in Loop: Header=BB6_4903 Depth=2
	v_bfe_u32 v11, v10, 23, 8
	s_delay_alu instid0(VALU_DEP_1) | instskip(SKIP_1) | instid1(VALU_DEP_2)
	v_sub_nc_u32_e32 v15, 0x78, v11
	v_cmp_gt_u32_e32 vcc_lo, 0x79, v11
	v_dual_cndmask_b32 v15, 0, v15 :: v_dual_and_b32 v14, 0x7fffff, v10
	s_delay_alu instid0(VALU_DEP_1) | instskip(SKIP_2) | instid1(VALU_DEP_4)
	v_or_b32_e32 v16, 0x800000, v14
	v_cmp_eq_u32_e32 vcc_lo, 0, v11
	v_add_nc_u32_e32 v11, 0xffffff89, v11
	v_cndmask_b32_e64 v15, v15, 0x77, vcc_lo
	s_delay_alu instid0(VALU_DEP_4) | instskip(NEXT) | instid1(VALU_DEP_3)
	v_cndmask_b32_e32 v14, v16, v14, vcc_lo
	v_cndmask_b32_e64 v11, v11, 0xffffff8a, vcc_lo
	s_delay_alu instid0(VALU_DEP_3) | instskip(NEXT) | instid1(VALU_DEP_3)
	v_lshl_add_u32 v16, 0x100000, v15, -1
	v_lshrrev_b32_e32 v17, v15, v14
	v_lshlrev_b32_e64 v19, v15, 0x80000
	s_delay_alu instid0(VALU_DEP_4) | instskip(NEXT) | instid1(VALU_DEP_4)
	v_add_nc_u32_e32 v15, v15, v11
	v_and_b32_e32 v14, v16, v14
	s_delay_alu instid0(VALU_DEP_4) | instskip(NEXT) | instid1(VALU_DEP_2)
	v_bfe_u32 v18, v17, 20, 1
	v_cmp_eq_u32_e64 s7, v14, v19
	s_delay_alu instid0(VALU_DEP_2) | instskip(NEXT) | instid1(VALU_DEP_1)
	v_add_nc_u32_e32 v16, -1, v18
	v_cndmask_b32_e64 v14, 0, v16, s7
	v_lshrrev_b32_e32 v16, 23, v17
	s_mov_b32 s7, exec_lo
	s_delay_alu instid0(VALU_DEP_2) | instskip(NEXT) | instid1(VALU_DEP_2)
	v_add_nc_u32_e32 v14, v14, v17
	v_xor_b32_e32 v16, 1, v16
	s_delay_alu instid0(VALU_DEP_2) | instskip(NEXT) | instid1(VALU_DEP_1)
	v_and_b32_e32 v11, 0xfffff, v14
	v_add_nc_u32_e32 v14, v11, v17
                                        ; implicit-def: $vgpr11
	s_delay_alu instid0(VALU_DEP_3)
	v_cmpx_ne_u32_e64 v15, v16
	s_xor_b32 s7, exec_lo, s7
; %bb.5207:                             ;   in Loop: Header=BB6_4903 Depth=2
	s_delay_alu instid0(VALU_DEP_2) | instskip(SKIP_2) | instid1(VALU_DEP_2)
	v_cmp_lt_u32_e32 vcc_lo, 0xffffff, v14
	v_sub_nc_u32_e32 v11, v15, v16
	v_cndmask_b32_e64 v15, 0, 1, vcc_lo
	v_add_co_ci_u32_e32 v11, vcc_lo, 0, v11, vcc_lo
	s_delay_alu instid0(VALU_DEP_2)
	v_lshrrev_b32_e32 v14, v15, v14
; %bb.5208:                             ;   in Loop: Header=BB6_4903 Depth=2
	s_and_not1_saveexec_b32 s7, s7
; %bb.5209:                             ;   in Loop: Header=BB6_4903 Depth=2
	s_delay_alu instid0(VALU_DEP_1)
	v_bfe_u32 v11, v14, 23, 1
; %bb.5210:                             ;   in Loop: Header=BB6_4903 Depth=2
	s_or_b32 exec_lo, exec_lo, s7
	v_lshrrev_b32_e32 v14, 20, v14
	s_delay_alu instid0(VALU_DEP_2) | instskip(SKIP_2) | instid1(VALU_DEP_4)
	v_cmp_gt_i32_e32 vcc_lo, 16, v11
	v_lshrrev_b32_e32 v10, 24, v10
	v_min_i32_e32 v15, 15, v11
	v_cndmask_b32_e32 v14, 7, v14, vcc_lo
	s_delay_alu instid0(VALU_DEP_3) | instskip(NEXT) | instid1(VALU_DEP_3)
	v_and_b32_e32 v10, 0x80, v10
	v_lshlrev_b32_e32 v15, 3, v15
	s_delay_alu instid0(VALU_DEP_3) | instskip(SKIP_1) | instid1(VALU_DEP_2)
	v_and_b32_e32 v16, 7, v14
	v_or_b32_e32 v11, v11, v14
	v_or3_b32 v10, v15, v10, v16
	s_delay_alu instid0(VALU_DEP_2) | instskip(NEXT) | instid1(VALU_DEP_2)
	v_cmp_ne_u32_e32 vcc_lo, 0, v11
	v_cndmask_b32_e32 v57, 0, v10, vcc_lo
.LBB6_5211:                             ;   in Loop: Header=BB6_4903 Depth=2
	s_or_b32 exec_lo, exec_lo, s25
.LBB6_5212:                             ;   in Loop: Header=BB6_4903 Depth=2
	s_delay_alu instid0(SALU_CYCLE_1) | instskip(SKIP_3) | instid1(VALU_DEP_1)
	s_or_b32 exec_lo, exec_lo, s24
	v_lshrrev_b16 v10, 8, v12
	s_mov_b32 s7, 0
	s_mov_b32 s25, exec_lo
                                        ; implicit-def: $sgpr24
	v_cmpx_lt_i16_e32 0x7f, v10
	s_xor_b32 s25, exec_lo, s25
	s_cbranch_execnz .LBB6_6802
; %bb.5213:                             ;   in Loop: Header=BB6_4903 Depth=2
	s_or_saveexec_b32 s25, s25
	v_mov_b32_e32 v11, s24
	s_xor_b32 exec_lo, exec_lo, s25
	s_cbranch_execnz .LBB6_6805
.LBB6_5214:                             ;   in Loop: Header=BB6_4903 Depth=2
	s_or_b32 exec_lo, exec_lo, s25
	s_and_saveexec_b32 s24, s7
	s_cbranch_execz .LBB6_5216
.LBB6_5215:                             ;   in Loop: Header=BB6_4903 Depth=2
	v_and_b32_e32 v11, 0xffff, v10
	v_lshlrev_b32_e32 v10, 24, v10
	s_delay_alu instid0(VALU_DEP_2) | instskip(NEXT) | instid1(VALU_DEP_2)
	v_and_b32_e32 v14, 7, v11
	v_and_b32_e32 v10, 0x80000000, v10
	s_delay_alu instid0(VALU_DEP_2) | instskip(NEXT) | instid1(VALU_DEP_1)
	v_clz_i32_u32_e32 v15, v14
	v_min_u32_e32 v15, 32, v15
	s_delay_alu instid0(VALU_DEP_1) | instskip(SKIP_1) | instid1(VALU_DEP_2)
	v_subrev_nc_u32_e32 v16, 28, v15
	v_sub_nc_u32_e32 v15, 29, v15
	v_lshlrev_b32_e32 v16, v16, v11
	v_bfe_u32 v11, v11, 3, 4
	s_delay_alu instid0(VALU_DEP_1) | instskip(NEXT) | instid1(VALU_DEP_3)
	v_cmp_eq_u32_e32 vcc_lo, 0, v11
	v_dual_cndmask_b32 v11, v11, v15 :: v_dual_and_b32 v16, 7, v16
	s_delay_alu instid0(VALU_DEP_1) | instskip(NEXT) | instid1(VALU_DEP_2)
	v_cndmask_b32_e32 v14, v14, v16, vcc_lo
	v_lshl_add_u32 v11, v11, 23, 0x3b800000
	s_delay_alu instid0(VALU_DEP_2) | instskip(NEXT) | instid1(VALU_DEP_1)
	v_lshlrev_b32_e32 v14, 20, v14
	v_or3_b32 v11, v10, v11, v14
.LBB6_5216:                             ;   in Loop: Header=BB6_4903 Depth=2
	s_or_b32 exec_lo, exec_lo, s24
	s_delay_alu instid0(VALU_DEP_1) | instskip(SKIP_1) | instid1(VALU_DEP_1)
	v_dual_mul_f32 v10, s23, v11 :: v_dual_mov_b32 v47, 0x80
	s_mov_b32 s24, exec_lo
	v_and_b32_e32 v11, 0x7f800000, v10
	s_delay_alu instid0(VALU_DEP_1)
	v_cmpx_ne_u32_e32 0x7f800000, v11
	s_cbranch_execz .LBB6_5224
; %bb.5217:                             ;   in Loop: Header=BB6_4903 Depth=2
	v_mov_b32_e32 v47, 0
	s_mov_b32 s25, exec_lo
	v_cmpx_ne_u32_e32 0, v10
	s_cbranch_execz .LBB6_5223
; %bb.5218:                             ;   in Loop: Header=BB6_4903 Depth=2
	v_bfe_u32 v11, v10, 23, 8
	s_delay_alu instid0(VALU_DEP_1) | instskip(SKIP_1) | instid1(VALU_DEP_2)
	v_sub_nc_u32_e32 v15, 0x78, v11
	v_cmp_gt_u32_e32 vcc_lo, 0x79, v11
	v_dual_cndmask_b32 v15, 0, v15 :: v_dual_and_b32 v14, 0x7fffff, v10
	s_delay_alu instid0(VALU_DEP_1) | instskip(SKIP_2) | instid1(VALU_DEP_4)
	v_or_b32_e32 v16, 0x800000, v14
	v_cmp_eq_u32_e32 vcc_lo, 0, v11
	v_add_nc_u32_e32 v11, 0xffffff89, v11
	v_cndmask_b32_e64 v15, v15, 0x77, vcc_lo
	s_delay_alu instid0(VALU_DEP_4) | instskip(NEXT) | instid1(VALU_DEP_3)
	v_cndmask_b32_e32 v14, v16, v14, vcc_lo
	v_cndmask_b32_e64 v11, v11, 0xffffff8a, vcc_lo
	s_delay_alu instid0(VALU_DEP_3) | instskip(NEXT) | instid1(VALU_DEP_3)
	v_lshl_add_u32 v16, 0x100000, v15, -1
	v_lshrrev_b32_e32 v17, v15, v14
	v_lshlrev_b32_e64 v19, v15, 0x80000
	s_delay_alu instid0(VALU_DEP_4) | instskip(NEXT) | instid1(VALU_DEP_4)
	v_add_nc_u32_e32 v15, v15, v11
	v_and_b32_e32 v14, v16, v14
	s_delay_alu instid0(VALU_DEP_4) | instskip(NEXT) | instid1(VALU_DEP_2)
	v_bfe_u32 v18, v17, 20, 1
	v_cmp_eq_u32_e64 s7, v14, v19
	s_delay_alu instid0(VALU_DEP_2) | instskip(NEXT) | instid1(VALU_DEP_1)
	v_add_nc_u32_e32 v16, -1, v18
	v_cndmask_b32_e64 v14, 0, v16, s7
	v_lshrrev_b32_e32 v16, 23, v17
	s_mov_b32 s7, exec_lo
	s_delay_alu instid0(VALU_DEP_2) | instskip(NEXT) | instid1(VALU_DEP_2)
	v_add_nc_u32_e32 v14, v14, v17
	v_xor_b32_e32 v16, 1, v16
	s_delay_alu instid0(VALU_DEP_2) | instskip(NEXT) | instid1(VALU_DEP_1)
	v_and_b32_e32 v11, 0xfffff, v14
	v_add_nc_u32_e32 v14, v11, v17
                                        ; implicit-def: $vgpr11
	s_delay_alu instid0(VALU_DEP_3)
	v_cmpx_ne_u32_e64 v15, v16
	s_xor_b32 s7, exec_lo, s7
; %bb.5219:                             ;   in Loop: Header=BB6_4903 Depth=2
	s_delay_alu instid0(VALU_DEP_2) | instskip(SKIP_2) | instid1(VALU_DEP_2)
	v_cmp_lt_u32_e32 vcc_lo, 0xffffff, v14
	v_sub_nc_u32_e32 v11, v15, v16
	v_cndmask_b32_e64 v15, 0, 1, vcc_lo
	v_add_co_ci_u32_e32 v11, vcc_lo, 0, v11, vcc_lo
	s_delay_alu instid0(VALU_DEP_2)
	v_lshrrev_b32_e32 v14, v15, v14
; %bb.5220:                             ;   in Loop: Header=BB6_4903 Depth=2
	s_and_not1_saveexec_b32 s7, s7
; %bb.5221:                             ;   in Loop: Header=BB6_4903 Depth=2
	s_delay_alu instid0(VALU_DEP_1)
	v_bfe_u32 v11, v14, 23, 1
; %bb.5222:                             ;   in Loop: Header=BB6_4903 Depth=2
	s_or_b32 exec_lo, exec_lo, s7
	v_lshrrev_b32_e32 v14, 20, v14
	s_delay_alu instid0(VALU_DEP_2) | instskip(SKIP_2) | instid1(VALU_DEP_4)
	v_cmp_gt_i32_e32 vcc_lo, 16, v11
	v_lshrrev_b32_e32 v10, 24, v10
	v_min_i32_e32 v15, 15, v11
	v_cndmask_b32_e32 v14, 7, v14, vcc_lo
	s_delay_alu instid0(VALU_DEP_3) | instskip(NEXT) | instid1(VALU_DEP_3)
	v_and_b32_e32 v10, 0x80, v10
	v_lshlrev_b32_e32 v15, 3, v15
	s_delay_alu instid0(VALU_DEP_3) | instskip(SKIP_1) | instid1(VALU_DEP_2)
	v_and_b32_e32 v16, 7, v14
	v_or_b32_e32 v11, v11, v14
	v_or3_b32 v10, v15, v10, v16
	s_delay_alu instid0(VALU_DEP_2) | instskip(NEXT) | instid1(VALU_DEP_2)
	v_cmp_ne_u32_e32 vcc_lo, 0, v11
	v_cndmask_b32_e32 v47, 0, v10, vcc_lo
.LBB6_5223:                             ;   in Loop: Header=BB6_4903 Depth=2
	s_or_b32 exec_lo, exec_lo, s25
.LBB6_5224:                             ;   in Loop: Header=BB6_4903 Depth=2
	s_delay_alu instid0(SALU_CYCLE_1) | instskip(SKIP_3) | instid1(VALU_DEP_1)
	s_or_b32 exec_lo, exec_lo, s24
	v_lshrrev_b32_e32 v10, 16, v12
	s_mov_b32 s7, 0
	s_mov_b32 s25, exec_lo
                                        ; implicit-def: $sgpr24
	v_and_b32_e32 v14, 0xff, v10
	s_delay_alu instid0(VALU_DEP_1)
	v_cmpx_lt_i16_e32 0x7f, v14
	s_xor_b32 s25, exec_lo, s25
	s_cbranch_execnz .LBB6_6806
; %bb.5225:                             ;   in Loop: Header=BB6_4903 Depth=2
	s_or_saveexec_b32 s25, s25
	v_mov_b32_e32 v11, s24
	s_xor_b32 exec_lo, exec_lo, s25
	s_cbranch_execnz .LBB6_6809
.LBB6_5226:                             ;   in Loop: Header=BB6_4903 Depth=2
	s_or_b32 exec_lo, exec_lo, s25
	s_and_saveexec_b32 s24, s7
	s_cbranch_execz .LBB6_5228
.LBB6_5227:                             ;   in Loop: Header=BB6_4903 Depth=2
	v_bfe_u32 v11, v12, 16, 3
	v_lshlrev_b32_e32 v16, 8, v12
	s_delay_alu instid0(VALU_DEP_2) | instskip(NEXT) | instid1(VALU_DEP_1)
	v_clz_i32_u32_e32 v14, v11
	v_min_u32_e32 v14, 32, v14
	s_delay_alu instid0(VALU_DEP_1) | instskip(SKIP_1) | instid1(VALU_DEP_2)
	v_subrev_nc_u32_e32 v15, 28, v14
	v_sub_nc_u32_e32 v14, 29, v14
	v_lshlrev_b32_e32 v10, v15, v10
	v_bfe_u32 v15, v12, 19, 4
	s_delay_alu instid0(VALU_DEP_2) | instskip(NEXT) | instid1(VALU_DEP_2)
	v_and_b32_e32 v10, 7, v10
	v_cmp_eq_u32_e32 vcc_lo, 0, v15
	v_cndmask_b32_e32 v14, v15, v14, vcc_lo
	s_delay_alu instid0(VALU_DEP_3) | instskip(NEXT) | instid1(VALU_DEP_2)
	v_dual_cndmask_b32 v10, v11, v10 :: v_dual_and_b32 v11, 0x80000000, v16
	v_lshl_add_u32 v14, v14, 23, 0x3b800000
	s_delay_alu instid0(VALU_DEP_2) | instskip(NEXT) | instid1(VALU_DEP_1)
	v_lshlrev_b32_e32 v10, 20, v10
	v_or3_b32 v11, v11, v14, v10
.LBB6_5228:                             ;   in Loop: Header=BB6_4903 Depth=2
	s_or_b32 exec_lo, exec_lo, s24
	s_delay_alu instid0(VALU_DEP_1) | instskip(SKIP_2) | instid1(VALU_DEP_2)
	v_mul_f32_e32 v10, s23, v11
	v_mov_b32_e32 v46, 0x80
	s_mov_b32 s24, exec_lo
	v_and_b32_e32 v11, 0x7f800000, v10
	s_delay_alu instid0(VALU_DEP_1)
	v_cmpx_ne_u32_e32 0x7f800000, v11
	s_cbranch_execz .LBB6_5236
; %bb.5229:                             ;   in Loop: Header=BB6_4903 Depth=2
	v_mov_b32_e32 v46, 0
	s_mov_b32 s25, exec_lo
	v_cmpx_ne_u32_e32 0, v10
	s_cbranch_execz .LBB6_5235
; %bb.5230:                             ;   in Loop: Header=BB6_4903 Depth=2
	v_bfe_u32 v11, v10, 23, 8
	s_delay_alu instid0(VALU_DEP_1) | instskip(SKIP_1) | instid1(VALU_DEP_2)
	v_sub_nc_u32_e32 v15, 0x78, v11
	v_cmp_gt_u32_e32 vcc_lo, 0x79, v11
	v_dual_cndmask_b32 v15, 0, v15 :: v_dual_and_b32 v14, 0x7fffff, v10
	s_delay_alu instid0(VALU_DEP_1) | instskip(SKIP_2) | instid1(VALU_DEP_4)
	v_or_b32_e32 v16, 0x800000, v14
	v_cmp_eq_u32_e32 vcc_lo, 0, v11
	v_add_nc_u32_e32 v11, 0xffffff89, v11
	v_cndmask_b32_e64 v15, v15, 0x77, vcc_lo
	s_delay_alu instid0(VALU_DEP_4) | instskip(NEXT) | instid1(VALU_DEP_3)
	v_cndmask_b32_e32 v14, v16, v14, vcc_lo
	v_cndmask_b32_e64 v11, v11, 0xffffff8a, vcc_lo
	s_delay_alu instid0(VALU_DEP_3) | instskip(NEXT) | instid1(VALU_DEP_3)
	v_lshl_add_u32 v16, 0x100000, v15, -1
	v_lshrrev_b32_e32 v17, v15, v14
	v_lshlrev_b32_e64 v19, v15, 0x80000
	s_delay_alu instid0(VALU_DEP_4) | instskip(NEXT) | instid1(VALU_DEP_4)
	v_add_nc_u32_e32 v15, v15, v11
	v_and_b32_e32 v14, v16, v14
	s_delay_alu instid0(VALU_DEP_4) | instskip(NEXT) | instid1(VALU_DEP_2)
	v_bfe_u32 v18, v17, 20, 1
	v_cmp_eq_u32_e64 s7, v14, v19
	s_delay_alu instid0(VALU_DEP_2) | instskip(NEXT) | instid1(VALU_DEP_1)
	v_add_nc_u32_e32 v16, -1, v18
	v_cndmask_b32_e64 v14, 0, v16, s7
	v_lshrrev_b32_e32 v16, 23, v17
	s_mov_b32 s7, exec_lo
	s_delay_alu instid0(VALU_DEP_2) | instskip(NEXT) | instid1(VALU_DEP_2)
	v_add_nc_u32_e32 v14, v14, v17
	v_xor_b32_e32 v16, 1, v16
	s_delay_alu instid0(VALU_DEP_2) | instskip(NEXT) | instid1(VALU_DEP_1)
	v_and_b32_e32 v11, 0xfffff, v14
	v_add_nc_u32_e32 v14, v11, v17
                                        ; implicit-def: $vgpr11
	s_delay_alu instid0(VALU_DEP_3)
	v_cmpx_ne_u32_e64 v15, v16
	s_xor_b32 s7, exec_lo, s7
; %bb.5231:                             ;   in Loop: Header=BB6_4903 Depth=2
	s_delay_alu instid0(VALU_DEP_2) | instskip(SKIP_2) | instid1(VALU_DEP_2)
	v_cmp_lt_u32_e32 vcc_lo, 0xffffff, v14
	v_sub_nc_u32_e32 v11, v15, v16
	v_cndmask_b32_e64 v15, 0, 1, vcc_lo
	v_add_co_ci_u32_e32 v11, vcc_lo, 0, v11, vcc_lo
	s_delay_alu instid0(VALU_DEP_2)
	v_lshrrev_b32_e32 v14, v15, v14
; %bb.5232:                             ;   in Loop: Header=BB6_4903 Depth=2
	s_and_not1_saveexec_b32 s7, s7
; %bb.5233:                             ;   in Loop: Header=BB6_4903 Depth=2
	s_delay_alu instid0(VALU_DEP_1)
	v_bfe_u32 v11, v14, 23, 1
; %bb.5234:                             ;   in Loop: Header=BB6_4903 Depth=2
	s_or_b32 exec_lo, exec_lo, s7
	v_lshrrev_b32_e32 v14, 20, v14
	s_delay_alu instid0(VALU_DEP_2) | instskip(SKIP_2) | instid1(VALU_DEP_4)
	v_cmp_gt_i32_e32 vcc_lo, 16, v11
	v_lshrrev_b32_e32 v10, 24, v10
	v_min_i32_e32 v15, 15, v11
	v_cndmask_b32_e32 v14, 7, v14, vcc_lo
	s_delay_alu instid0(VALU_DEP_3) | instskip(NEXT) | instid1(VALU_DEP_3)
	v_and_b32_e32 v10, 0x80, v10
	v_lshlrev_b32_e32 v15, 3, v15
	s_delay_alu instid0(VALU_DEP_3) | instskip(SKIP_1) | instid1(VALU_DEP_2)
	v_and_b32_e32 v16, 7, v14
	v_or_b32_e32 v11, v11, v14
	v_or3_b32 v10, v15, v10, v16
	s_delay_alu instid0(VALU_DEP_2) | instskip(NEXT) | instid1(VALU_DEP_2)
	v_cmp_ne_u32_e32 vcc_lo, 0, v11
	v_cndmask_b32_e32 v46, 0, v10, vcc_lo
.LBB6_5235:                             ;   in Loop: Header=BB6_4903 Depth=2
	s_or_b32 exec_lo, exec_lo, s25
.LBB6_5236:                             ;   in Loop: Header=BB6_4903 Depth=2
	s_delay_alu instid0(SALU_CYCLE_1) | instskip(SKIP_3) | instid1(VALU_DEP_1)
	s_or_b32 exec_lo, exec_lo, s24
	v_lshrrev_b32_e32 v10, 24, v12
	s_mov_b32 s7, 0
	s_mov_b32 s25, exec_lo
                                        ; implicit-def: $sgpr24
	v_cmpx_lt_i16_e32 0x7f, v10
	s_xor_b32 s25, exec_lo, s25
	s_cbranch_execnz .LBB6_6810
; %bb.5237:                             ;   in Loop: Header=BB6_4903 Depth=2
	s_or_saveexec_b32 s25, s25
	v_mov_b32_e32 v11, s24
	s_xor_b32 exec_lo, exec_lo, s25
	s_cbranch_execnz .LBB6_6813
.LBB6_5238:                             ;   in Loop: Header=BB6_4903 Depth=2
	s_or_b32 exec_lo, exec_lo, s25
	s_and_saveexec_b32 s24, s7
	s_cbranch_execz .LBB6_5240
.LBB6_5239:                             ;   in Loop: Header=BB6_4903 Depth=2
	v_bfe_u32 v11, v12, 24, 3
	s_delay_alu instid0(VALU_DEP_1) | instskip(NEXT) | instid1(VALU_DEP_1)
	v_clz_i32_u32_e32 v14, v11
	v_min_u32_e32 v14, 32, v14
	s_delay_alu instid0(VALU_DEP_1) | instskip(SKIP_1) | instid1(VALU_DEP_2)
	v_subrev_nc_u32_e32 v15, 28, v14
	v_sub_nc_u32_e32 v14, 29, v14
	v_lshlrev_b32_e32 v10, v15, v10
	v_bfe_u32 v15, v12, 27, 4
	s_delay_alu instid0(VALU_DEP_2) | instskip(NEXT) | instid1(VALU_DEP_2)
	v_and_b32_e32 v10, 7, v10
	v_cmp_eq_u32_e32 vcc_lo, 0, v15
	v_cndmask_b32_e32 v14, v15, v14, vcc_lo
	s_delay_alu instid0(VALU_DEP_3) | instskip(NEXT) | instid1(VALU_DEP_2)
	v_dual_cndmask_b32 v10, v11, v10 :: v_dual_and_b32 v11, 0x80000000, v12
	v_lshl_add_u32 v12, v14, 23, 0x3b800000
	s_delay_alu instid0(VALU_DEP_2) | instskip(NEXT) | instid1(VALU_DEP_1)
	v_lshlrev_b32_e32 v10, 20, v10
	v_or3_b32 v11, v11, v12, v10
.LBB6_5240:                             ;   in Loop: Header=BB6_4903 Depth=2
	s_or_b32 exec_lo, exec_lo, s24
	s_delay_alu instid0(VALU_DEP_1) | instskip(SKIP_2) | instid1(VALU_DEP_2)
	v_mul_f32_e32 v10, s23, v11
	v_mov_b32_e32 v44, 0x80
	s_mov_b32 s24, exec_lo
	v_and_b32_e32 v11, 0x7f800000, v10
	s_delay_alu instid0(VALU_DEP_1)
	v_cmpx_ne_u32_e32 0x7f800000, v11
	s_cbranch_execz .LBB6_5248
; %bb.5241:                             ;   in Loop: Header=BB6_4903 Depth=2
	v_mov_b32_e32 v44, 0
	s_mov_b32 s25, exec_lo
	v_cmpx_ne_u32_e32 0, v10
	s_cbranch_execz .LBB6_5247
; %bb.5242:                             ;   in Loop: Header=BB6_4903 Depth=2
	v_bfe_u32 v11, v10, 23, 8
	v_and_b32_e32 v12, 0x7fffff, v10
	s_delay_alu instid0(VALU_DEP_2) | instskip(SKIP_1) | instid1(VALU_DEP_3)
	v_sub_nc_u32_e32 v14, 0x78, v11
	v_cmp_gt_u32_e32 vcc_lo, 0x79, v11
	v_or_b32_e32 v15, 0x800000, v12
	s_delay_alu instid0(VALU_DEP_3) | instskip(SKIP_2) | instid1(VALU_DEP_3)
	v_cndmask_b32_e32 v14, 0, v14, vcc_lo
	v_cmp_eq_u32_e32 vcc_lo, 0, v11
	v_add_nc_u32_e32 v11, 0xffffff89, v11
	v_cndmask_b32_e64 v14, v14, 0x77, vcc_lo
	v_cndmask_b32_e32 v12, v15, v12, vcc_lo
	s_delay_alu instid0(VALU_DEP_3) | instskip(NEXT) | instid1(VALU_DEP_3)
	v_cndmask_b32_e64 v11, v11, 0xffffff8a, vcc_lo
	v_lshl_add_u32 v15, 0x100000, v14, -1
	s_delay_alu instid0(VALU_DEP_3) | instskip(SKIP_1) | instid1(VALU_DEP_4)
	v_lshrrev_b32_e32 v16, v14, v12
	v_lshlrev_b32_e64 v18, v14, 0x80000
	v_add_nc_u32_e32 v14, v14, v11
	s_delay_alu instid0(VALU_DEP_4) | instskip(NEXT) | instid1(VALU_DEP_4)
	v_and_b32_e32 v12, v15, v12
	v_bfe_u32 v17, v16, 20, 1
	s_delay_alu instid0(VALU_DEP_2) | instskip(NEXT) | instid1(VALU_DEP_2)
	v_cmp_eq_u32_e64 s7, v12, v18
	v_add_nc_u32_e32 v15, -1, v17
	s_delay_alu instid0(VALU_DEP_1) | instskip(SKIP_2) | instid1(VALU_DEP_2)
	v_cndmask_b32_e64 v12, 0, v15, s7
	v_lshrrev_b32_e32 v15, 23, v16
	s_mov_b32 s7, exec_lo
	v_add_nc_u32_e32 v12, v12, v16
	s_delay_alu instid0(VALU_DEP_2) | instskip(NEXT) | instid1(VALU_DEP_2)
	v_xor_b32_e32 v15, 1, v15
	v_and_b32_e32 v11, 0xfffff, v12
	s_delay_alu instid0(VALU_DEP_1) | instskip(NEXT) | instid1(VALU_DEP_3)
	v_add_nc_u32_e32 v12, v11, v16
                                        ; implicit-def: $vgpr11
	v_cmpx_ne_u32_e64 v14, v15
	s_xor_b32 s7, exec_lo, s7
; %bb.5243:                             ;   in Loop: Header=BB6_4903 Depth=2
	s_delay_alu instid0(VALU_DEP_2) | instskip(SKIP_2) | instid1(VALU_DEP_2)
	v_cmp_lt_u32_e32 vcc_lo, 0xffffff, v12
	v_sub_nc_u32_e32 v11, v14, v15
	v_cndmask_b32_e64 v14, 0, 1, vcc_lo
	v_add_co_ci_u32_e32 v11, vcc_lo, 0, v11, vcc_lo
	s_delay_alu instid0(VALU_DEP_2)
	v_lshrrev_b32_e32 v12, v14, v12
; %bb.5244:                             ;   in Loop: Header=BB6_4903 Depth=2
	s_and_not1_saveexec_b32 s7, s7
; %bb.5245:                             ;   in Loop: Header=BB6_4903 Depth=2
	s_delay_alu instid0(VALU_DEP_1)
	v_bfe_u32 v11, v12, 23, 1
; %bb.5246:                             ;   in Loop: Header=BB6_4903 Depth=2
	s_or_b32 exec_lo, exec_lo, s7
	v_lshrrev_b32_e32 v12, 20, v12
	s_delay_alu instid0(VALU_DEP_2) | instskip(SKIP_2) | instid1(VALU_DEP_4)
	v_cmp_gt_i32_e32 vcc_lo, 16, v11
	v_lshrrev_b32_e32 v10, 24, v10
	v_min_i32_e32 v14, 15, v11
	v_cndmask_b32_e32 v12, 7, v12, vcc_lo
	s_delay_alu instid0(VALU_DEP_3) | instskip(NEXT) | instid1(VALU_DEP_3)
	v_and_b32_e32 v10, 0x80, v10
	v_lshlrev_b32_e32 v14, 3, v14
	s_delay_alu instid0(VALU_DEP_3) | instskip(NEXT) | instid1(VALU_DEP_1)
	v_or_b32_e32 v11, v11, v12
	v_cmp_ne_u32_e32 vcc_lo, 0, v11
	v_and_b32_e32 v15, 7, v12
	s_delay_alu instid0(VALU_DEP_1) | instskip(NEXT) | instid1(VALU_DEP_1)
	v_or3_b32 v10, v14, v10, v15
	v_cndmask_b32_e32 v44, 0, v10, vcc_lo
.LBB6_5247:                             ;   in Loop: Header=BB6_4903 Depth=2
	s_or_b32 exec_lo, exec_lo, s25
.LBB6_5248:                             ;   in Loop: Header=BB6_4903 Depth=2
	s_delay_alu instid0(SALU_CYCLE_1) | instskip(SKIP_3) | instid1(VALU_DEP_1)
	s_or_b32 exec_lo, exec_lo, s24
	v_and_b32_e32 v11, 0xff, v13
	s_mov_b32 s7, 0
	s_mov_b32 s25, exec_lo
                                        ; implicit-def: $sgpr24
	v_cmpx_lt_i16_e32 0x7f, v11
	s_xor_b32 s25, exec_lo, s25
	s_cbranch_execnz .LBB6_6814
; %bb.5249:                             ;   in Loop: Header=BB6_4903 Depth=2
	s_or_saveexec_b32 s25, s25
	v_mov_b32_e32 v10, s24
	s_xor_b32 exec_lo, exec_lo, s25
	s_cbranch_execnz .LBB6_6817
.LBB6_5250:                             ;   in Loop: Header=BB6_4903 Depth=2
	s_or_b32 exec_lo, exec_lo, s25
	s_and_saveexec_b32 s24, s7
	s_cbranch_execz .LBB6_5252
.LBB6_5251:                             ;   in Loop: Header=BB6_4903 Depth=2
	v_bfe_u32 v14, v13, 3, 4
	s_delay_alu instid0(VALU_DEP_1) | instskip(SKIP_1) | instid1(VALU_DEP_1)
	v_cmp_eq_u32_e32 vcc_lo, 0, v14
	v_and_b32_e32 v10, 7, v13
	v_clz_i32_u32_e32 v11, v10
	s_delay_alu instid0(VALU_DEP_1) | instskip(NEXT) | instid1(VALU_DEP_1)
	v_min_u32_e32 v11, 32, v11
	v_subrev_nc_u32_e32 v12, 28, v11
	v_sub_nc_u32_e32 v11, 29, v11
	s_delay_alu instid0(VALU_DEP_1) | instskip(NEXT) | instid1(VALU_DEP_1)
	v_dual_cndmask_b32 v11, v14, v11 :: v_dual_lshlrev_b32 v12, v12, v13
	v_and_b32_e32 v12, 7, v12
	v_lshlrev_b32_e32 v15, 24, v13
	s_delay_alu instid0(VALU_DEP_3) | instskip(NEXT) | instid1(VALU_DEP_3)
	v_lshl_add_u32 v11, v11, 23, 0x3b800000
	v_cndmask_b32_e32 v10, v10, v12, vcc_lo
	s_delay_alu instid0(VALU_DEP_3) | instskip(NEXT) | instid1(VALU_DEP_2)
	v_and_b32_e32 v12, 0x80000000, v15
	v_lshlrev_b32_e32 v10, 20, v10
	s_delay_alu instid0(VALU_DEP_1)
	v_or3_b32 v10, v12, v11, v10
.LBB6_5252:                             ;   in Loop: Header=BB6_4903 Depth=2
	s_or_b32 exec_lo, exec_lo, s24
	s_delay_alu instid0(VALU_DEP_1) | instskip(SKIP_1) | instid1(VALU_DEP_1)
	v_dual_mul_f32 v10, s23, v10 :: v_dual_mov_b32 v43, 0x80
	s_mov_b32 s24, exec_lo
	v_and_b32_e32 v11, 0x7f800000, v10
	s_delay_alu instid0(VALU_DEP_1)
	v_cmpx_ne_u32_e32 0x7f800000, v11
	s_cbranch_execz .LBB6_5260
; %bb.5253:                             ;   in Loop: Header=BB6_4903 Depth=2
	v_mov_b32_e32 v43, 0
	s_mov_b32 s25, exec_lo
	v_cmpx_ne_u32_e32 0, v10
	s_cbranch_execz .LBB6_5259
; %bb.5254:                             ;   in Loop: Header=BB6_4903 Depth=2
	v_bfe_u32 v11, v10, 23, 8
	v_and_b32_e32 v12, 0x7fffff, v10
	s_delay_alu instid0(VALU_DEP_2) | instskip(SKIP_1) | instid1(VALU_DEP_3)
	v_sub_nc_u32_e32 v14, 0x78, v11
	v_cmp_gt_u32_e32 vcc_lo, 0x79, v11
	v_or_b32_e32 v15, 0x800000, v12
	s_delay_alu instid0(VALU_DEP_3) | instskip(SKIP_2) | instid1(VALU_DEP_3)
	v_cndmask_b32_e32 v14, 0, v14, vcc_lo
	v_cmp_eq_u32_e32 vcc_lo, 0, v11
	v_add_nc_u32_e32 v11, 0xffffff89, v11
	v_cndmask_b32_e64 v14, v14, 0x77, vcc_lo
	v_cndmask_b32_e32 v12, v15, v12, vcc_lo
	s_delay_alu instid0(VALU_DEP_3) | instskip(NEXT) | instid1(VALU_DEP_3)
	v_cndmask_b32_e64 v11, v11, 0xffffff8a, vcc_lo
	v_lshl_add_u32 v15, 0x100000, v14, -1
	s_delay_alu instid0(VALU_DEP_3) | instskip(SKIP_1) | instid1(VALU_DEP_4)
	v_lshrrev_b32_e32 v16, v14, v12
	v_lshlrev_b32_e64 v18, v14, 0x80000
	v_add_nc_u32_e32 v14, v14, v11
	s_delay_alu instid0(VALU_DEP_4) | instskip(NEXT) | instid1(VALU_DEP_4)
	v_and_b32_e32 v12, v15, v12
	v_bfe_u32 v17, v16, 20, 1
	s_delay_alu instid0(VALU_DEP_2) | instskip(NEXT) | instid1(VALU_DEP_2)
	v_cmp_eq_u32_e64 s7, v12, v18
	v_add_nc_u32_e32 v15, -1, v17
	s_delay_alu instid0(VALU_DEP_1) | instskip(SKIP_2) | instid1(VALU_DEP_2)
	v_cndmask_b32_e64 v12, 0, v15, s7
	v_lshrrev_b32_e32 v15, 23, v16
	s_mov_b32 s7, exec_lo
	v_add_nc_u32_e32 v12, v12, v16
	s_delay_alu instid0(VALU_DEP_2) | instskip(NEXT) | instid1(VALU_DEP_2)
	v_xor_b32_e32 v15, 1, v15
	v_and_b32_e32 v11, 0xfffff, v12
	s_delay_alu instid0(VALU_DEP_1) | instskip(NEXT) | instid1(VALU_DEP_3)
	v_add_nc_u32_e32 v12, v11, v16
                                        ; implicit-def: $vgpr11
	v_cmpx_ne_u32_e64 v14, v15
	s_xor_b32 s7, exec_lo, s7
; %bb.5255:                             ;   in Loop: Header=BB6_4903 Depth=2
	s_delay_alu instid0(VALU_DEP_2) | instskip(SKIP_2) | instid1(VALU_DEP_2)
	v_cmp_lt_u32_e32 vcc_lo, 0xffffff, v12
	v_sub_nc_u32_e32 v11, v14, v15
	v_cndmask_b32_e64 v14, 0, 1, vcc_lo
	v_add_co_ci_u32_e32 v11, vcc_lo, 0, v11, vcc_lo
	s_delay_alu instid0(VALU_DEP_2)
	v_lshrrev_b32_e32 v12, v14, v12
; %bb.5256:                             ;   in Loop: Header=BB6_4903 Depth=2
	s_and_not1_saveexec_b32 s7, s7
; %bb.5257:                             ;   in Loop: Header=BB6_4903 Depth=2
	s_delay_alu instid0(VALU_DEP_1)
	v_bfe_u32 v11, v12, 23, 1
; %bb.5258:                             ;   in Loop: Header=BB6_4903 Depth=2
	s_or_b32 exec_lo, exec_lo, s7
	v_lshrrev_b32_e32 v12, 20, v12
	s_delay_alu instid0(VALU_DEP_2) | instskip(SKIP_2) | instid1(VALU_DEP_3)
	v_min_i32_e32 v14, 15, v11
	v_cmp_gt_i32_e32 vcc_lo, 16, v11
	v_lshrrev_b32_e32 v10, 24, v10
	v_lshlrev_b32_e32 v14, 3, v14
	v_cndmask_b32_e32 v12, 7, v12, vcc_lo
	s_delay_alu instid0(VALU_DEP_3) | instskip(NEXT) | instid1(VALU_DEP_3)
	v_and_b32_e32 v10, 0x80, v10
	v_and_b32_e32 v14, 0xf8, v14
	s_delay_alu instid0(VALU_DEP_3) | instskip(SKIP_1) | instid1(VALU_DEP_2)
	v_and_b32_e32 v15, 7, v12
	v_or_b32_e32 v11, v11, v12
	v_or3_b32 v10, v14, v10, v15
	s_delay_alu instid0(VALU_DEP_2) | instskip(NEXT) | instid1(VALU_DEP_2)
	v_cmp_ne_u32_e32 vcc_lo, 0, v11
	v_cndmask_b32_e32 v43, 0, v10, vcc_lo
.LBB6_5259:                             ;   in Loop: Header=BB6_4903 Depth=2
	s_or_b32 exec_lo, exec_lo, s25
.LBB6_5260:                             ;   in Loop: Header=BB6_4903 Depth=2
	s_delay_alu instid0(SALU_CYCLE_1) | instskip(SKIP_3) | instid1(VALU_DEP_1)
	s_or_b32 exec_lo, exec_lo, s24
	v_lshrrev_b16 v10, 8, v13
	s_mov_b32 s7, 0
	s_mov_b32 s25, exec_lo
                                        ; implicit-def: $sgpr24
	v_cmpx_lt_i16_e32 0x7f, v10
	s_xor_b32 s25, exec_lo, s25
	s_cbranch_execnz .LBB6_6818
; %bb.5261:                             ;   in Loop: Header=BB6_4903 Depth=2
	s_or_saveexec_b32 s25, s25
	v_mov_b32_e32 v11, s24
	s_xor_b32 exec_lo, exec_lo, s25
	s_cbranch_execnz .LBB6_6821
.LBB6_5262:                             ;   in Loop: Header=BB6_4903 Depth=2
	s_or_b32 exec_lo, exec_lo, s25
	s_and_saveexec_b32 s24, s7
	s_cbranch_execz .LBB6_5264
.LBB6_5263:                             ;   in Loop: Header=BB6_4903 Depth=2
	v_and_b32_e32 v11, 0xffff, v10
	v_lshlrev_b32_e32 v10, 24, v10
	s_delay_alu instid0(VALU_DEP_2) | instskip(NEXT) | instid1(VALU_DEP_2)
	v_and_b32_e32 v12, 7, v11
	v_and_b32_e32 v10, 0x80000000, v10
	s_delay_alu instid0(VALU_DEP_2) | instskip(NEXT) | instid1(VALU_DEP_1)
	v_clz_i32_u32_e32 v14, v12
	v_min_u32_e32 v14, 32, v14
	s_delay_alu instid0(VALU_DEP_1) | instskip(SKIP_1) | instid1(VALU_DEP_2)
	v_subrev_nc_u32_e32 v15, 28, v14
	v_sub_nc_u32_e32 v14, 29, v14
	v_lshlrev_b32_e32 v15, v15, v11
	v_bfe_u32 v11, v11, 3, 4
	s_delay_alu instid0(VALU_DEP_2) | instskip(NEXT) | instid1(VALU_DEP_2)
	v_and_b32_e32 v15, 7, v15
	v_cmp_eq_u32_e32 vcc_lo, 0, v11
	s_delay_alu instid0(VALU_DEP_2) | instskip(NEXT) | instid1(VALU_DEP_1)
	v_dual_cndmask_b32 v11, v11, v14 :: v_dual_cndmask_b32 v12, v12, v15
	v_lshl_add_u32 v11, v11, 23, 0x3b800000
	s_delay_alu instid0(VALU_DEP_2) | instskip(NEXT) | instid1(VALU_DEP_1)
	v_lshlrev_b32_e32 v12, 20, v12
	v_or3_b32 v11, v10, v11, v12
.LBB6_5264:                             ;   in Loop: Header=BB6_4903 Depth=2
	s_or_b32 exec_lo, exec_lo, s24
	s_delay_alu instid0(VALU_DEP_1) | instskip(SKIP_2) | instid1(VALU_DEP_2)
	v_mul_f32_e32 v10, s23, v11
	v_mov_b32_e32 v56, 0x8000
	s_mov_b32 s24, exec_lo
	v_and_b32_e32 v11, 0x7f800000, v10
	s_delay_alu instid0(VALU_DEP_1)
	v_cmpx_ne_u32_e32 0x7f800000, v11
	s_cbranch_execz .LBB6_5272
; %bb.5265:                             ;   in Loop: Header=BB6_4903 Depth=2
	v_mov_b32_e32 v56, 0
	s_mov_b32 s25, exec_lo
	v_cmpx_ne_u32_e32 0, v10
	s_cbranch_execz .LBB6_5271
; %bb.5266:                             ;   in Loop: Header=BB6_4903 Depth=2
	v_bfe_u32 v11, v10, 23, 8
	v_and_b32_e32 v12, 0x7fffff, v10
	s_delay_alu instid0(VALU_DEP_2) | instskip(SKIP_1) | instid1(VALU_DEP_3)
	v_sub_nc_u32_e32 v14, 0x78, v11
	v_cmp_gt_u32_e32 vcc_lo, 0x79, v11
	v_or_b32_e32 v15, 0x800000, v12
	s_delay_alu instid0(VALU_DEP_3) | instskip(SKIP_2) | instid1(VALU_DEP_3)
	v_cndmask_b32_e32 v14, 0, v14, vcc_lo
	v_cmp_eq_u32_e32 vcc_lo, 0, v11
	v_add_nc_u32_e32 v11, 0xffffff89, v11
	v_cndmask_b32_e64 v14, v14, 0x77, vcc_lo
	v_cndmask_b32_e32 v12, v15, v12, vcc_lo
	s_delay_alu instid0(VALU_DEP_3) | instskip(NEXT) | instid1(VALU_DEP_3)
	v_cndmask_b32_e64 v11, v11, 0xffffff8a, vcc_lo
	v_lshl_add_u32 v15, 0x100000, v14, -1
	s_delay_alu instid0(VALU_DEP_3) | instskip(SKIP_1) | instid1(VALU_DEP_4)
	v_lshrrev_b32_e32 v16, v14, v12
	v_lshlrev_b32_e64 v18, v14, 0x80000
	v_add_nc_u32_e32 v14, v14, v11
	s_delay_alu instid0(VALU_DEP_4) | instskip(NEXT) | instid1(VALU_DEP_4)
	v_and_b32_e32 v12, v15, v12
	v_bfe_u32 v17, v16, 20, 1
	s_delay_alu instid0(VALU_DEP_2) | instskip(NEXT) | instid1(VALU_DEP_2)
	v_cmp_eq_u32_e64 s7, v12, v18
	v_add_nc_u32_e32 v15, -1, v17
	s_delay_alu instid0(VALU_DEP_1) | instskip(SKIP_2) | instid1(VALU_DEP_2)
	v_cndmask_b32_e64 v12, 0, v15, s7
	v_lshrrev_b32_e32 v15, 23, v16
	s_mov_b32 s7, exec_lo
	v_add_nc_u32_e32 v12, v12, v16
	s_delay_alu instid0(VALU_DEP_2) | instskip(NEXT) | instid1(VALU_DEP_2)
	v_xor_b32_e32 v15, 1, v15
	v_and_b32_e32 v11, 0xfffff, v12
	s_delay_alu instid0(VALU_DEP_1) | instskip(NEXT) | instid1(VALU_DEP_3)
	v_add_nc_u32_e32 v12, v11, v16
                                        ; implicit-def: $vgpr11
	v_cmpx_ne_u32_e64 v14, v15
	s_xor_b32 s7, exec_lo, s7
; %bb.5267:                             ;   in Loop: Header=BB6_4903 Depth=2
	s_delay_alu instid0(VALU_DEP_2) | instskip(SKIP_2) | instid1(VALU_DEP_2)
	v_cmp_lt_u32_e32 vcc_lo, 0xffffff, v12
	v_sub_nc_u32_e32 v11, v14, v15
	v_cndmask_b32_e64 v14, 0, 1, vcc_lo
	v_add_co_ci_u32_e32 v11, vcc_lo, 0, v11, vcc_lo
	s_delay_alu instid0(VALU_DEP_2)
	v_lshrrev_b32_e32 v12, v14, v12
; %bb.5268:                             ;   in Loop: Header=BB6_4903 Depth=2
	s_and_not1_saveexec_b32 s7, s7
; %bb.5269:                             ;   in Loop: Header=BB6_4903 Depth=2
	s_delay_alu instid0(VALU_DEP_1)
	v_bfe_u32 v11, v12, 23, 1
; %bb.5270:                             ;   in Loop: Header=BB6_4903 Depth=2
	s_or_b32 exec_lo, exec_lo, s7
	v_lshrrev_b32_e32 v12, 20, v12
	s_delay_alu instid0(VALU_DEP_2) | instskip(SKIP_2) | instid1(VALU_DEP_4)
	v_cmp_gt_i32_e32 vcc_lo, 16, v11
	v_min_i32_e32 v14, 15, v11
	v_lshrrev_b32_e32 v10, 24, v10
	v_cndmask_b32_e32 v12, 7, v12, vcc_lo
	s_delay_alu instid0(VALU_DEP_3) | instskip(NEXT) | instid1(VALU_DEP_3)
	v_lshlrev_b32_e32 v14, 3, v14
	v_and_b32_e32 v10, 0x80, v10
	s_delay_alu instid0(VALU_DEP_3) | instskip(NEXT) | instid1(VALU_DEP_3)
	v_or_b32_e32 v11, v11, v12
	v_and_b32_e32 v14, 0xf8, v14
	s_delay_alu instid0(VALU_DEP_2) | instskip(SKIP_1) | instid1(VALU_DEP_1)
	v_cmp_ne_u32_e32 vcc_lo, 0, v11
	v_and_b32_e32 v15, 7, v12
	v_or3_b32 v10, v10, v14, v15
	s_delay_alu instid0(VALU_DEP_1) | instskip(NEXT) | instid1(VALU_DEP_1)
	v_lshlrev_b32_e32 v10, 8, v10
	v_cndmask_b32_e32 v56, 0, v10, vcc_lo
.LBB6_5271:                             ;   in Loop: Header=BB6_4903 Depth=2
	s_or_b32 exec_lo, exec_lo, s25
.LBB6_5272:                             ;   in Loop: Header=BB6_4903 Depth=2
	s_delay_alu instid0(SALU_CYCLE_1) | instskip(SKIP_3) | instid1(VALU_DEP_1)
	s_or_b32 exec_lo, exec_lo, s24
	v_lshrrev_b32_e32 v10, 16, v13
	s_mov_b32 s7, 0
	s_mov_b32 s25, exec_lo
                                        ; implicit-def: $sgpr24
	v_and_b32_e32 v12, 0xff, v10
	s_delay_alu instid0(VALU_DEP_1)
	v_cmpx_lt_i16_e32 0x7f, v12
	s_xor_b32 s25, exec_lo, s25
	s_cbranch_execnz .LBB6_6822
; %bb.5273:                             ;   in Loop: Header=BB6_4903 Depth=2
	s_or_saveexec_b32 s25, s25
	v_mov_b32_e32 v11, s24
	s_xor_b32 exec_lo, exec_lo, s25
	s_cbranch_execnz .LBB6_6825
.LBB6_5274:                             ;   in Loop: Header=BB6_4903 Depth=2
	s_or_b32 exec_lo, exec_lo, s25
	s_and_saveexec_b32 s24, s7
	s_cbranch_execz .LBB6_5276
.LBB6_5275:                             ;   in Loop: Header=BB6_4903 Depth=2
	v_bfe_u32 v11, v13, 16, 3
	s_delay_alu instid0(VALU_DEP_1) | instskip(NEXT) | instid1(VALU_DEP_1)
	v_clz_i32_u32_e32 v12, v11
	v_min_u32_e32 v12, 32, v12
	s_delay_alu instid0(VALU_DEP_1) | instskip(SKIP_1) | instid1(VALU_DEP_2)
	v_subrev_nc_u32_e32 v14, 28, v12
	v_sub_nc_u32_e32 v12, 29, v12
	v_lshlrev_b32_e32 v10, v14, v10
	v_bfe_u32 v14, v13, 19, 4
	s_delay_alu instid0(VALU_DEP_2) | instskip(NEXT) | instid1(VALU_DEP_2)
	v_and_b32_e32 v10, 7, v10
	v_cmp_eq_u32_e32 vcc_lo, 0, v14
	v_dual_cndmask_b32 v12, v14, v12 :: v_dual_lshlrev_b32 v15, 8, v13
	s_delay_alu instid0(VALU_DEP_1) | instskip(NEXT) | instid1(VALU_DEP_2)
	v_dual_cndmask_b32 v10, v11, v10 :: v_dual_and_b32 v11, 0x80000000, v15
	v_lshl_add_u32 v12, v12, 23, 0x3b800000
	s_delay_alu instid0(VALU_DEP_2) | instskip(NEXT) | instid1(VALU_DEP_1)
	v_lshlrev_b32_e32 v10, 20, v10
	v_or3_b32 v11, v11, v12, v10
.LBB6_5276:                             ;   in Loop: Header=BB6_4903 Depth=2
	s_or_b32 exec_lo, exec_lo, s24
	s_delay_alu instid0(VALU_DEP_1) | instskip(SKIP_2) | instid1(VALU_DEP_2)
	v_mul_f32_e32 v10, s23, v11
	v_mov_b32_e32 v42, 0x80
	s_mov_b32 s24, exec_lo
	v_and_b32_e32 v11, 0x7f800000, v10
	s_delay_alu instid0(VALU_DEP_1)
	v_cmpx_ne_u32_e32 0x7f800000, v11
	s_cbranch_execz .LBB6_5284
; %bb.5277:                             ;   in Loop: Header=BB6_4903 Depth=2
	v_mov_b32_e32 v42, 0
	s_mov_b32 s25, exec_lo
	v_cmpx_ne_u32_e32 0, v10
	s_cbranch_execz .LBB6_5283
; %bb.5278:                             ;   in Loop: Header=BB6_4903 Depth=2
	v_bfe_u32 v11, v10, 23, 8
	v_and_b32_e32 v12, 0x7fffff, v10
	s_delay_alu instid0(VALU_DEP_2) | instskip(SKIP_1) | instid1(VALU_DEP_3)
	v_sub_nc_u32_e32 v14, 0x78, v11
	v_cmp_gt_u32_e32 vcc_lo, 0x79, v11
	v_or_b32_e32 v15, 0x800000, v12
	s_delay_alu instid0(VALU_DEP_3) | instskip(SKIP_2) | instid1(VALU_DEP_3)
	v_cndmask_b32_e32 v14, 0, v14, vcc_lo
	v_cmp_eq_u32_e32 vcc_lo, 0, v11
	v_add_nc_u32_e32 v11, 0xffffff89, v11
	v_cndmask_b32_e64 v14, v14, 0x77, vcc_lo
	v_cndmask_b32_e32 v12, v15, v12, vcc_lo
	s_delay_alu instid0(VALU_DEP_3) | instskip(NEXT) | instid1(VALU_DEP_3)
	v_cndmask_b32_e64 v11, v11, 0xffffff8a, vcc_lo
	v_lshl_add_u32 v15, 0x100000, v14, -1
	s_delay_alu instid0(VALU_DEP_3) | instskip(SKIP_1) | instid1(VALU_DEP_4)
	v_lshrrev_b32_e32 v16, v14, v12
	v_lshlrev_b32_e64 v18, v14, 0x80000
	v_add_nc_u32_e32 v14, v14, v11
	s_delay_alu instid0(VALU_DEP_4) | instskip(NEXT) | instid1(VALU_DEP_4)
	v_and_b32_e32 v12, v15, v12
	v_bfe_u32 v17, v16, 20, 1
	s_delay_alu instid0(VALU_DEP_2) | instskip(NEXT) | instid1(VALU_DEP_2)
	v_cmp_eq_u32_e64 s7, v12, v18
	v_add_nc_u32_e32 v15, -1, v17
	s_delay_alu instid0(VALU_DEP_1) | instskip(SKIP_2) | instid1(VALU_DEP_2)
	v_cndmask_b32_e64 v12, 0, v15, s7
	v_lshrrev_b32_e32 v15, 23, v16
	s_mov_b32 s7, exec_lo
	v_add_nc_u32_e32 v12, v12, v16
	s_delay_alu instid0(VALU_DEP_2) | instskip(NEXT) | instid1(VALU_DEP_2)
	v_xor_b32_e32 v15, 1, v15
	v_and_b32_e32 v11, 0xfffff, v12
	s_delay_alu instid0(VALU_DEP_1) | instskip(NEXT) | instid1(VALU_DEP_3)
	v_add_nc_u32_e32 v12, v11, v16
                                        ; implicit-def: $vgpr11
	v_cmpx_ne_u32_e64 v14, v15
	s_xor_b32 s7, exec_lo, s7
; %bb.5279:                             ;   in Loop: Header=BB6_4903 Depth=2
	s_delay_alu instid0(VALU_DEP_2) | instskip(SKIP_2) | instid1(VALU_DEP_2)
	v_cmp_lt_u32_e32 vcc_lo, 0xffffff, v12
	v_sub_nc_u32_e32 v11, v14, v15
	v_cndmask_b32_e64 v14, 0, 1, vcc_lo
	v_add_co_ci_u32_e32 v11, vcc_lo, 0, v11, vcc_lo
	s_delay_alu instid0(VALU_DEP_2)
	v_lshrrev_b32_e32 v12, v14, v12
; %bb.5280:                             ;   in Loop: Header=BB6_4903 Depth=2
	s_and_not1_saveexec_b32 s7, s7
; %bb.5281:                             ;   in Loop: Header=BB6_4903 Depth=2
	s_delay_alu instid0(VALU_DEP_1)
	v_bfe_u32 v11, v12, 23, 1
; %bb.5282:                             ;   in Loop: Header=BB6_4903 Depth=2
	s_or_b32 exec_lo, exec_lo, s7
	v_lshrrev_b32_e32 v12, 20, v12
	s_delay_alu instid0(VALU_DEP_2) | instskip(SKIP_2) | instid1(VALU_DEP_4)
	v_cmp_gt_i32_e32 vcc_lo, 16, v11
	v_min_i32_e32 v14, 15, v11
	v_lshrrev_b32_e32 v10, 24, v10
	v_cndmask_b32_e32 v12, 7, v12, vcc_lo
	s_delay_alu instid0(VALU_DEP_3) | instskip(NEXT) | instid1(VALU_DEP_3)
	v_lshlrev_b32_e32 v14, 3, v14
	v_and_b32_e32 v10, 0x80, v10
	s_delay_alu instid0(VALU_DEP_3) | instskip(NEXT) | instid1(VALU_DEP_3)
	v_or_b32_e32 v11, v11, v12
	v_and_b32_e32 v14, 0xf8, v14
	s_delay_alu instid0(VALU_DEP_2) | instskip(SKIP_1) | instid1(VALU_DEP_1)
	v_cmp_ne_u32_e32 vcc_lo, 0, v11
	v_and_b32_e32 v15, 7, v12
	v_or3_b32 v10, v14, v10, v15
	s_delay_alu instid0(VALU_DEP_1)
	v_cndmask_b32_e32 v42, 0, v10, vcc_lo
.LBB6_5283:                             ;   in Loop: Header=BB6_4903 Depth=2
	s_or_b32 exec_lo, exec_lo, s25
.LBB6_5284:                             ;   in Loop: Header=BB6_4903 Depth=2
	s_delay_alu instid0(SALU_CYCLE_1) | instskip(SKIP_3) | instid1(VALU_DEP_1)
	s_or_b32 exec_lo, exec_lo, s24
	v_lshrrev_b32_e32 v10, 24, v13
	s_mov_b32 s7, 0
	s_mov_b32 s25, exec_lo
                                        ; implicit-def: $sgpr24
	v_cmpx_lt_i16_e32 0x7f, v10
	s_xor_b32 s25, exec_lo, s25
	s_cbranch_execnz .LBB6_6826
; %bb.5285:                             ;   in Loop: Header=BB6_4903 Depth=2
	s_or_saveexec_b32 s25, s25
	v_mov_b32_e32 v11, s24
	s_xor_b32 exec_lo, exec_lo, s25
	s_cbranch_execnz .LBB6_6829
.LBB6_5286:                             ;   in Loop: Header=BB6_4903 Depth=2
	s_or_b32 exec_lo, exec_lo, s25
	s_and_saveexec_b32 s24, s7
	s_cbranch_execz .LBB6_5288
.LBB6_5287:                             ;   in Loop: Header=BB6_4903 Depth=2
	v_bfe_u32 v11, v13, 24, 3
	s_delay_alu instid0(VALU_DEP_1) | instskip(NEXT) | instid1(VALU_DEP_1)
	v_clz_i32_u32_e32 v12, v11
	v_min_u32_e32 v12, 32, v12
	s_delay_alu instid0(VALU_DEP_1) | instskip(SKIP_1) | instid1(VALU_DEP_2)
	v_subrev_nc_u32_e32 v14, 28, v12
	v_sub_nc_u32_e32 v12, 29, v12
	v_lshlrev_b32_e32 v10, v14, v10
	v_bfe_u32 v14, v13, 27, 4
	s_delay_alu instid0(VALU_DEP_2) | instskip(NEXT) | instid1(VALU_DEP_2)
	v_and_b32_e32 v10, 7, v10
	v_cmp_eq_u32_e32 vcc_lo, 0, v14
	v_cndmask_b32_e32 v12, v14, v12, vcc_lo
	s_delay_alu instid0(VALU_DEP_3) | instskip(NEXT) | instid1(VALU_DEP_2)
	v_dual_cndmask_b32 v10, v11, v10 :: v_dual_and_b32 v11, 0x80000000, v13
	v_lshl_add_u32 v12, v12, 23, 0x3b800000
	s_delay_alu instid0(VALU_DEP_2) | instskip(NEXT) | instid1(VALU_DEP_1)
	v_lshlrev_b32_e32 v10, 20, v10
	v_or3_b32 v11, v11, v12, v10
.LBB6_5288:                             ;   in Loop: Header=BB6_4903 Depth=2
	s_or_b32 exec_lo, exec_lo, s24
	s_delay_alu instid0(VALU_DEP_1) | instskip(SKIP_1) | instid1(VALU_DEP_1)
	v_dual_mul_f32 v10, s23, v11 :: v_dual_mov_b32 v45, 0x8000
	s_mov_b32 s24, exec_lo
	v_and_b32_e32 v11, 0x7f800000, v10
	s_delay_alu instid0(VALU_DEP_1)
	v_cmpx_ne_u32_e32 0x7f800000, v11
	s_cbranch_execz .LBB6_5296
; %bb.5289:                             ;   in Loop: Header=BB6_4903 Depth=2
	v_mov_b32_e32 v45, 0
	s_mov_b32 s25, exec_lo
	v_cmpx_ne_u32_e32 0, v10
	s_cbranch_execz .LBB6_5295
; %bb.5290:                             ;   in Loop: Header=BB6_4903 Depth=2
	v_bfe_u32 v11, v10, 23, 8
	s_delay_alu instid0(VALU_DEP_1) | instskip(SKIP_1) | instid1(VALU_DEP_2)
	v_sub_nc_u32_e32 v13, 0x78, v11
	v_cmp_gt_u32_e32 vcc_lo, 0x79, v11
	v_dual_cndmask_b32 v13, 0, v13 :: v_dual_and_b32 v12, 0x7fffff, v10
	s_delay_alu instid0(VALU_DEP_1) | instskip(SKIP_2) | instid1(VALU_DEP_4)
	v_or_b32_e32 v14, 0x800000, v12
	v_cmp_eq_u32_e32 vcc_lo, 0, v11
	v_add_nc_u32_e32 v11, 0xffffff89, v11
	v_cndmask_b32_e64 v13, v13, 0x77, vcc_lo
	s_delay_alu instid0(VALU_DEP_4) | instskip(NEXT) | instid1(VALU_DEP_3)
	v_cndmask_b32_e32 v12, v14, v12, vcc_lo
	v_cndmask_b32_e64 v11, v11, 0xffffff8a, vcc_lo
	s_delay_alu instid0(VALU_DEP_3) | instskip(NEXT) | instid1(VALU_DEP_3)
	v_lshl_add_u32 v14, 0x100000, v13, -1
	v_lshrrev_b32_e32 v15, v13, v12
	v_lshlrev_b32_e64 v17, v13, 0x80000
	s_delay_alu instid0(VALU_DEP_4) | instskip(NEXT) | instid1(VALU_DEP_4)
	v_add_nc_u32_e32 v13, v13, v11
	v_and_b32_e32 v12, v14, v12
	s_delay_alu instid0(VALU_DEP_4) | instskip(NEXT) | instid1(VALU_DEP_2)
	v_bfe_u32 v16, v15, 20, 1
	v_cmp_eq_u32_e64 s7, v12, v17
	s_delay_alu instid0(VALU_DEP_2) | instskip(NEXT) | instid1(VALU_DEP_1)
	v_add_nc_u32_e32 v14, -1, v16
	v_cndmask_b32_e64 v12, 0, v14, s7
	v_lshrrev_b32_e32 v14, 23, v15
	s_mov_b32 s7, exec_lo
	s_delay_alu instid0(VALU_DEP_2) | instskip(NEXT) | instid1(VALU_DEP_2)
	v_add_nc_u32_e32 v12, v12, v15
	v_xor_b32_e32 v14, 1, v14
	s_delay_alu instid0(VALU_DEP_2) | instskip(NEXT) | instid1(VALU_DEP_1)
	v_and_b32_e32 v11, 0xfffff, v12
	v_add_nc_u32_e32 v12, v11, v15
                                        ; implicit-def: $vgpr11
	s_delay_alu instid0(VALU_DEP_3)
	v_cmpx_ne_u32_e64 v13, v14
	s_xor_b32 s7, exec_lo, s7
; %bb.5291:                             ;   in Loop: Header=BB6_4903 Depth=2
	s_delay_alu instid0(VALU_DEP_2) | instskip(SKIP_2) | instid1(VALU_DEP_2)
	v_cmp_lt_u32_e32 vcc_lo, 0xffffff, v12
	v_sub_nc_u32_e32 v11, v13, v14
	v_cndmask_b32_e64 v13, 0, 1, vcc_lo
	v_add_co_ci_u32_e32 v11, vcc_lo, 0, v11, vcc_lo
	s_delay_alu instid0(VALU_DEP_2)
	v_lshrrev_b32_e32 v12, v13, v12
; %bb.5292:                             ;   in Loop: Header=BB6_4903 Depth=2
	s_and_not1_saveexec_b32 s7, s7
; %bb.5293:                             ;   in Loop: Header=BB6_4903 Depth=2
	s_delay_alu instid0(VALU_DEP_1)
	v_bfe_u32 v11, v12, 23, 1
; %bb.5294:                             ;   in Loop: Header=BB6_4903 Depth=2
	s_or_b32 exec_lo, exec_lo, s7
	v_lshrrev_b32_e32 v12, 20, v12
	s_delay_alu instid0(VALU_DEP_2) | instskip(SKIP_2) | instid1(VALU_DEP_2)
	v_cmp_gt_i32_e32 vcc_lo, 16, v11
	v_min_i32_e32 v13, 15, v11
	v_lshrrev_b32_e32 v10, 24, v10
	v_dual_cndmask_b32 v12, 7, v12 :: v_dual_lshlrev_b32 v13, 3, v13
	s_delay_alu instid0(VALU_DEP_2) | instskip(NEXT) | instid1(VALU_DEP_2)
	v_and_b32_e32 v10, 0x80, v10
	v_or_b32_e32 v11, v11, v12
	s_delay_alu instid0(VALU_DEP_3) | instskip(NEXT) | instid1(VALU_DEP_2)
	v_and_b32_e32 v13, 0xf8, v13
	v_cmp_ne_u32_e32 vcc_lo, 0, v11
	v_and_b32_e32 v14, 7, v12
	s_delay_alu instid0(VALU_DEP_1) | instskip(NEXT) | instid1(VALU_DEP_1)
	v_or3_b32 v10, v10, v13, v14
	v_lshlrev_b32_e32 v10, 8, v10
	s_delay_alu instid0(VALU_DEP_1)
	v_cndmask_b32_e32 v45, 0, v10, vcc_lo
.LBB6_5295:                             ;   in Loop: Header=BB6_4903 Depth=2
	s_or_b32 exec_lo, exec_lo, s25
.LBB6_5296:                             ;   in Loop: Header=BB6_4903 Depth=2
	s_delay_alu instid0(SALU_CYCLE_1)
	s_or_b32 exec_lo, exec_lo, s24
	global_load_b128 v[10:13], v[64:65], off offset:1024 slc dlc
	s_mov_b32 s7, 0
	s_mov_b32 s25, exec_lo
                                        ; implicit-def: $sgpr24
	s_waitcnt vmcnt(0)
	v_and_b32_e32 v15, 0xff, v10
	s_delay_alu instid0(VALU_DEP_1)
	v_cmpx_lt_i16_e32 0x7f, v15
	s_xor_b32 s25, exec_lo, s25
	s_cbranch_execnz .LBB6_6830
; %bb.5297:                             ;   in Loop: Header=BB6_4903 Depth=2
	s_or_saveexec_b32 s25, s25
	v_mov_b32_e32 v14, s24
	s_xor_b32 exec_lo, exec_lo, s25
	s_cbranch_execnz .LBB6_6833
.LBB6_5298:                             ;   in Loop: Header=BB6_4903 Depth=2
	s_or_b32 exec_lo, exec_lo, s25
	s_and_saveexec_b32 s24, s7
	s_cbranch_execz .LBB6_5300
.LBB6_5299:                             ;   in Loop: Header=BB6_4903 Depth=2
	v_bfe_u32 v17, v10, 3, 4
	v_lshlrev_b32_e32 v18, 24, v10
	s_delay_alu instid0(VALU_DEP_2) | instskip(SKIP_1) | instid1(VALU_DEP_1)
	v_cmp_eq_u32_e32 vcc_lo, 0, v17
	v_and_b32_e32 v14, 7, v10
	v_clz_i32_u32_e32 v15, v14
	s_delay_alu instid0(VALU_DEP_1) | instskip(NEXT) | instid1(VALU_DEP_1)
	v_min_u32_e32 v15, 32, v15
	v_subrev_nc_u32_e32 v16, 28, v15
	v_sub_nc_u32_e32 v15, 29, v15
	s_delay_alu instid0(VALU_DEP_1) | instskip(NEXT) | instid1(VALU_DEP_1)
	v_dual_cndmask_b32 v15, v17, v15 :: v_dual_lshlrev_b32 v16, v16, v10
	v_and_b32_e32 v16, 7, v16
	s_delay_alu instid0(VALU_DEP_2) | instskip(NEXT) | instid1(VALU_DEP_2)
	v_lshl_add_u32 v15, v15, 23, 0x3b800000
	v_cndmask_b32_e32 v14, v14, v16, vcc_lo
	v_and_b32_e32 v16, 0x80000000, v18
	s_delay_alu instid0(VALU_DEP_2) | instskip(NEXT) | instid1(VALU_DEP_1)
	v_lshlrev_b32_e32 v14, 20, v14
	v_or3_b32 v14, v16, v15, v14
.LBB6_5300:                             ;   in Loop: Header=BB6_4903 Depth=2
	s_or_b32 exec_lo, exec_lo, s24
	s_delay_alu instid0(VALU_DEP_1) | instskip(SKIP_2) | instid1(VALU_DEP_2)
	v_mul_f32_e32 v14, s23, v14
	v_mov_b32_e32 v40, 0x80
	s_mov_b32 s24, exec_lo
	v_and_b32_e32 v15, 0x7f800000, v14
	s_delay_alu instid0(VALU_DEP_1)
	v_cmpx_ne_u32_e32 0x7f800000, v15
	s_cbranch_execz .LBB6_5308
; %bb.5301:                             ;   in Loop: Header=BB6_4903 Depth=2
	v_mov_b32_e32 v40, 0
	s_mov_b32 s25, exec_lo
	v_cmpx_ne_u32_e32 0, v14
	s_cbranch_execz .LBB6_5307
; %bb.5302:                             ;   in Loop: Header=BB6_4903 Depth=2
	v_bfe_u32 v15, v14, 23, 8
	s_delay_alu instid0(VALU_DEP_1) | instskip(SKIP_1) | instid1(VALU_DEP_2)
	v_sub_nc_u32_e32 v17, 0x78, v15
	v_cmp_gt_u32_e32 vcc_lo, 0x79, v15
	v_dual_cndmask_b32 v17, 0, v17 :: v_dual_and_b32 v16, 0x7fffff, v14
	s_delay_alu instid0(VALU_DEP_1) | instskip(SKIP_2) | instid1(VALU_DEP_4)
	v_or_b32_e32 v18, 0x800000, v16
	v_cmp_eq_u32_e32 vcc_lo, 0, v15
	v_add_nc_u32_e32 v15, 0xffffff89, v15
	v_cndmask_b32_e64 v17, v17, 0x77, vcc_lo
	s_delay_alu instid0(VALU_DEP_4) | instskip(NEXT) | instid1(VALU_DEP_3)
	v_cndmask_b32_e32 v16, v18, v16, vcc_lo
	v_cndmask_b32_e64 v15, v15, 0xffffff8a, vcc_lo
	s_delay_alu instid0(VALU_DEP_3) | instskip(NEXT) | instid1(VALU_DEP_3)
	v_lshl_add_u32 v18, 0x100000, v17, -1
	v_lshrrev_b32_e32 v19, v17, v16
	v_lshlrev_b32_e64 v21, v17, 0x80000
	s_delay_alu instid0(VALU_DEP_4) | instskip(NEXT) | instid1(VALU_DEP_4)
	v_add_nc_u32_e32 v17, v17, v15
	v_and_b32_e32 v16, v18, v16
	s_delay_alu instid0(VALU_DEP_4) | instskip(NEXT) | instid1(VALU_DEP_2)
	v_bfe_u32 v20, v19, 20, 1
	v_cmp_eq_u32_e64 s7, v16, v21
	s_delay_alu instid0(VALU_DEP_2) | instskip(NEXT) | instid1(VALU_DEP_1)
	v_add_nc_u32_e32 v18, -1, v20
	v_cndmask_b32_e64 v16, 0, v18, s7
	v_lshrrev_b32_e32 v18, 23, v19
	s_mov_b32 s7, exec_lo
	s_delay_alu instid0(VALU_DEP_2) | instskip(NEXT) | instid1(VALU_DEP_2)
	v_add_nc_u32_e32 v16, v16, v19
	v_xor_b32_e32 v18, 1, v18
	s_delay_alu instid0(VALU_DEP_2) | instskip(NEXT) | instid1(VALU_DEP_1)
	v_and_b32_e32 v15, 0xfffff, v16
	v_add_nc_u32_e32 v16, v15, v19
                                        ; implicit-def: $vgpr15
	s_delay_alu instid0(VALU_DEP_3)
	v_cmpx_ne_u32_e64 v17, v18
	s_xor_b32 s7, exec_lo, s7
; %bb.5303:                             ;   in Loop: Header=BB6_4903 Depth=2
	s_delay_alu instid0(VALU_DEP_2) | instskip(SKIP_2) | instid1(VALU_DEP_2)
	v_cmp_lt_u32_e32 vcc_lo, 0xffffff, v16
	v_sub_nc_u32_e32 v15, v17, v18
	v_cndmask_b32_e64 v17, 0, 1, vcc_lo
	v_add_co_ci_u32_e32 v15, vcc_lo, 0, v15, vcc_lo
	s_delay_alu instid0(VALU_DEP_2)
	v_lshrrev_b32_e32 v16, v17, v16
; %bb.5304:                             ;   in Loop: Header=BB6_4903 Depth=2
	s_and_not1_saveexec_b32 s7, s7
; %bb.5305:                             ;   in Loop: Header=BB6_4903 Depth=2
	s_delay_alu instid0(VALU_DEP_1)
	v_bfe_u32 v15, v16, 23, 1
; %bb.5306:                             ;   in Loop: Header=BB6_4903 Depth=2
	s_or_b32 exec_lo, exec_lo, s7
	v_lshrrev_b32_e32 v16, 20, v16
	s_delay_alu instid0(VALU_DEP_2) | instskip(SKIP_2) | instid1(VALU_DEP_4)
	v_cmp_gt_i32_e32 vcc_lo, 16, v15
	v_lshrrev_b32_e32 v14, 24, v14
	v_min_i32_e32 v17, 15, v15
	v_cndmask_b32_e32 v16, 7, v16, vcc_lo
	s_delay_alu instid0(VALU_DEP_3) | instskip(NEXT) | instid1(VALU_DEP_3)
	v_and_b32_e32 v14, 0x80, v14
	v_lshlrev_b32_e32 v17, 3, v17
	s_delay_alu instid0(VALU_DEP_3) | instskip(SKIP_1) | instid1(VALU_DEP_2)
	v_and_b32_e32 v18, 7, v16
	v_or_b32_e32 v15, v15, v16
	v_or3_b32 v14, v17, v14, v18
	s_delay_alu instid0(VALU_DEP_2) | instskip(NEXT) | instid1(VALU_DEP_2)
	v_cmp_ne_u32_e32 vcc_lo, 0, v15
	v_cndmask_b32_e32 v40, 0, v14, vcc_lo
.LBB6_5307:                             ;   in Loop: Header=BB6_4903 Depth=2
	s_or_b32 exec_lo, exec_lo, s25
.LBB6_5308:                             ;   in Loop: Header=BB6_4903 Depth=2
	s_delay_alu instid0(SALU_CYCLE_1) | instskip(SKIP_3) | instid1(VALU_DEP_1)
	s_or_b32 exec_lo, exec_lo, s24
	v_lshrrev_b16 v14, 8, v10
	s_mov_b32 s7, 0
	s_mov_b32 s25, exec_lo
                                        ; implicit-def: $sgpr24
	v_cmpx_lt_i16_e32 0x7f, v14
	s_xor_b32 s25, exec_lo, s25
	s_cbranch_execnz .LBB6_6834
; %bb.5309:                             ;   in Loop: Header=BB6_4903 Depth=2
	s_or_saveexec_b32 s25, s25
	v_mov_b32_e32 v15, s24
	s_xor_b32 exec_lo, exec_lo, s25
	s_cbranch_execnz .LBB6_6837
.LBB6_5310:                             ;   in Loop: Header=BB6_4903 Depth=2
	s_or_b32 exec_lo, exec_lo, s25
	s_and_saveexec_b32 s24, s7
	s_cbranch_execz .LBB6_5312
.LBB6_5311:                             ;   in Loop: Header=BB6_4903 Depth=2
	v_and_b32_e32 v15, 0xffff, v14
	v_lshlrev_b32_e32 v14, 24, v14
	s_delay_alu instid0(VALU_DEP_2) | instskip(NEXT) | instid1(VALU_DEP_2)
	v_and_b32_e32 v16, 7, v15
	v_and_b32_e32 v14, 0x80000000, v14
	s_delay_alu instid0(VALU_DEP_2) | instskip(NEXT) | instid1(VALU_DEP_1)
	v_clz_i32_u32_e32 v17, v16
	v_min_u32_e32 v17, 32, v17
	s_delay_alu instid0(VALU_DEP_1) | instskip(SKIP_1) | instid1(VALU_DEP_2)
	v_subrev_nc_u32_e32 v18, 28, v17
	v_sub_nc_u32_e32 v17, 29, v17
	v_lshlrev_b32_e32 v18, v18, v15
	v_bfe_u32 v15, v15, 3, 4
	s_delay_alu instid0(VALU_DEP_2) | instskip(NEXT) | instid1(VALU_DEP_2)
	v_and_b32_e32 v18, 7, v18
	v_cmp_eq_u32_e32 vcc_lo, 0, v15
	s_delay_alu instid0(VALU_DEP_2) | instskip(NEXT) | instid1(VALU_DEP_1)
	v_dual_cndmask_b32 v15, v15, v17 :: v_dual_cndmask_b32 v16, v16, v18
	v_lshl_add_u32 v15, v15, 23, 0x3b800000
	s_delay_alu instid0(VALU_DEP_2) | instskip(NEXT) | instid1(VALU_DEP_1)
	v_lshlrev_b32_e32 v16, 20, v16
	v_or3_b32 v15, v14, v15, v16
.LBB6_5312:                             ;   in Loop: Header=BB6_4903 Depth=2
	s_or_b32 exec_lo, exec_lo, s24
	s_delay_alu instid0(VALU_DEP_1) | instskip(SKIP_2) | instid1(VALU_DEP_2)
	v_mul_f32_e32 v14, s23, v15
	v_mov_b32_e32 v182, 0x80
	s_mov_b32 s24, exec_lo
	v_and_b32_e32 v15, 0x7f800000, v14
	s_delay_alu instid0(VALU_DEP_1)
	v_cmpx_ne_u32_e32 0x7f800000, v15
	s_cbranch_execz .LBB6_5320
; %bb.5313:                             ;   in Loop: Header=BB6_4903 Depth=2
	v_mov_b32_e32 v182, 0
	s_mov_b32 s25, exec_lo
	v_cmpx_ne_u32_e32 0, v14
	s_cbranch_execz .LBB6_5319
; %bb.5314:                             ;   in Loop: Header=BB6_4903 Depth=2
	v_bfe_u32 v15, v14, 23, 8
	s_delay_alu instid0(VALU_DEP_1) | instskip(SKIP_1) | instid1(VALU_DEP_2)
	v_sub_nc_u32_e32 v17, 0x78, v15
	v_cmp_gt_u32_e32 vcc_lo, 0x79, v15
	v_dual_cndmask_b32 v17, 0, v17 :: v_dual_and_b32 v16, 0x7fffff, v14
	s_delay_alu instid0(VALU_DEP_1) | instskip(SKIP_2) | instid1(VALU_DEP_4)
	v_or_b32_e32 v18, 0x800000, v16
	v_cmp_eq_u32_e32 vcc_lo, 0, v15
	v_add_nc_u32_e32 v15, 0xffffff89, v15
	v_cndmask_b32_e64 v17, v17, 0x77, vcc_lo
	s_delay_alu instid0(VALU_DEP_4) | instskip(NEXT) | instid1(VALU_DEP_3)
	v_cndmask_b32_e32 v16, v18, v16, vcc_lo
	v_cndmask_b32_e64 v15, v15, 0xffffff8a, vcc_lo
	s_delay_alu instid0(VALU_DEP_3) | instskip(NEXT) | instid1(VALU_DEP_3)
	v_lshl_add_u32 v18, 0x100000, v17, -1
	v_lshrrev_b32_e32 v19, v17, v16
	v_lshlrev_b32_e64 v21, v17, 0x80000
	s_delay_alu instid0(VALU_DEP_4) | instskip(NEXT) | instid1(VALU_DEP_4)
	v_add_nc_u32_e32 v17, v17, v15
	v_and_b32_e32 v16, v18, v16
	s_delay_alu instid0(VALU_DEP_4) | instskip(NEXT) | instid1(VALU_DEP_2)
	v_bfe_u32 v20, v19, 20, 1
	v_cmp_eq_u32_e64 s7, v16, v21
	s_delay_alu instid0(VALU_DEP_2) | instskip(NEXT) | instid1(VALU_DEP_1)
	v_add_nc_u32_e32 v18, -1, v20
	v_cndmask_b32_e64 v16, 0, v18, s7
	v_lshrrev_b32_e32 v18, 23, v19
	s_mov_b32 s7, exec_lo
	s_delay_alu instid0(VALU_DEP_2) | instskip(NEXT) | instid1(VALU_DEP_2)
	v_add_nc_u32_e32 v16, v16, v19
	v_xor_b32_e32 v18, 1, v18
	s_delay_alu instid0(VALU_DEP_2) | instskip(NEXT) | instid1(VALU_DEP_1)
	v_and_b32_e32 v15, 0xfffff, v16
	v_add_nc_u32_e32 v16, v15, v19
                                        ; implicit-def: $vgpr15
	s_delay_alu instid0(VALU_DEP_3)
	v_cmpx_ne_u32_e64 v17, v18
	s_xor_b32 s7, exec_lo, s7
; %bb.5315:                             ;   in Loop: Header=BB6_4903 Depth=2
	s_delay_alu instid0(VALU_DEP_2) | instskip(SKIP_2) | instid1(VALU_DEP_2)
	v_cmp_lt_u32_e32 vcc_lo, 0xffffff, v16
	v_sub_nc_u32_e32 v15, v17, v18
	v_cndmask_b32_e64 v17, 0, 1, vcc_lo
	v_add_co_ci_u32_e32 v15, vcc_lo, 0, v15, vcc_lo
	s_delay_alu instid0(VALU_DEP_2)
	v_lshrrev_b32_e32 v16, v17, v16
; %bb.5316:                             ;   in Loop: Header=BB6_4903 Depth=2
	s_and_not1_saveexec_b32 s7, s7
; %bb.5317:                             ;   in Loop: Header=BB6_4903 Depth=2
	s_delay_alu instid0(VALU_DEP_1)
	v_bfe_u32 v15, v16, 23, 1
; %bb.5318:                             ;   in Loop: Header=BB6_4903 Depth=2
	s_or_b32 exec_lo, exec_lo, s7
	v_lshrrev_b32_e32 v16, 20, v16
	s_delay_alu instid0(VALU_DEP_2) | instskip(SKIP_2) | instid1(VALU_DEP_4)
	v_cmp_gt_i32_e32 vcc_lo, 16, v15
	v_lshrrev_b32_e32 v14, 24, v14
	v_min_i32_e32 v17, 15, v15
	v_cndmask_b32_e32 v16, 7, v16, vcc_lo
	s_delay_alu instid0(VALU_DEP_3) | instskip(NEXT) | instid1(VALU_DEP_3)
	v_and_b32_e32 v14, 0x80, v14
	v_lshlrev_b32_e32 v17, 3, v17
	s_delay_alu instid0(VALU_DEP_3) | instskip(SKIP_1) | instid1(VALU_DEP_2)
	v_and_b32_e32 v18, 7, v16
	v_or_b32_e32 v15, v15, v16
	v_or3_b32 v14, v17, v14, v18
	s_delay_alu instid0(VALU_DEP_2) | instskip(NEXT) | instid1(VALU_DEP_2)
	v_cmp_ne_u32_e32 vcc_lo, 0, v15
	v_cndmask_b32_e32 v182, 0, v14, vcc_lo
.LBB6_5319:                             ;   in Loop: Header=BB6_4903 Depth=2
	s_or_b32 exec_lo, exec_lo, s25
.LBB6_5320:                             ;   in Loop: Header=BB6_4903 Depth=2
	s_delay_alu instid0(SALU_CYCLE_1) | instskip(SKIP_3) | instid1(VALU_DEP_1)
	s_or_b32 exec_lo, exec_lo, s24
	v_lshrrev_b32_e32 v14, 16, v10
	s_mov_b32 s7, 0
	s_mov_b32 s25, exec_lo
                                        ; implicit-def: $sgpr24
	v_and_b32_e32 v16, 0xff, v14
	s_delay_alu instid0(VALU_DEP_1)
	v_cmpx_lt_i16_e32 0x7f, v16
	s_xor_b32 s25, exec_lo, s25
	s_cbranch_execnz .LBB6_6838
; %bb.5321:                             ;   in Loop: Header=BB6_4903 Depth=2
	s_or_saveexec_b32 s25, s25
	v_mov_b32_e32 v15, s24
	s_xor_b32 exec_lo, exec_lo, s25
	s_cbranch_execnz .LBB6_6841
.LBB6_5322:                             ;   in Loop: Header=BB6_4903 Depth=2
	s_or_b32 exec_lo, exec_lo, s25
	s_and_saveexec_b32 s24, s7
	s_cbranch_execz .LBB6_5324
.LBB6_5323:                             ;   in Loop: Header=BB6_4903 Depth=2
	v_bfe_u32 v15, v10, 16, 3
	v_lshlrev_b32_e32 v18, 8, v10
	s_delay_alu instid0(VALU_DEP_2) | instskip(NEXT) | instid1(VALU_DEP_1)
	v_clz_i32_u32_e32 v16, v15
	v_min_u32_e32 v16, 32, v16
	s_delay_alu instid0(VALU_DEP_1) | instskip(SKIP_1) | instid1(VALU_DEP_2)
	v_subrev_nc_u32_e32 v17, 28, v16
	v_sub_nc_u32_e32 v16, 29, v16
	v_lshlrev_b32_e32 v14, v17, v14
	v_bfe_u32 v17, v10, 19, 4
	s_delay_alu instid0(VALU_DEP_2) | instskip(NEXT) | instid1(VALU_DEP_2)
	v_and_b32_e32 v14, 7, v14
	v_cmp_eq_u32_e32 vcc_lo, 0, v17
	v_cndmask_b32_e32 v16, v17, v16, vcc_lo
	s_delay_alu instid0(VALU_DEP_3) | instskip(SKIP_1) | instid1(VALU_DEP_3)
	v_cndmask_b32_e32 v14, v15, v14, vcc_lo
	v_and_b32_e32 v15, 0x80000000, v18
	v_lshl_add_u32 v16, v16, 23, 0x3b800000
	s_delay_alu instid0(VALU_DEP_3) | instskip(NEXT) | instid1(VALU_DEP_1)
	v_lshlrev_b32_e32 v14, 20, v14
	v_or3_b32 v15, v15, v16, v14
.LBB6_5324:                             ;   in Loop: Header=BB6_4903 Depth=2
	s_or_b32 exec_lo, exec_lo, s24
	s_delay_alu instid0(VALU_DEP_1) | instskip(SKIP_2) | instid1(VALU_DEP_2)
	v_mul_f32_e32 v14, s23, v15
	v_mov_b32_e32 v180, 0x80
	s_mov_b32 s24, exec_lo
	v_and_b32_e32 v15, 0x7f800000, v14
	s_delay_alu instid0(VALU_DEP_1)
	v_cmpx_ne_u32_e32 0x7f800000, v15
	s_cbranch_execz .LBB6_5332
; %bb.5325:                             ;   in Loop: Header=BB6_4903 Depth=2
	v_mov_b32_e32 v180, 0
	s_mov_b32 s25, exec_lo
	v_cmpx_ne_u32_e32 0, v14
	s_cbranch_execz .LBB6_5331
; %bb.5326:                             ;   in Loop: Header=BB6_4903 Depth=2
	v_bfe_u32 v15, v14, 23, 8
	s_delay_alu instid0(VALU_DEP_1) | instskip(SKIP_1) | instid1(VALU_DEP_2)
	v_sub_nc_u32_e32 v17, 0x78, v15
	v_cmp_gt_u32_e32 vcc_lo, 0x79, v15
	v_dual_cndmask_b32 v17, 0, v17 :: v_dual_and_b32 v16, 0x7fffff, v14
	s_delay_alu instid0(VALU_DEP_1) | instskip(SKIP_2) | instid1(VALU_DEP_4)
	v_or_b32_e32 v18, 0x800000, v16
	v_cmp_eq_u32_e32 vcc_lo, 0, v15
	v_add_nc_u32_e32 v15, 0xffffff89, v15
	v_cndmask_b32_e64 v17, v17, 0x77, vcc_lo
	s_delay_alu instid0(VALU_DEP_4) | instskip(NEXT) | instid1(VALU_DEP_3)
	v_cndmask_b32_e32 v16, v18, v16, vcc_lo
	v_cndmask_b32_e64 v15, v15, 0xffffff8a, vcc_lo
	s_delay_alu instid0(VALU_DEP_3) | instskip(NEXT) | instid1(VALU_DEP_3)
	v_lshl_add_u32 v18, 0x100000, v17, -1
	v_lshrrev_b32_e32 v19, v17, v16
	v_lshlrev_b32_e64 v21, v17, 0x80000
	s_delay_alu instid0(VALU_DEP_4) | instskip(NEXT) | instid1(VALU_DEP_4)
	v_add_nc_u32_e32 v17, v17, v15
	v_and_b32_e32 v16, v18, v16
	s_delay_alu instid0(VALU_DEP_4) | instskip(NEXT) | instid1(VALU_DEP_2)
	v_bfe_u32 v20, v19, 20, 1
	v_cmp_eq_u32_e64 s7, v16, v21
	s_delay_alu instid0(VALU_DEP_2) | instskip(NEXT) | instid1(VALU_DEP_1)
	v_add_nc_u32_e32 v18, -1, v20
	v_cndmask_b32_e64 v16, 0, v18, s7
	v_lshrrev_b32_e32 v18, 23, v19
	s_mov_b32 s7, exec_lo
	s_delay_alu instid0(VALU_DEP_2) | instskip(NEXT) | instid1(VALU_DEP_2)
	v_add_nc_u32_e32 v16, v16, v19
	v_xor_b32_e32 v18, 1, v18
	s_delay_alu instid0(VALU_DEP_2) | instskip(NEXT) | instid1(VALU_DEP_1)
	v_and_b32_e32 v15, 0xfffff, v16
	v_add_nc_u32_e32 v16, v15, v19
                                        ; implicit-def: $vgpr15
	s_delay_alu instid0(VALU_DEP_3)
	v_cmpx_ne_u32_e64 v17, v18
	s_xor_b32 s7, exec_lo, s7
; %bb.5327:                             ;   in Loop: Header=BB6_4903 Depth=2
	s_delay_alu instid0(VALU_DEP_2) | instskip(SKIP_2) | instid1(VALU_DEP_2)
	v_cmp_lt_u32_e32 vcc_lo, 0xffffff, v16
	v_sub_nc_u32_e32 v15, v17, v18
	v_cndmask_b32_e64 v17, 0, 1, vcc_lo
	v_add_co_ci_u32_e32 v15, vcc_lo, 0, v15, vcc_lo
	s_delay_alu instid0(VALU_DEP_2)
	v_lshrrev_b32_e32 v16, v17, v16
; %bb.5328:                             ;   in Loop: Header=BB6_4903 Depth=2
	s_and_not1_saveexec_b32 s7, s7
; %bb.5329:                             ;   in Loop: Header=BB6_4903 Depth=2
	s_delay_alu instid0(VALU_DEP_1)
	v_bfe_u32 v15, v16, 23, 1
; %bb.5330:                             ;   in Loop: Header=BB6_4903 Depth=2
	s_or_b32 exec_lo, exec_lo, s7
	v_lshrrev_b32_e32 v16, 20, v16
	s_delay_alu instid0(VALU_DEP_2) | instskip(SKIP_2) | instid1(VALU_DEP_4)
	v_cmp_gt_i32_e32 vcc_lo, 16, v15
	v_lshrrev_b32_e32 v14, 24, v14
	v_min_i32_e32 v17, 15, v15
	v_cndmask_b32_e32 v16, 7, v16, vcc_lo
	s_delay_alu instid0(VALU_DEP_3) | instskip(NEXT) | instid1(VALU_DEP_3)
	v_and_b32_e32 v14, 0x80, v14
	v_lshlrev_b32_e32 v17, 3, v17
	s_delay_alu instid0(VALU_DEP_3) | instskip(SKIP_1) | instid1(VALU_DEP_2)
	v_and_b32_e32 v18, 7, v16
	v_or_b32_e32 v15, v15, v16
	v_or3_b32 v14, v17, v14, v18
	s_delay_alu instid0(VALU_DEP_2) | instskip(NEXT) | instid1(VALU_DEP_2)
	v_cmp_ne_u32_e32 vcc_lo, 0, v15
	v_cndmask_b32_e32 v180, 0, v14, vcc_lo
.LBB6_5331:                             ;   in Loop: Header=BB6_4903 Depth=2
	s_or_b32 exec_lo, exec_lo, s25
.LBB6_5332:                             ;   in Loop: Header=BB6_4903 Depth=2
	s_delay_alu instid0(SALU_CYCLE_1) | instskip(SKIP_3) | instid1(VALU_DEP_1)
	s_or_b32 exec_lo, exec_lo, s24
	v_lshrrev_b32_e32 v14, 24, v10
	s_mov_b32 s7, 0
	s_mov_b32 s25, exec_lo
                                        ; implicit-def: $sgpr24
	v_cmpx_lt_i16_e32 0x7f, v14
	s_xor_b32 s25, exec_lo, s25
	s_cbranch_execnz .LBB6_6842
; %bb.5333:                             ;   in Loop: Header=BB6_4903 Depth=2
	s_or_saveexec_b32 s25, s25
	v_mov_b32_e32 v15, s24
	s_xor_b32 exec_lo, exec_lo, s25
	s_cbranch_execnz .LBB6_6845
.LBB6_5334:                             ;   in Loop: Header=BB6_4903 Depth=2
	s_or_b32 exec_lo, exec_lo, s25
	s_and_saveexec_b32 s24, s7
	s_cbranch_execz .LBB6_5336
.LBB6_5335:                             ;   in Loop: Header=BB6_4903 Depth=2
	v_bfe_u32 v15, v10, 24, 3
	s_delay_alu instid0(VALU_DEP_1) | instskip(NEXT) | instid1(VALU_DEP_1)
	v_clz_i32_u32_e32 v16, v15
	v_min_u32_e32 v16, 32, v16
	s_delay_alu instid0(VALU_DEP_1) | instskip(SKIP_1) | instid1(VALU_DEP_2)
	v_subrev_nc_u32_e32 v17, 28, v16
	v_sub_nc_u32_e32 v16, 29, v16
	v_lshlrev_b32_e32 v14, v17, v14
	v_bfe_u32 v17, v10, 27, 4
	v_and_b32_e32 v10, 0x80000000, v10
	s_delay_alu instid0(VALU_DEP_3) | instskip(NEXT) | instid1(VALU_DEP_3)
	v_and_b32_e32 v14, 7, v14
	v_cmp_eq_u32_e32 vcc_lo, 0, v17
	v_cndmask_b32_e32 v16, v17, v16, vcc_lo
	s_delay_alu instid0(VALU_DEP_3) | instskip(NEXT) | instid1(VALU_DEP_2)
	v_cndmask_b32_e32 v14, v15, v14, vcc_lo
	v_lshl_add_u32 v15, v16, 23, 0x3b800000
	s_delay_alu instid0(VALU_DEP_2) | instskip(NEXT) | instid1(VALU_DEP_1)
	v_lshlrev_b32_e32 v14, 20, v14
	v_or3_b32 v15, v10, v15, v14
.LBB6_5336:                             ;   in Loop: Header=BB6_4903 Depth=2
	s_or_b32 exec_lo, exec_lo, s24
	s_delay_alu instid0(VALU_DEP_1) | instskip(SKIP_2) | instid1(VALU_DEP_2)
	v_mul_f32_e32 v10, s23, v15
	v_mov_b32_e32 v178, 0x80
	s_mov_b32 s24, exec_lo
	v_and_b32_e32 v14, 0x7f800000, v10
	s_delay_alu instid0(VALU_DEP_1)
	v_cmpx_ne_u32_e32 0x7f800000, v14
	s_cbranch_execz .LBB6_5344
; %bb.5337:                             ;   in Loop: Header=BB6_4903 Depth=2
	v_mov_b32_e32 v178, 0
	s_mov_b32 s25, exec_lo
	v_cmpx_ne_u32_e32 0, v10
	s_cbranch_execz .LBB6_5343
; %bb.5338:                             ;   in Loop: Header=BB6_4903 Depth=2
	v_bfe_u32 v14, v10, 23, 8
	s_delay_alu instid0(VALU_DEP_1) | instskip(SKIP_1) | instid1(VALU_DEP_2)
	v_sub_nc_u32_e32 v16, 0x78, v14
	v_cmp_gt_u32_e32 vcc_lo, 0x79, v14
	v_dual_cndmask_b32 v16, 0, v16 :: v_dual_and_b32 v15, 0x7fffff, v10
	s_delay_alu instid0(VALU_DEP_1) | instskip(SKIP_2) | instid1(VALU_DEP_4)
	v_or_b32_e32 v17, 0x800000, v15
	v_cmp_eq_u32_e32 vcc_lo, 0, v14
	v_add_nc_u32_e32 v14, 0xffffff89, v14
	v_cndmask_b32_e64 v16, v16, 0x77, vcc_lo
	s_delay_alu instid0(VALU_DEP_4) | instskip(NEXT) | instid1(VALU_DEP_3)
	v_cndmask_b32_e32 v15, v17, v15, vcc_lo
	v_cndmask_b32_e64 v14, v14, 0xffffff8a, vcc_lo
	s_delay_alu instid0(VALU_DEP_3) | instskip(NEXT) | instid1(VALU_DEP_3)
	v_lshl_add_u32 v17, 0x100000, v16, -1
	v_lshrrev_b32_e32 v18, v16, v15
	v_lshlrev_b32_e64 v20, v16, 0x80000
	s_delay_alu instid0(VALU_DEP_4) | instskip(NEXT) | instid1(VALU_DEP_4)
	v_add_nc_u32_e32 v16, v16, v14
	v_and_b32_e32 v15, v17, v15
	s_delay_alu instid0(VALU_DEP_4) | instskip(NEXT) | instid1(VALU_DEP_2)
	v_bfe_u32 v19, v18, 20, 1
	v_cmp_eq_u32_e64 s7, v15, v20
	s_delay_alu instid0(VALU_DEP_2) | instskip(NEXT) | instid1(VALU_DEP_1)
	v_add_nc_u32_e32 v17, -1, v19
	v_cndmask_b32_e64 v15, 0, v17, s7
	v_lshrrev_b32_e32 v17, 23, v18
	s_mov_b32 s7, exec_lo
	s_delay_alu instid0(VALU_DEP_2) | instskip(NEXT) | instid1(VALU_DEP_2)
	v_add_nc_u32_e32 v15, v15, v18
	v_xor_b32_e32 v17, 1, v17
	s_delay_alu instid0(VALU_DEP_2) | instskip(NEXT) | instid1(VALU_DEP_1)
	v_and_b32_e32 v14, 0xfffff, v15
	v_add_nc_u32_e32 v15, v14, v18
                                        ; implicit-def: $vgpr14
	s_delay_alu instid0(VALU_DEP_3)
	v_cmpx_ne_u32_e64 v16, v17
	s_xor_b32 s7, exec_lo, s7
; %bb.5339:                             ;   in Loop: Header=BB6_4903 Depth=2
	s_delay_alu instid0(VALU_DEP_2) | instskip(SKIP_2) | instid1(VALU_DEP_2)
	v_cmp_lt_u32_e32 vcc_lo, 0xffffff, v15
	v_sub_nc_u32_e32 v14, v16, v17
	v_cndmask_b32_e64 v16, 0, 1, vcc_lo
	v_add_co_ci_u32_e32 v14, vcc_lo, 0, v14, vcc_lo
	s_delay_alu instid0(VALU_DEP_2)
	v_lshrrev_b32_e32 v15, v16, v15
; %bb.5340:                             ;   in Loop: Header=BB6_4903 Depth=2
	s_and_not1_saveexec_b32 s7, s7
; %bb.5341:                             ;   in Loop: Header=BB6_4903 Depth=2
	s_delay_alu instid0(VALU_DEP_1)
	v_bfe_u32 v14, v15, 23, 1
; %bb.5342:                             ;   in Loop: Header=BB6_4903 Depth=2
	s_or_b32 exec_lo, exec_lo, s7
	v_lshrrev_b32_e32 v15, 20, v15
	s_delay_alu instid0(VALU_DEP_2) | instskip(SKIP_2) | instid1(VALU_DEP_2)
	v_cmp_gt_i32_e32 vcc_lo, 16, v14
	v_lshrrev_b32_e32 v10, 24, v10
	v_min_i32_e32 v16, 15, v14
	v_dual_cndmask_b32 v15, 7, v15 :: v_dual_and_b32 v10, 0x80, v10
	s_delay_alu instid0(VALU_DEP_2) | instskip(NEXT) | instid1(VALU_DEP_2)
	v_lshlrev_b32_e32 v16, 3, v16
	v_or_b32_e32 v14, v14, v15
	s_delay_alu instid0(VALU_DEP_1) | instskip(SKIP_1) | instid1(VALU_DEP_1)
	v_cmp_ne_u32_e32 vcc_lo, 0, v14
	v_and_b32_e32 v17, 7, v15
	v_or3_b32 v10, v16, v10, v17
	s_delay_alu instid0(VALU_DEP_1)
	v_cndmask_b32_e32 v178, 0, v10, vcc_lo
.LBB6_5343:                             ;   in Loop: Header=BB6_4903 Depth=2
	s_or_b32 exec_lo, exec_lo, s25
.LBB6_5344:                             ;   in Loop: Header=BB6_4903 Depth=2
	s_delay_alu instid0(SALU_CYCLE_1) | instskip(SKIP_3) | instid1(VALU_DEP_1)
	s_or_b32 exec_lo, exec_lo, s24
	v_and_b32_e32 v14, 0xff, v11
	s_mov_b32 s7, 0
	s_mov_b32 s25, exec_lo
                                        ; implicit-def: $sgpr24
	v_cmpx_lt_i16_e32 0x7f, v14
	s_xor_b32 s25, exec_lo, s25
	s_cbranch_execnz .LBB6_6846
; %bb.5345:                             ;   in Loop: Header=BB6_4903 Depth=2
	s_or_saveexec_b32 s25, s25
	v_mov_b32_e32 v10, s24
	s_xor_b32 exec_lo, exec_lo, s25
	s_cbranch_execnz .LBB6_6849
.LBB6_5346:                             ;   in Loop: Header=BB6_4903 Depth=2
	s_or_b32 exec_lo, exec_lo, s25
	s_and_saveexec_b32 s24, s7
	s_cbranch_execz .LBB6_5348
.LBB6_5347:                             ;   in Loop: Header=BB6_4903 Depth=2
	v_and_b32_e32 v10, 7, v11
	v_bfe_u32 v16, v11, 3, 4
	v_lshlrev_b32_e32 v17, 24, v11
	s_delay_alu instid0(VALU_DEP_3) | instskip(NEXT) | instid1(VALU_DEP_3)
	v_clz_i32_u32_e32 v14, v10
	v_cmp_eq_u32_e32 vcc_lo, 0, v16
	s_delay_alu instid0(VALU_DEP_2) | instskip(NEXT) | instid1(VALU_DEP_1)
	v_min_u32_e32 v14, 32, v14
	v_subrev_nc_u32_e32 v15, 28, v14
	v_sub_nc_u32_e32 v14, 29, v14
	s_delay_alu instid0(VALU_DEP_1) | instskip(NEXT) | instid1(VALU_DEP_1)
	v_dual_cndmask_b32 v14, v16, v14 :: v_dual_lshlrev_b32 v15, v15, v11
	v_and_b32_e32 v15, 7, v15
	s_delay_alu instid0(VALU_DEP_2) | instskip(NEXT) | instid1(VALU_DEP_2)
	v_lshl_add_u32 v14, v14, 23, 0x3b800000
	v_dual_cndmask_b32 v10, v10, v15 :: v_dual_and_b32 v15, 0x80000000, v17
	s_delay_alu instid0(VALU_DEP_1) | instskip(NEXT) | instid1(VALU_DEP_1)
	v_lshlrev_b32_e32 v10, 20, v10
	v_or3_b32 v10, v15, v14, v10
.LBB6_5348:                             ;   in Loop: Header=BB6_4903 Depth=2
	s_or_b32 exec_lo, exec_lo, s24
	s_delay_alu instid0(VALU_DEP_1) | instskip(SKIP_1) | instid1(VALU_DEP_1)
	v_dual_mul_f32 v10, s23, v10 :: v_dual_mov_b32 v177, 0x80
	s_mov_b32 s24, exec_lo
	v_and_b32_e32 v14, 0x7f800000, v10
	s_delay_alu instid0(VALU_DEP_1)
	v_cmpx_ne_u32_e32 0x7f800000, v14
	s_cbranch_execz .LBB6_5356
; %bb.5349:                             ;   in Loop: Header=BB6_4903 Depth=2
	v_mov_b32_e32 v177, 0
	s_mov_b32 s25, exec_lo
	v_cmpx_ne_u32_e32 0, v10
	s_cbranch_execz .LBB6_5355
; %bb.5350:                             ;   in Loop: Header=BB6_4903 Depth=2
	v_bfe_u32 v14, v10, 23, 8
	s_delay_alu instid0(VALU_DEP_1) | instskip(SKIP_1) | instid1(VALU_DEP_2)
	v_sub_nc_u32_e32 v16, 0x78, v14
	v_cmp_gt_u32_e32 vcc_lo, 0x79, v14
	v_dual_cndmask_b32 v16, 0, v16 :: v_dual_and_b32 v15, 0x7fffff, v10
	s_delay_alu instid0(VALU_DEP_1) | instskip(SKIP_2) | instid1(VALU_DEP_4)
	v_or_b32_e32 v17, 0x800000, v15
	v_cmp_eq_u32_e32 vcc_lo, 0, v14
	v_add_nc_u32_e32 v14, 0xffffff89, v14
	v_cndmask_b32_e64 v16, v16, 0x77, vcc_lo
	s_delay_alu instid0(VALU_DEP_4) | instskip(NEXT) | instid1(VALU_DEP_3)
	v_cndmask_b32_e32 v15, v17, v15, vcc_lo
	v_cndmask_b32_e64 v14, v14, 0xffffff8a, vcc_lo
	s_delay_alu instid0(VALU_DEP_3) | instskip(NEXT) | instid1(VALU_DEP_3)
	v_lshl_add_u32 v17, 0x100000, v16, -1
	v_lshrrev_b32_e32 v18, v16, v15
	v_lshlrev_b32_e64 v20, v16, 0x80000
	s_delay_alu instid0(VALU_DEP_4) | instskip(NEXT) | instid1(VALU_DEP_4)
	v_add_nc_u32_e32 v16, v16, v14
	v_and_b32_e32 v15, v17, v15
	s_delay_alu instid0(VALU_DEP_4) | instskip(NEXT) | instid1(VALU_DEP_2)
	v_bfe_u32 v19, v18, 20, 1
	v_cmp_eq_u32_e64 s7, v15, v20
	s_delay_alu instid0(VALU_DEP_2) | instskip(NEXT) | instid1(VALU_DEP_1)
	v_add_nc_u32_e32 v17, -1, v19
	v_cndmask_b32_e64 v15, 0, v17, s7
	v_lshrrev_b32_e32 v17, 23, v18
	s_mov_b32 s7, exec_lo
	s_delay_alu instid0(VALU_DEP_2) | instskip(NEXT) | instid1(VALU_DEP_2)
	v_add_nc_u32_e32 v15, v15, v18
	v_xor_b32_e32 v17, 1, v17
	s_delay_alu instid0(VALU_DEP_2) | instskip(NEXT) | instid1(VALU_DEP_1)
	v_and_b32_e32 v14, 0xfffff, v15
	v_add_nc_u32_e32 v15, v14, v18
                                        ; implicit-def: $vgpr14
	s_delay_alu instid0(VALU_DEP_3)
	v_cmpx_ne_u32_e64 v16, v17
	s_xor_b32 s7, exec_lo, s7
; %bb.5351:                             ;   in Loop: Header=BB6_4903 Depth=2
	s_delay_alu instid0(VALU_DEP_2) | instskip(SKIP_2) | instid1(VALU_DEP_2)
	v_cmp_lt_u32_e32 vcc_lo, 0xffffff, v15
	v_sub_nc_u32_e32 v14, v16, v17
	v_cndmask_b32_e64 v16, 0, 1, vcc_lo
	v_add_co_ci_u32_e32 v14, vcc_lo, 0, v14, vcc_lo
	s_delay_alu instid0(VALU_DEP_2)
	v_lshrrev_b32_e32 v15, v16, v15
; %bb.5352:                             ;   in Loop: Header=BB6_4903 Depth=2
	s_and_not1_saveexec_b32 s7, s7
; %bb.5353:                             ;   in Loop: Header=BB6_4903 Depth=2
	s_delay_alu instid0(VALU_DEP_1)
	v_bfe_u32 v14, v15, 23, 1
; %bb.5354:                             ;   in Loop: Header=BB6_4903 Depth=2
	s_or_b32 exec_lo, exec_lo, s7
	v_lshrrev_b32_e32 v15, 20, v15
	s_delay_alu instid0(VALU_DEP_2) | instskip(SKIP_2) | instid1(VALU_DEP_2)
	v_cmp_gt_i32_e32 vcc_lo, 16, v14
	v_min_i32_e32 v16, 15, v14
	v_lshrrev_b32_e32 v10, 24, v10
	v_dual_cndmask_b32 v15, 7, v15 :: v_dual_lshlrev_b32 v16, 3, v16
	s_delay_alu instid0(VALU_DEP_2) | instskip(NEXT) | instid1(VALU_DEP_2)
	v_and_b32_e32 v10, 0x80, v10
	v_or_b32_e32 v14, v14, v15
	v_and_b32_e32 v17, 7, v15
	s_delay_alu instid0(VALU_DEP_2) | instskip(SKIP_1) | instid1(VALU_DEP_1)
	v_cmp_ne_u32_e32 vcc_lo, 0, v14
	v_and_b32_e32 v16, 0xf8, v16
	v_or3_b32 v10, v16, v10, v17
	s_delay_alu instid0(VALU_DEP_1)
	v_cndmask_b32_e32 v177, 0, v10, vcc_lo
.LBB6_5355:                             ;   in Loop: Header=BB6_4903 Depth=2
	s_or_b32 exec_lo, exec_lo, s25
.LBB6_5356:                             ;   in Loop: Header=BB6_4903 Depth=2
	s_delay_alu instid0(SALU_CYCLE_1) | instskip(SKIP_3) | instid1(VALU_DEP_1)
	s_or_b32 exec_lo, exec_lo, s24
	v_lshrrev_b16 v10, 8, v11
	s_mov_b32 s7, 0
	s_mov_b32 s25, exec_lo
                                        ; implicit-def: $sgpr24
	v_cmpx_lt_i16_e32 0x7f, v10
	s_xor_b32 s25, exec_lo, s25
	s_cbranch_execnz .LBB6_6850
; %bb.5357:                             ;   in Loop: Header=BB6_4903 Depth=2
	s_or_saveexec_b32 s25, s25
	v_mov_b32_e32 v14, s24
	s_xor_b32 exec_lo, exec_lo, s25
	s_cbranch_execnz .LBB6_6853
.LBB6_5358:                             ;   in Loop: Header=BB6_4903 Depth=2
	s_or_b32 exec_lo, exec_lo, s25
	s_and_saveexec_b32 s24, s7
	s_cbranch_execz .LBB6_5360
.LBB6_5359:                             ;   in Loop: Header=BB6_4903 Depth=2
	v_and_b32_e32 v14, 0xffff, v10
	v_lshlrev_b32_e32 v10, 24, v10
	s_delay_alu instid0(VALU_DEP_2) | instskip(NEXT) | instid1(VALU_DEP_2)
	v_and_b32_e32 v15, 7, v14
	v_and_b32_e32 v10, 0x80000000, v10
	s_delay_alu instid0(VALU_DEP_2) | instskip(NEXT) | instid1(VALU_DEP_1)
	v_clz_i32_u32_e32 v16, v15
	v_min_u32_e32 v16, 32, v16
	s_delay_alu instid0(VALU_DEP_1) | instskip(SKIP_1) | instid1(VALU_DEP_2)
	v_subrev_nc_u32_e32 v17, 28, v16
	v_sub_nc_u32_e32 v16, 29, v16
	v_lshlrev_b32_e32 v17, v17, v14
	v_bfe_u32 v14, v14, 3, 4
	s_delay_alu instid0(VALU_DEP_2) | instskip(NEXT) | instid1(VALU_DEP_2)
	v_and_b32_e32 v17, 7, v17
	v_cmp_eq_u32_e32 vcc_lo, 0, v14
	s_delay_alu instid0(VALU_DEP_2) | instskip(NEXT) | instid1(VALU_DEP_1)
	v_dual_cndmask_b32 v14, v14, v16 :: v_dual_cndmask_b32 v15, v15, v17
	v_lshl_add_u32 v14, v14, 23, 0x3b800000
	s_delay_alu instid0(VALU_DEP_2) | instskip(NEXT) | instid1(VALU_DEP_1)
	v_lshlrev_b32_e32 v15, 20, v15
	v_or3_b32 v14, v10, v14, v15
.LBB6_5360:                             ;   in Loop: Header=BB6_4903 Depth=2
	s_or_b32 exec_lo, exec_lo, s24
	s_delay_alu instid0(VALU_DEP_1) | instskip(SKIP_1) | instid1(VALU_DEP_1)
	v_dual_mul_f32 v10, s23, v14 :: v_dual_mov_b32 v183, 0x8000
	s_mov_b32 s24, exec_lo
	v_and_b32_e32 v14, 0x7f800000, v10
	s_delay_alu instid0(VALU_DEP_1)
	v_cmpx_ne_u32_e32 0x7f800000, v14
	s_cbranch_execz .LBB6_5368
; %bb.5361:                             ;   in Loop: Header=BB6_4903 Depth=2
	v_mov_b32_e32 v183, 0
	s_mov_b32 s25, exec_lo
	v_cmpx_ne_u32_e32 0, v10
	s_cbranch_execz .LBB6_5367
; %bb.5362:                             ;   in Loop: Header=BB6_4903 Depth=2
	v_bfe_u32 v14, v10, 23, 8
	s_delay_alu instid0(VALU_DEP_1) | instskip(SKIP_1) | instid1(VALU_DEP_2)
	v_sub_nc_u32_e32 v16, 0x78, v14
	v_cmp_gt_u32_e32 vcc_lo, 0x79, v14
	v_dual_cndmask_b32 v16, 0, v16 :: v_dual_and_b32 v15, 0x7fffff, v10
	s_delay_alu instid0(VALU_DEP_1) | instskip(SKIP_2) | instid1(VALU_DEP_4)
	v_or_b32_e32 v17, 0x800000, v15
	v_cmp_eq_u32_e32 vcc_lo, 0, v14
	v_add_nc_u32_e32 v14, 0xffffff89, v14
	v_cndmask_b32_e64 v16, v16, 0x77, vcc_lo
	s_delay_alu instid0(VALU_DEP_4) | instskip(NEXT) | instid1(VALU_DEP_3)
	v_cndmask_b32_e32 v15, v17, v15, vcc_lo
	v_cndmask_b32_e64 v14, v14, 0xffffff8a, vcc_lo
	s_delay_alu instid0(VALU_DEP_3) | instskip(NEXT) | instid1(VALU_DEP_3)
	v_lshl_add_u32 v17, 0x100000, v16, -1
	v_lshrrev_b32_e32 v18, v16, v15
	v_lshlrev_b32_e64 v20, v16, 0x80000
	s_delay_alu instid0(VALU_DEP_4) | instskip(NEXT) | instid1(VALU_DEP_4)
	v_add_nc_u32_e32 v16, v16, v14
	v_and_b32_e32 v15, v17, v15
	s_delay_alu instid0(VALU_DEP_4) | instskip(NEXT) | instid1(VALU_DEP_2)
	v_bfe_u32 v19, v18, 20, 1
	v_cmp_eq_u32_e64 s7, v15, v20
	s_delay_alu instid0(VALU_DEP_2) | instskip(NEXT) | instid1(VALU_DEP_1)
	v_add_nc_u32_e32 v17, -1, v19
	v_cndmask_b32_e64 v15, 0, v17, s7
	v_lshrrev_b32_e32 v17, 23, v18
	s_mov_b32 s7, exec_lo
	s_delay_alu instid0(VALU_DEP_2) | instskip(NEXT) | instid1(VALU_DEP_2)
	v_add_nc_u32_e32 v15, v15, v18
	v_xor_b32_e32 v17, 1, v17
	s_delay_alu instid0(VALU_DEP_2) | instskip(NEXT) | instid1(VALU_DEP_1)
	v_and_b32_e32 v14, 0xfffff, v15
	v_add_nc_u32_e32 v15, v14, v18
                                        ; implicit-def: $vgpr14
	s_delay_alu instid0(VALU_DEP_3)
	v_cmpx_ne_u32_e64 v16, v17
	s_xor_b32 s7, exec_lo, s7
; %bb.5363:                             ;   in Loop: Header=BB6_4903 Depth=2
	s_delay_alu instid0(VALU_DEP_2) | instskip(SKIP_2) | instid1(VALU_DEP_2)
	v_cmp_lt_u32_e32 vcc_lo, 0xffffff, v15
	v_sub_nc_u32_e32 v14, v16, v17
	v_cndmask_b32_e64 v16, 0, 1, vcc_lo
	v_add_co_ci_u32_e32 v14, vcc_lo, 0, v14, vcc_lo
	s_delay_alu instid0(VALU_DEP_2)
	v_lshrrev_b32_e32 v15, v16, v15
; %bb.5364:                             ;   in Loop: Header=BB6_4903 Depth=2
	s_and_not1_saveexec_b32 s7, s7
; %bb.5365:                             ;   in Loop: Header=BB6_4903 Depth=2
	s_delay_alu instid0(VALU_DEP_1)
	v_bfe_u32 v14, v15, 23, 1
; %bb.5366:                             ;   in Loop: Header=BB6_4903 Depth=2
	s_or_b32 exec_lo, exec_lo, s7
	v_lshrrev_b32_e32 v15, 20, v15
	s_delay_alu instid0(VALU_DEP_2) | instskip(SKIP_2) | instid1(VALU_DEP_2)
	v_cmp_gt_i32_e32 vcc_lo, 16, v14
	v_min_i32_e32 v16, 15, v14
	v_lshrrev_b32_e32 v10, 24, v10
	v_dual_cndmask_b32 v15, 7, v15 :: v_dual_lshlrev_b32 v16, 3, v16
	s_delay_alu instid0(VALU_DEP_2) | instskip(NEXT) | instid1(VALU_DEP_2)
	v_and_b32_e32 v10, 0x80, v10
	v_or_b32_e32 v14, v14, v15
	v_and_b32_e32 v17, 7, v15
	s_delay_alu instid0(VALU_DEP_2) | instskip(SKIP_1) | instid1(VALU_DEP_1)
	v_cmp_ne_u32_e32 vcc_lo, 0, v14
	v_and_b32_e32 v16, 0xf8, v16
	v_or3_b32 v10, v10, v16, v17
	s_delay_alu instid0(VALU_DEP_1) | instskip(NEXT) | instid1(VALU_DEP_1)
	v_lshlrev_b32_e32 v10, 8, v10
	v_cndmask_b32_e32 v183, 0, v10, vcc_lo
.LBB6_5367:                             ;   in Loop: Header=BB6_4903 Depth=2
	s_or_b32 exec_lo, exec_lo, s25
.LBB6_5368:                             ;   in Loop: Header=BB6_4903 Depth=2
	s_delay_alu instid0(SALU_CYCLE_1) | instskip(SKIP_3) | instid1(VALU_DEP_1)
	s_or_b32 exec_lo, exec_lo, s24
	v_lshrrev_b32_e32 v10, 16, v11
	s_mov_b32 s7, 0
	s_mov_b32 s25, exec_lo
                                        ; implicit-def: $sgpr24
	v_and_b32_e32 v15, 0xff, v10
	s_delay_alu instid0(VALU_DEP_1)
	v_cmpx_lt_i16_e32 0x7f, v15
	s_xor_b32 s25, exec_lo, s25
	s_cbranch_execnz .LBB6_6854
; %bb.5369:                             ;   in Loop: Header=BB6_4903 Depth=2
	s_or_saveexec_b32 s25, s25
	v_mov_b32_e32 v14, s24
	s_xor_b32 exec_lo, exec_lo, s25
	s_cbranch_execnz .LBB6_6857
.LBB6_5370:                             ;   in Loop: Header=BB6_4903 Depth=2
	s_or_b32 exec_lo, exec_lo, s25
	s_and_saveexec_b32 s24, s7
	s_cbranch_execz .LBB6_5372
.LBB6_5371:                             ;   in Loop: Header=BB6_4903 Depth=2
	v_bfe_u32 v14, v11, 16, 3
	s_delay_alu instid0(VALU_DEP_1) | instskip(NEXT) | instid1(VALU_DEP_1)
	v_clz_i32_u32_e32 v15, v14
	v_min_u32_e32 v15, 32, v15
	s_delay_alu instid0(VALU_DEP_1) | instskip(SKIP_1) | instid1(VALU_DEP_2)
	v_subrev_nc_u32_e32 v16, 28, v15
	v_sub_nc_u32_e32 v15, 29, v15
	v_lshlrev_b32_e32 v10, v16, v10
	v_bfe_u32 v16, v11, 19, 4
	s_delay_alu instid0(VALU_DEP_1) | instskip(NEXT) | instid1(VALU_DEP_3)
	v_cmp_eq_u32_e32 vcc_lo, 0, v16
	v_dual_cndmask_b32 v15, v16, v15 :: v_dual_and_b32 v10, 7, v10
	s_delay_alu instid0(VALU_DEP_1) | instskip(NEXT) | instid1(VALU_DEP_2)
	v_dual_cndmask_b32 v10, v14, v10 :: v_dual_lshlrev_b32 v17, 8, v11
	v_lshl_add_u32 v15, v15, 23, 0x3b800000
	s_delay_alu instid0(VALU_DEP_2) | instskip(NEXT) | instid1(VALU_DEP_3)
	v_and_b32_e32 v14, 0x80000000, v17
	v_lshlrev_b32_e32 v10, 20, v10
	s_delay_alu instid0(VALU_DEP_1)
	v_or3_b32 v14, v14, v15, v10
.LBB6_5372:                             ;   in Loop: Header=BB6_4903 Depth=2
	s_or_b32 exec_lo, exec_lo, s24
	s_delay_alu instid0(VALU_DEP_1) | instskip(SKIP_1) | instid1(VALU_DEP_1)
	v_dual_mul_f32 v10, s23, v14 :: v_dual_mov_b32 v167, 0x80
	s_mov_b32 s24, exec_lo
	v_and_b32_e32 v14, 0x7f800000, v10
	s_delay_alu instid0(VALU_DEP_1)
	v_cmpx_ne_u32_e32 0x7f800000, v14
	s_cbranch_execz .LBB6_5380
; %bb.5373:                             ;   in Loop: Header=BB6_4903 Depth=2
	v_mov_b32_e32 v167, 0
	s_mov_b32 s25, exec_lo
	v_cmpx_ne_u32_e32 0, v10
	s_cbranch_execz .LBB6_5379
; %bb.5374:                             ;   in Loop: Header=BB6_4903 Depth=2
	v_bfe_u32 v14, v10, 23, 8
	s_delay_alu instid0(VALU_DEP_1) | instskip(SKIP_1) | instid1(VALU_DEP_2)
	v_sub_nc_u32_e32 v16, 0x78, v14
	v_cmp_gt_u32_e32 vcc_lo, 0x79, v14
	v_dual_cndmask_b32 v16, 0, v16 :: v_dual_and_b32 v15, 0x7fffff, v10
	s_delay_alu instid0(VALU_DEP_1) | instskip(SKIP_2) | instid1(VALU_DEP_4)
	v_or_b32_e32 v17, 0x800000, v15
	v_cmp_eq_u32_e32 vcc_lo, 0, v14
	v_add_nc_u32_e32 v14, 0xffffff89, v14
	v_cndmask_b32_e64 v16, v16, 0x77, vcc_lo
	s_delay_alu instid0(VALU_DEP_4) | instskip(NEXT) | instid1(VALU_DEP_3)
	v_cndmask_b32_e32 v15, v17, v15, vcc_lo
	v_cndmask_b32_e64 v14, v14, 0xffffff8a, vcc_lo
	s_delay_alu instid0(VALU_DEP_3) | instskip(NEXT) | instid1(VALU_DEP_3)
	v_lshl_add_u32 v17, 0x100000, v16, -1
	v_lshrrev_b32_e32 v18, v16, v15
	v_lshlrev_b32_e64 v20, v16, 0x80000
	s_delay_alu instid0(VALU_DEP_4) | instskip(NEXT) | instid1(VALU_DEP_4)
	v_add_nc_u32_e32 v16, v16, v14
	v_and_b32_e32 v15, v17, v15
	s_delay_alu instid0(VALU_DEP_4) | instskip(NEXT) | instid1(VALU_DEP_2)
	v_bfe_u32 v19, v18, 20, 1
	v_cmp_eq_u32_e64 s7, v15, v20
	s_delay_alu instid0(VALU_DEP_2) | instskip(NEXT) | instid1(VALU_DEP_1)
	v_add_nc_u32_e32 v17, -1, v19
	v_cndmask_b32_e64 v15, 0, v17, s7
	v_lshrrev_b32_e32 v17, 23, v18
	s_mov_b32 s7, exec_lo
	s_delay_alu instid0(VALU_DEP_2) | instskip(NEXT) | instid1(VALU_DEP_2)
	v_add_nc_u32_e32 v15, v15, v18
	v_xor_b32_e32 v17, 1, v17
	s_delay_alu instid0(VALU_DEP_2) | instskip(NEXT) | instid1(VALU_DEP_1)
	v_and_b32_e32 v14, 0xfffff, v15
	v_add_nc_u32_e32 v15, v14, v18
                                        ; implicit-def: $vgpr14
	s_delay_alu instid0(VALU_DEP_3)
	v_cmpx_ne_u32_e64 v16, v17
	s_xor_b32 s7, exec_lo, s7
; %bb.5375:                             ;   in Loop: Header=BB6_4903 Depth=2
	s_delay_alu instid0(VALU_DEP_2) | instskip(SKIP_2) | instid1(VALU_DEP_2)
	v_cmp_lt_u32_e32 vcc_lo, 0xffffff, v15
	v_sub_nc_u32_e32 v14, v16, v17
	v_cndmask_b32_e64 v16, 0, 1, vcc_lo
	v_add_co_ci_u32_e32 v14, vcc_lo, 0, v14, vcc_lo
	s_delay_alu instid0(VALU_DEP_2)
	v_lshrrev_b32_e32 v15, v16, v15
; %bb.5376:                             ;   in Loop: Header=BB6_4903 Depth=2
	s_and_not1_saveexec_b32 s7, s7
; %bb.5377:                             ;   in Loop: Header=BB6_4903 Depth=2
	s_delay_alu instid0(VALU_DEP_1)
	v_bfe_u32 v14, v15, 23, 1
; %bb.5378:                             ;   in Loop: Header=BB6_4903 Depth=2
	s_or_b32 exec_lo, exec_lo, s7
	v_lshrrev_b32_e32 v15, 20, v15
	s_delay_alu instid0(VALU_DEP_2) | instskip(SKIP_2) | instid1(VALU_DEP_2)
	v_cmp_gt_i32_e32 vcc_lo, 16, v14
	v_min_i32_e32 v16, 15, v14
	v_lshrrev_b32_e32 v10, 24, v10
	v_dual_cndmask_b32 v15, 7, v15 :: v_dual_lshlrev_b32 v16, 3, v16
	s_delay_alu instid0(VALU_DEP_2) | instskip(NEXT) | instid1(VALU_DEP_2)
	v_and_b32_e32 v10, 0x80, v10
	v_or_b32_e32 v14, v14, v15
	v_and_b32_e32 v17, 7, v15
	s_delay_alu instid0(VALU_DEP_2) | instskip(SKIP_1) | instid1(VALU_DEP_1)
	v_cmp_ne_u32_e32 vcc_lo, 0, v14
	v_and_b32_e32 v16, 0xf8, v16
	v_or3_b32 v10, v16, v10, v17
	s_delay_alu instid0(VALU_DEP_1)
	v_cndmask_b32_e32 v167, 0, v10, vcc_lo
.LBB6_5379:                             ;   in Loop: Header=BB6_4903 Depth=2
	s_or_b32 exec_lo, exec_lo, s25
.LBB6_5380:                             ;   in Loop: Header=BB6_4903 Depth=2
	s_delay_alu instid0(SALU_CYCLE_1) | instskip(SKIP_3) | instid1(VALU_DEP_1)
	s_or_b32 exec_lo, exec_lo, s24
	v_lshrrev_b32_e32 v10, 24, v11
	s_mov_b32 s7, 0
	s_mov_b32 s25, exec_lo
                                        ; implicit-def: $sgpr24
	v_cmpx_lt_i16_e32 0x7f, v10
	s_xor_b32 s25, exec_lo, s25
	s_cbranch_execnz .LBB6_6858
; %bb.5381:                             ;   in Loop: Header=BB6_4903 Depth=2
	s_or_saveexec_b32 s25, s25
	v_mov_b32_e32 v14, s24
	s_xor_b32 exec_lo, exec_lo, s25
	s_cbranch_execnz .LBB6_6861
.LBB6_5382:                             ;   in Loop: Header=BB6_4903 Depth=2
	s_or_b32 exec_lo, exec_lo, s25
	s_and_saveexec_b32 s24, s7
	s_cbranch_execz .LBB6_5384
.LBB6_5383:                             ;   in Loop: Header=BB6_4903 Depth=2
	v_bfe_u32 v14, v11, 24, 3
	s_delay_alu instid0(VALU_DEP_1) | instskip(NEXT) | instid1(VALU_DEP_1)
	v_clz_i32_u32_e32 v15, v14
	v_min_u32_e32 v15, 32, v15
	s_delay_alu instid0(VALU_DEP_1) | instskip(SKIP_1) | instid1(VALU_DEP_2)
	v_subrev_nc_u32_e32 v16, 28, v15
	v_sub_nc_u32_e32 v15, 29, v15
	v_lshlrev_b32_e32 v10, v16, v10
	v_bfe_u32 v16, v11, 27, 4
	v_and_b32_e32 v11, 0x80000000, v11
	s_delay_alu instid0(VALU_DEP_2) | instskip(NEXT) | instid1(VALU_DEP_4)
	v_cmp_eq_u32_e32 vcc_lo, 0, v16
	v_dual_cndmask_b32 v15, v16, v15 :: v_dual_and_b32 v10, 7, v10
	s_delay_alu instid0(VALU_DEP_1) | instskip(NEXT) | instid1(VALU_DEP_2)
	v_cndmask_b32_e32 v10, v14, v10, vcc_lo
	v_lshl_add_u32 v14, v15, 23, 0x3b800000
	s_delay_alu instid0(VALU_DEP_2) | instskip(NEXT) | instid1(VALU_DEP_1)
	v_lshlrev_b32_e32 v10, 20, v10
	v_or3_b32 v14, v11, v14, v10
.LBB6_5384:                             ;   in Loop: Header=BB6_4903 Depth=2
	s_or_b32 exec_lo, exec_lo, s24
	s_delay_alu instid0(VALU_DEP_1) | instskip(SKIP_1) | instid1(VALU_DEP_1)
	v_dual_mul_f32 v10, s23, v14 :: v_dual_mov_b32 v179, 0x8000
	s_mov_b32 s24, exec_lo
	v_and_b32_e32 v11, 0x7f800000, v10
	s_delay_alu instid0(VALU_DEP_1)
	v_cmpx_ne_u32_e32 0x7f800000, v11
	s_cbranch_execz .LBB6_5392
; %bb.5385:                             ;   in Loop: Header=BB6_4903 Depth=2
	v_mov_b32_e32 v179, 0
	s_mov_b32 s25, exec_lo
	v_cmpx_ne_u32_e32 0, v10
	s_cbranch_execz .LBB6_5391
; %bb.5386:                             ;   in Loop: Header=BB6_4903 Depth=2
	v_bfe_u32 v11, v10, 23, 8
	s_delay_alu instid0(VALU_DEP_1) | instskip(SKIP_1) | instid1(VALU_DEP_2)
	v_sub_nc_u32_e32 v15, 0x78, v11
	v_cmp_gt_u32_e32 vcc_lo, 0x79, v11
	v_dual_cndmask_b32 v15, 0, v15 :: v_dual_and_b32 v14, 0x7fffff, v10
	s_delay_alu instid0(VALU_DEP_1) | instskip(SKIP_2) | instid1(VALU_DEP_4)
	v_or_b32_e32 v16, 0x800000, v14
	v_cmp_eq_u32_e32 vcc_lo, 0, v11
	v_add_nc_u32_e32 v11, 0xffffff89, v11
	v_cndmask_b32_e64 v15, v15, 0x77, vcc_lo
	s_delay_alu instid0(VALU_DEP_4) | instskip(NEXT) | instid1(VALU_DEP_3)
	v_cndmask_b32_e32 v14, v16, v14, vcc_lo
	v_cndmask_b32_e64 v11, v11, 0xffffff8a, vcc_lo
	s_delay_alu instid0(VALU_DEP_3) | instskip(NEXT) | instid1(VALU_DEP_3)
	v_lshl_add_u32 v16, 0x100000, v15, -1
	v_lshrrev_b32_e32 v17, v15, v14
	v_lshlrev_b32_e64 v19, v15, 0x80000
	s_delay_alu instid0(VALU_DEP_4) | instskip(NEXT) | instid1(VALU_DEP_4)
	v_add_nc_u32_e32 v15, v15, v11
	v_and_b32_e32 v14, v16, v14
	s_delay_alu instid0(VALU_DEP_4) | instskip(NEXT) | instid1(VALU_DEP_2)
	v_bfe_u32 v18, v17, 20, 1
	v_cmp_eq_u32_e64 s7, v14, v19
	s_delay_alu instid0(VALU_DEP_2) | instskip(NEXT) | instid1(VALU_DEP_1)
	v_add_nc_u32_e32 v16, -1, v18
	v_cndmask_b32_e64 v14, 0, v16, s7
	v_lshrrev_b32_e32 v16, 23, v17
	s_mov_b32 s7, exec_lo
	s_delay_alu instid0(VALU_DEP_2) | instskip(NEXT) | instid1(VALU_DEP_2)
	v_add_nc_u32_e32 v14, v14, v17
	v_xor_b32_e32 v16, 1, v16
	s_delay_alu instid0(VALU_DEP_2) | instskip(NEXT) | instid1(VALU_DEP_1)
	v_and_b32_e32 v11, 0xfffff, v14
	v_add_nc_u32_e32 v14, v11, v17
                                        ; implicit-def: $vgpr11
	s_delay_alu instid0(VALU_DEP_3)
	v_cmpx_ne_u32_e64 v15, v16
	s_xor_b32 s7, exec_lo, s7
; %bb.5387:                             ;   in Loop: Header=BB6_4903 Depth=2
	s_delay_alu instid0(VALU_DEP_2) | instskip(SKIP_2) | instid1(VALU_DEP_2)
	v_cmp_lt_u32_e32 vcc_lo, 0xffffff, v14
	v_sub_nc_u32_e32 v11, v15, v16
	v_cndmask_b32_e64 v15, 0, 1, vcc_lo
	v_add_co_ci_u32_e32 v11, vcc_lo, 0, v11, vcc_lo
	s_delay_alu instid0(VALU_DEP_2)
	v_lshrrev_b32_e32 v14, v15, v14
; %bb.5388:                             ;   in Loop: Header=BB6_4903 Depth=2
	s_and_not1_saveexec_b32 s7, s7
; %bb.5389:                             ;   in Loop: Header=BB6_4903 Depth=2
	s_delay_alu instid0(VALU_DEP_1)
	v_bfe_u32 v11, v14, 23, 1
; %bb.5390:                             ;   in Loop: Header=BB6_4903 Depth=2
	s_or_b32 exec_lo, exec_lo, s7
	v_lshrrev_b32_e32 v14, 20, v14
	s_delay_alu instid0(VALU_DEP_2) | instskip(SKIP_2) | instid1(VALU_DEP_3)
	v_min_i32_e32 v15, 15, v11
	v_cmp_gt_i32_e32 vcc_lo, 16, v11
	v_lshrrev_b32_e32 v10, 24, v10
	v_dual_cndmask_b32 v14, 7, v14 :: v_dual_lshlrev_b32 v15, 3, v15
	s_delay_alu instid0(VALU_DEP_2) | instskip(NEXT) | instid1(VALU_DEP_2)
	v_and_b32_e32 v10, 0x80, v10
	v_and_b32_e32 v15, 0xf8, v15
	s_delay_alu instid0(VALU_DEP_3) | instskip(SKIP_1) | instid1(VALU_DEP_2)
	v_and_b32_e32 v16, 7, v14
	v_or_b32_e32 v11, v11, v14
	v_or3_b32 v10, v10, v15, v16
	s_delay_alu instid0(VALU_DEP_2) | instskip(NEXT) | instid1(VALU_DEP_2)
	v_cmp_ne_u32_e32 vcc_lo, 0, v11
	v_lshlrev_b32_e32 v10, 8, v10
	s_delay_alu instid0(VALU_DEP_1)
	v_cndmask_b32_e32 v179, 0, v10, vcc_lo
.LBB6_5391:                             ;   in Loop: Header=BB6_4903 Depth=2
	s_or_b32 exec_lo, exec_lo, s25
.LBB6_5392:                             ;   in Loop: Header=BB6_4903 Depth=2
	s_delay_alu instid0(SALU_CYCLE_1) | instskip(SKIP_3) | instid1(VALU_DEP_1)
	s_or_b32 exec_lo, exec_lo, s24
	v_and_b32_e32 v11, 0xff, v12
	s_mov_b32 s7, 0
	s_mov_b32 s25, exec_lo
                                        ; implicit-def: $sgpr24
	v_cmpx_lt_i16_e32 0x7f, v11
	s_xor_b32 s25, exec_lo, s25
	s_cbranch_execnz .LBB6_6862
; %bb.5393:                             ;   in Loop: Header=BB6_4903 Depth=2
	s_or_saveexec_b32 s25, s25
	v_mov_b32_e32 v10, s24
	s_xor_b32 exec_lo, exec_lo, s25
	s_cbranch_execnz .LBB6_6865
.LBB6_5394:                             ;   in Loop: Header=BB6_4903 Depth=2
	s_or_b32 exec_lo, exec_lo, s25
	s_and_saveexec_b32 s24, s7
	s_cbranch_execz .LBB6_5396
.LBB6_5395:                             ;   in Loop: Header=BB6_4903 Depth=2
	v_bfe_u32 v15, v12, 3, 4
	v_lshlrev_b32_e32 v16, 24, v12
	s_delay_alu instid0(VALU_DEP_2) | instskip(SKIP_1) | instid1(VALU_DEP_1)
	v_cmp_eq_u32_e32 vcc_lo, 0, v15
	v_and_b32_e32 v10, 7, v12
	v_clz_i32_u32_e32 v11, v10
	s_delay_alu instid0(VALU_DEP_1) | instskip(NEXT) | instid1(VALU_DEP_1)
	v_min_u32_e32 v11, 32, v11
	v_subrev_nc_u32_e32 v14, 28, v11
	v_sub_nc_u32_e32 v11, 29, v11
	s_delay_alu instid0(VALU_DEP_1) | instskip(NEXT) | instid1(VALU_DEP_1)
	v_dual_cndmask_b32 v11, v15, v11 :: v_dual_lshlrev_b32 v14, v14, v12
	v_and_b32_e32 v14, 7, v14
	s_delay_alu instid0(VALU_DEP_2) | instskip(NEXT) | instid1(VALU_DEP_2)
	v_lshl_add_u32 v11, v11, 23, 0x3b800000
	v_cndmask_b32_e32 v10, v10, v14, vcc_lo
	v_and_b32_e32 v14, 0x80000000, v16
	s_delay_alu instid0(VALU_DEP_2) | instskip(NEXT) | instid1(VALU_DEP_1)
	v_lshlrev_b32_e32 v10, 20, v10
	v_or3_b32 v10, v14, v11, v10
.LBB6_5396:                             ;   in Loop: Header=BB6_4903 Depth=2
	s_or_b32 exec_lo, exec_lo, s24
	s_delay_alu instid0(VALU_DEP_1) | instskip(SKIP_2) | instid1(VALU_DEP_2)
	v_mul_f32_e32 v10, s23, v10
	v_mov_b32_e32 v166, 0x80
	s_mov_b32 s24, exec_lo
	v_and_b32_e32 v11, 0x7f800000, v10
	s_delay_alu instid0(VALU_DEP_1)
	v_cmpx_ne_u32_e32 0x7f800000, v11
	s_cbranch_execz .LBB6_5404
; %bb.5397:                             ;   in Loop: Header=BB6_4903 Depth=2
	v_mov_b32_e32 v166, 0
	s_mov_b32 s25, exec_lo
	v_cmpx_ne_u32_e32 0, v10
	s_cbranch_execz .LBB6_5403
; %bb.5398:                             ;   in Loop: Header=BB6_4903 Depth=2
	v_bfe_u32 v11, v10, 23, 8
	s_delay_alu instid0(VALU_DEP_1) | instskip(SKIP_1) | instid1(VALU_DEP_2)
	v_sub_nc_u32_e32 v15, 0x78, v11
	v_cmp_gt_u32_e32 vcc_lo, 0x79, v11
	v_dual_cndmask_b32 v15, 0, v15 :: v_dual_and_b32 v14, 0x7fffff, v10
	s_delay_alu instid0(VALU_DEP_1) | instskip(SKIP_2) | instid1(VALU_DEP_4)
	v_or_b32_e32 v16, 0x800000, v14
	v_cmp_eq_u32_e32 vcc_lo, 0, v11
	v_add_nc_u32_e32 v11, 0xffffff89, v11
	v_cndmask_b32_e64 v15, v15, 0x77, vcc_lo
	s_delay_alu instid0(VALU_DEP_4) | instskip(NEXT) | instid1(VALU_DEP_3)
	v_cndmask_b32_e32 v14, v16, v14, vcc_lo
	v_cndmask_b32_e64 v11, v11, 0xffffff8a, vcc_lo
	s_delay_alu instid0(VALU_DEP_3) | instskip(NEXT) | instid1(VALU_DEP_3)
	v_lshl_add_u32 v16, 0x100000, v15, -1
	v_lshrrev_b32_e32 v17, v15, v14
	v_lshlrev_b32_e64 v19, v15, 0x80000
	s_delay_alu instid0(VALU_DEP_4) | instskip(NEXT) | instid1(VALU_DEP_4)
	v_add_nc_u32_e32 v15, v15, v11
	v_and_b32_e32 v14, v16, v14
	s_delay_alu instid0(VALU_DEP_4) | instskip(NEXT) | instid1(VALU_DEP_2)
	v_bfe_u32 v18, v17, 20, 1
	v_cmp_eq_u32_e64 s7, v14, v19
	s_delay_alu instid0(VALU_DEP_2) | instskip(NEXT) | instid1(VALU_DEP_1)
	v_add_nc_u32_e32 v16, -1, v18
	v_cndmask_b32_e64 v14, 0, v16, s7
	v_lshrrev_b32_e32 v16, 23, v17
	s_mov_b32 s7, exec_lo
	s_delay_alu instid0(VALU_DEP_2) | instskip(NEXT) | instid1(VALU_DEP_2)
	v_add_nc_u32_e32 v14, v14, v17
	v_xor_b32_e32 v16, 1, v16
	s_delay_alu instid0(VALU_DEP_2) | instskip(NEXT) | instid1(VALU_DEP_1)
	v_and_b32_e32 v11, 0xfffff, v14
	v_add_nc_u32_e32 v14, v11, v17
                                        ; implicit-def: $vgpr11
	s_delay_alu instid0(VALU_DEP_3)
	v_cmpx_ne_u32_e64 v15, v16
	s_xor_b32 s7, exec_lo, s7
; %bb.5399:                             ;   in Loop: Header=BB6_4903 Depth=2
	s_delay_alu instid0(VALU_DEP_2) | instskip(SKIP_2) | instid1(VALU_DEP_2)
	v_cmp_lt_u32_e32 vcc_lo, 0xffffff, v14
	v_sub_nc_u32_e32 v11, v15, v16
	v_cndmask_b32_e64 v15, 0, 1, vcc_lo
	v_add_co_ci_u32_e32 v11, vcc_lo, 0, v11, vcc_lo
	s_delay_alu instid0(VALU_DEP_2)
	v_lshrrev_b32_e32 v14, v15, v14
; %bb.5400:                             ;   in Loop: Header=BB6_4903 Depth=2
	s_and_not1_saveexec_b32 s7, s7
; %bb.5401:                             ;   in Loop: Header=BB6_4903 Depth=2
	s_delay_alu instid0(VALU_DEP_1)
	v_bfe_u32 v11, v14, 23, 1
; %bb.5402:                             ;   in Loop: Header=BB6_4903 Depth=2
	s_or_b32 exec_lo, exec_lo, s7
	v_lshrrev_b32_e32 v14, 20, v14
	s_delay_alu instid0(VALU_DEP_2) | instskip(SKIP_2) | instid1(VALU_DEP_4)
	v_cmp_gt_i32_e32 vcc_lo, 16, v11
	v_lshrrev_b32_e32 v10, 24, v10
	v_min_i32_e32 v15, 15, v11
	v_cndmask_b32_e32 v14, 7, v14, vcc_lo
	s_delay_alu instid0(VALU_DEP_3) | instskip(NEXT) | instid1(VALU_DEP_3)
	v_and_b32_e32 v10, 0x80, v10
	v_lshlrev_b32_e32 v15, 3, v15
	s_delay_alu instid0(VALU_DEP_3) | instskip(SKIP_1) | instid1(VALU_DEP_2)
	v_and_b32_e32 v16, 7, v14
	v_or_b32_e32 v11, v11, v14
	v_or3_b32 v10, v15, v10, v16
	s_delay_alu instid0(VALU_DEP_2) | instskip(NEXT) | instid1(VALU_DEP_2)
	v_cmp_ne_u32_e32 vcc_lo, 0, v11
	v_cndmask_b32_e32 v166, 0, v10, vcc_lo
.LBB6_5403:                             ;   in Loop: Header=BB6_4903 Depth=2
	s_or_b32 exec_lo, exec_lo, s25
.LBB6_5404:                             ;   in Loop: Header=BB6_4903 Depth=2
	s_delay_alu instid0(SALU_CYCLE_1) | instskip(SKIP_3) | instid1(VALU_DEP_1)
	s_or_b32 exec_lo, exec_lo, s24
	v_lshrrev_b16 v10, 8, v12
	s_mov_b32 s7, 0
	s_mov_b32 s25, exec_lo
                                        ; implicit-def: $sgpr24
	v_cmpx_lt_i16_e32 0x7f, v10
	s_xor_b32 s25, exec_lo, s25
	s_cbranch_execnz .LBB6_6866
; %bb.5405:                             ;   in Loop: Header=BB6_4903 Depth=2
	s_or_saveexec_b32 s25, s25
	v_mov_b32_e32 v11, s24
	s_xor_b32 exec_lo, exec_lo, s25
	s_cbranch_execnz .LBB6_6869
.LBB6_5406:                             ;   in Loop: Header=BB6_4903 Depth=2
	s_or_b32 exec_lo, exec_lo, s25
	s_and_saveexec_b32 s24, s7
	s_cbranch_execz .LBB6_5408
.LBB6_5407:                             ;   in Loop: Header=BB6_4903 Depth=2
	v_and_b32_e32 v11, 0xffff, v10
	v_lshlrev_b32_e32 v10, 24, v10
	s_delay_alu instid0(VALU_DEP_2) | instskip(NEXT) | instid1(VALU_DEP_2)
	v_and_b32_e32 v14, 7, v11
	v_and_b32_e32 v10, 0x80000000, v10
	s_delay_alu instid0(VALU_DEP_2) | instskip(NEXT) | instid1(VALU_DEP_1)
	v_clz_i32_u32_e32 v15, v14
	v_min_u32_e32 v15, 32, v15
	s_delay_alu instid0(VALU_DEP_1) | instskip(SKIP_1) | instid1(VALU_DEP_2)
	v_subrev_nc_u32_e32 v16, 28, v15
	v_sub_nc_u32_e32 v15, 29, v15
	v_lshlrev_b32_e32 v16, v16, v11
	v_bfe_u32 v11, v11, 3, 4
	s_delay_alu instid0(VALU_DEP_1) | instskip(NEXT) | instid1(VALU_DEP_3)
	v_cmp_eq_u32_e32 vcc_lo, 0, v11
	v_dual_cndmask_b32 v11, v11, v15 :: v_dual_and_b32 v16, 7, v16
	s_delay_alu instid0(VALU_DEP_1) | instskip(NEXT) | instid1(VALU_DEP_2)
	v_cndmask_b32_e32 v14, v14, v16, vcc_lo
	v_lshl_add_u32 v11, v11, 23, 0x3b800000
	s_delay_alu instid0(VALU_DEP_2) | instskip(NEXT) | instid1(VALU_DEP_1)
	v_lshlrev_b32_e32 v14, 20, v14
	v_or3_b32 v11, v10, v11, v14
.LBB6_5408:                             ;   in Loop: Header=BB6_4903 Depth=2
	s_or_b32 exec_lo, exec_lo, s24
	s_delay_alu instid0(VALU_DEP_1) | instskip(SKIP_2) | instid1(VALU_DEP_2)
	v_mul_f32_e32 v10, s23, v11
	v_mov_b32_e32 v164, 0x80
	s_mov_b32 s24, exec_lo
	v_and_b32_e32 v11, 0x7f800000, v10
	s_delay_alu instid0(VALU_DEP_1)
	v_cmpx_ne_u32_e32 0x7f800000, v11
	s_cbranch_execz .LBB6_5416
; %bb.5409:                             ;   in Loop: Header=BB6_4903 Depth=2
	v_mov_b32_e32 v164, 0
	s_mov_b32 s25, exec_lo
	v_cmpx_ne_u32_e32 0, v10
	s_cbranch_execz .LBB6_5415
; %bb.5410:                             ;   in Loop: Header=BB6_4903 Depth=2
	v_bfe_u32 v11, v10, 23, 8
	s_delay_alu instid0(VALU_DEP_1) | instskip(SKIP_1) | instid1(VALU_DEP_2)
	v_sub_nc_u32_e32 v15, 0x78, v11
	v_cmp_gt_u32_e32 vcc_lo, 0x79, v11
	v_dual_cndmask_b32 v15, 0, v15 :: v_dual_and_b32 v14, 0x7fffff, v10
	s_delay_alu instid0(VALU_DEP_1) | instskip(SKIP_2) | instid1(VALU_DEP_4)
	v_or_b32_e32 v16, 0x800000, v14
	v_cmp_eq_u32_e32 vcc_lo, 0, v11
	v_add_nc_u32_e32 v11, 0xffffff89, v11
	v_cndmask_b32_e64 v15, v15, 0x77, vcc_lo
	s_delay_alu instid0(VALU_DEP_4) | instskip(NEXT) | instid1(VALU_DEP_3)
	v_cndmask_b32_e32 v14, v16, v14, vcc_lo
	v_cndmask_b32_e64 v11, v11, 0xffffff8a, vcc_lo
	s_delay_alu instid0(VALU_DEP_3) | instskip(NEXT) | instid1(VALU_DEP_3)
	v_lshl_add_u32 v16, 0x100000, v15, -1
	v_lshrrev_b32_e32 v17, v15, v14
	v_lshlrev_b32_e64 v19, v15, 0x80000
	s_delay_alu instid0(VALU_DEP_4) | instskip(NEXT) | instid1(VALU_DEP_4)
	v_add_nc_u32_e32 v15, v15, v11
	v_and_b32_e32 v14, v16, v14
	s_delay_alu instid0(VALU_DEP_4) | instskip(NEXT) | instid1(VALU_DEP_2)
	v_bfe_u32 v18, v17, 20, 1
	v_cmp_eq_u32_e64 s7, v14, v19
	s_delay_alu instid0(VALU_DEP_2) | instskip(NEXT) | instid1(VALU_DEP_1)
	v_add_nc_u32_e32 v16, -1, v18
	v_cndmask_b32_e64 v14, 0, v16, s7
	v_lshrrev_b32_e32 v16, 23, v17
	s_mov_b32 s7, exec_lo
	s_delay_alu instid0(VALU_DEP_2) | instskip(NEXT) | instid1(VALU_DEP_2)
	v_add_nc_u32_e32 v14, v14, v17
	v_xor_b32_e32 v16, 1, v16
	s_delay_alu instid0(VALU_DEP_2) | instskip(NEXT) | instid1(VALU_DEP_1)
	v_and_b32_e32 v11, 0xfffff, v14
	v_add_nc_u32_e32 v14, v11, v17
                                        ; implicit-def: $vgpr11
	s_delay_alu instid0(VALU_DEP_3)
	v_cmpx_ne_u32_e64 v15, v16
	s_xor_b32 s7, exec_lo, s7
; %bb.5411:                             ;   in Loop: Header=BB6_4903 Depth=2
	s_delay_alu instid0(VALU_DEP_2) | instskip(SKIP_2) | instid1(VALU_DEP_2)
	v_cmp_lt_u32_e32 vcc_lo, 0xffffff, v14
	v_sub_nc_u32_e32 v11, v15, v16
	v_cndmask_b32_e64 v15, 0, 1, vcc_lo
	v_add_co_ci_u32_e32 v11, vcc_lo, 0, v11, vcc_lo
	s_delay_alu instid0(VALU_DEP_2)
	v_lshrrev_b32_e32 v14, v15, v14
; %bb.5412:                             ;   in Loop: Header=BB6_4903 Depth=2
	s_and_not1_saveexec_b32 s7, s7
; %bb.5413:                             ;   in Loop: Header=BB6_4903 Depth=2
	s_delay_alu instid0(VALU_DEP_1)
	v_bfe_u32 v11, v14, 23, 1
; %bb.5414:                             ;   in Loop: Header=BB6_4903 Depth=2
	s_or_b32 exec_lo, exec_lo, s7
	v_lshrrev_b32_e32 v14, 20, v14
	s_delay_alu instid0(VALU_DEP_2) | instskip(SKIP_2) | instid1(VALU_DEP_4)
	v_cmp_gt_i32_e32 vcc_lo, 16, v11
	v_lshrrev_b32_e32 v10, 24, v10
	v_min_i32_e32 v15, 15, v11
	v_cndmask_b32_e32 v14, 7, v14, vcc_lo
	s_delay_alu instid0(VALU_DEP_3) | instskip(NEXT) | instid1(VALU_DEP_3)
	v_and_b32_e32 v10, 0x80, v10
	v_lshlrev_b32_e32 v15, 3, v15
	s_delay_alu instid0(VALU_DEP_3) | instskip(SKIP_1) | instid1(VALU_DEP_2)
	v_and_b32_e32 v16, 7, v14
	v_or_b32_e32 v11, v11, v14
	v_or3_b32 v10, v15, v10, v16
	s_delay_alu instid0(VALU_DEP_2) | instskip(NEXT) | instid1(VALU_DEP_2)
	v_cmp_ne_u32_e32 vcc_lo, 0, v11
	v_cndmask_b32_e32 v164, 0, v10, vcc_lo
.LBB6_5415:                             ;   in Loop: Header=BB6_4903 Depth=2
	s_or_b32 exec_lo, exec_lo, s25
.LBB6_5416:                             ;   in Loop: Header=BB6_4903 Depth=2
	s_delay_alu instid0(SALU_CYCLE_1) | instskip(SKIP_3) | instid1(VALU_DEP_1)
	s_or_b32 exec_lo, exec_lo, s24
	v_lshrrev_b32_e32 v10, 16, v12
	s_mov_b32 s7, 0
	s_mov_b32 s25, exec_lo
                                        ; implicit-def: $sgpr24
	v_and_b32_e32 v14, 0xff, v10
	s_delay_alu instid0(VALU_DEP_1)
	v_cmpx_lt_i16_e32 0x7f, v14
	s_xor_b32 s25, exec_lo, s25
	s_cbranch_execnz .LBB6_6870
; %bb.5417:                             ;   in Loop: Header=BB6_4903 Depth=2
	s_or_saveexec_b32 s25, s25
	v_mov_b32_e32 v11, s24
	s_xor_b32 exec_lo, exec_lo, s25
	s_cbranch_execnz .LBB6_6873
.LBB6_5418:                             ;   in Loop: Header=BB6_4903 Depth=2
	s_or_b32 exec_lo, exec_lo, s25
	s_and_saveexec_b32 s24, s7
	s_cbranch_execz .LBB6_5420
.LBB6_5419:                             ;   in Loop: Header=BB6_4903 Depth=2
	v_bfe_u32 v11, v12, 16, 3
	v_lshlrev_b32_e32 v16, 8, v12
	s_delay_alu instid0(VALU_DEP_2) | instskip(NEXT) | instid1(VALU_DEP_1)
	v_clz_i32_u32_e32 v14, v11
	v_min_u32_e32 v14, 32, v14
	s_delay_alu instid0(VALU_DEP_1) | instskip(SKIP_1) | instid1(VALU_DEP_2)
	v_subrev_nc_u32_e32 v15, 28, v14
	v_sub_nc_u32_e32 v14, 29, v14
	v_lshlrev_b32_e32 v10, v15, v10
	v_bfe_u32 v15, v12, 19, 4
	s_delay_alu instid0(VALU_DEP_2) | instskip(NEXT) | instid1(VALU_DEP_2)
	v_and_b32_e32 v10, 7, v10
	v_cmp_eq_u32_e32 vcc_lo, 0, v15
	v_cndmask_b32_e32 v14, v15, v14, vcc_lo
	s_delay_alu instid0(VALU_DEP_3) | instskip(NEXT) | instid1(VALU_DEP_2)
	v_dual_cndmask_b32 v10, v11, v10 :: v_dual_and_b32 v11, 0x80000000, v16
	v_lshl_add_u32 v14, v14, 23, 0x3b800000
	s_delay_alu instid0(VALU_DEP_2) | instskip(NEXT) | instid1(VALU_DEP_1)
	v_lshlrev_b32_e32 v10, 20, v10
	v_or3_b32 v11, v11, v14, v10
.LBB6_5420:                             ;   in Loop: Header=BB6_4903 Depth=2
	s_or_b32 exec_lo, exec_lo, s24
	s_delay_alu instid0(VALU_DEP_1) | instskip(SKIP_1) | instid1(VALU_DEP_1)
	v_dual_mul_f32 v10, s23, v11 :: v_dual_mov_b32 v163, 0x80
	s_mov_b32 s24, exec_lo
	v_and_b32_e32 v11, 0x7f800000, v10
	s_delay_alu instid0(VALU_DEP_1)
	v_cmpx_ne_u32_e32 0x7f800000, v11
	s_cbranch_execz .LBB6_5428
; %bb.5421:                             ;   in Loop: Header=BB6_4903 Depth=2
	v_mov_b32_e32 v163, 0
	s_mov_b32 s25, exec_lo
	v_cmpx_ne_u32_e32 0, v10
	s_cbranch_execz .LBB6_5427
; %bb.5422:                             ;   in Loop: Header=BB6_4903 Depth=2
	v_bfe_u32 v11, v10, 23, 8
	s_delay_alu instid0(VALU_DEP_1) | instskip(SKIP_1) | instid1(VALU_DEP_2)
	v_sub_nc_u32_e32 v15, 0x78, v11
	v_cmp_gt_u32_e32 vcc_lo, 0x79, v11
	v_dual_cndmask_b32 v15, 0, v15 :: v_dual_and_b32 v14, 0x7fffff, v10
	s_delay_alu instid0(VALU_DEP_1) | instskip(SKIP_2) | instid1(VALU_DEP_4)
	v_or_b32_e32 v16, 0x800000, v14
	v_cmp_eq_u32_e32 vcc_lo, 0, v11
	v_add_nc_u32_e32 v11, 0xffffff89, v11
	v_cndmask_b32_e64 v15, v15, 0x77, vcc_lo
	s_delay_alu instid0(VALU_DEP_4) | instskip(NEXT) | instid1(VALU_DEP_3)
	v_cndmask_b32_e32 v14, v16, v14, vcc_lo
	v_cndmask_b32_e64 v11, v11, 0xffffff8a, vcc_lo
	s_delay_alu instid0(VALU_DEP_3) | instskip(NEXT) | instid1(VALU_DEP_3)
	v_lshl_add_u32 v16, 0x100000, v15, -1
	v_lshrrev_b32_e32 v17, v15, v14
	v_lshlrev_b32_e64 v19, v15, 0x80000
	s_delay_alu instid0(VALU_DEP_4) | instskip(NEXT) | instid1(VALU_DEP_4)
	v_add_nc_u32_e32 v15, v15, v11
	v_and_b32_e32 v14, v16, v14
	s_delay_alu instid0(VALU_DEP_4) | instskip(NEXT) | instid1(VALU_DEP_2)
	v_bfe_u32 v18, v17, 20, 1
	v_cmp_eq_u32_e64 s7, v14, v19
	s_delay_alu instid0(VALU_DEP_2) | instskip(NEXT) | instid1(VALU_DEP_1)
	v_add_nc_u32_e32 v16, -1, v18
	v_cndmask_b32_e64 v14, 0, v16, s7
	v_lshrrev_b32_e32 v16, 23, v17
	s_mov_b32 s7, exec_lo
	s_delay_alu instid0(VALU_DEP_2) | instskip(NEXT) | instid1(VALU_DEP_2)
	v_add_nc_u32_e32 v14, v14, v17
	v_xor_b32_e32 v16, 1, v16
	s_delay_alu instid0(VALU_DEP_2) | instskip(NEXT) | instid1(VALU_DEP_1)
	v_and_b32_e32 v11, 0xfffff, v14
	v_add_nc_u32_e32 v14, v11, v17
                                        ; implicit-def: $vgpr11
	s_delay_alu instid0(VALU_DEP_3)
	v_cmpx_ne_u32_e64 v15, v16
	s_xor_b32 s7, exec_lo, s7
; %bb.5423:                             ;   in Loop: Header=BB6_4903 Depth=2
	s_delay_alu instid0(VALU_DEP_2) | instskip(SKIP_2) | instid1(VALU_DEP_2)
	v_cmp_lt_u32_e32 vcc_lo, 0xffffff, v14
	v_sub_nc_u32_e32 v11, v15, v16
	v_cndmask_b32_e64 v15, 0, 1, vcc_lo
	v_add_co_ci_u32_e32 v11, vcc_lo, 0, v11, vcc_lo
	s_delay_alu instid0(VALU_DEP_2)
	v_lshrrev_b32_e32 v14, v15, v14
; %bb.5424:                             ;   in Loop: Header=BB6_4903 Depth=2
	s_and_not1_saveexec_b32 s7, s7
; %bb.5425:                             ;   in Loop: Header=BB6_4903 Depth=2
	s_delay_alu instid0(VALU_DEP_1)
	v_bfe_u32 v11, v14, 23, 1
; %bb.5426:                             ;   in Loop: Header=BB6_4903 Depth=2
	s_or_b32 exec_lo, exec_lo, s7
	v_lshrrev_b32_e32 v14, 20, v14
	s_delay_alu instid0(VALU_DEP_2) | instskip(SKIP_2) | instid1(VALU_DEP_4)
	v_cmp_gt_i32_e32 vcc_lo, 16, v11
	v_lshrrev_b32_e32 v10, 24, v10
	v_min_i32_e32 v15, 15, v11
	v_cndmask_b32_e32 v14, 7, v14, vcc_lo
	s_delay_alu instid0(VALU_DEP_3) | instskip(NEXT) | instid1(VALU_DEP_3)
	v_and_b32_e32 v10, 0x80, v10
	v_lshlrev_b32_e32 v15, 3, v15
	s_delay_alu instid0(VALU_DEP_3) | instskip(SKIP_1) | instid1(VALU_DEP_2)
	v_and_b32_e32 v16, 7, v14
	v_or_b32_e32 v11, v11, v14
	v_or3_b32 v10, v15, v10, v16
	s_delay_alu instid0(VALU_DEP_2) | instskip(NEXT) | instid1(VALU_DEP_2)
	v_cmp_ne_u32_e32 vcc_lo, 0, v11
	v_cndmask_b32_e32 v163, 0, v10, vcc_lo
.LBB6_5427:                             ;   in Loop: Header=BB6_4903 Depth=2
	s_or_b32 exec_lo, exec_lo, s25
.LBB6_5428:                             ;   in Loop: Header=BB6_4903 Depth=2
	s_delay_alu instid0(SALU_CYCLE_1) | instskip(SKIP_3) | instid1(VALU_DEP_1)
	s_or_b32 exec_lo, exec_lo, s24
	v_lshrrev_b32_e32 v10, 24, v12
	s_mov_b32 s7, 0
	s_mov_b32 s25, exec_lo
                                        ; implicit-def: $sgpr24
	v_cmpx_lt_i16_e32 0x7f, v10
	s_xor_b32 s25, exec_lo, s25
	s_cbranch_execnz .LBB6_6874
; %bb.5429:                             ;   in Loop: Header=BB6_4903 Depth=2
	s_or_saveexec_b32 s25, s25
	v_mov_b32_e32 v11, s24
	s_xor_b32 exec_lo, exec_lo, s25
	s_cbranch_execnz .LBB6_6877
.LBB6_5430:                             ;   in Loop: Header=BB6_4903 Depth=2
	s_or_b32 exec_lo, exec_lo, s25
	s_and_saveexec_b32 s24, s7
	s_cbranch_execz .LBB6_5432
.LBB6_5431:                             ;   in Loop: Header=BB6_4903 Depth=2
	v_bfe_u32 v11, v12, 24, 3
	s_delay_alu instid0(VALU_DEP_1) | instskip(NEXT) | instid1(VALU_DEP_1)
	v_clz_i32_u32_e32 v14, v11
	v_min_u32_e32 v14, 32, v14
	s_delay_alu instid0(VALU_DEP_1) | instskip(SKIP_1) | instid1(VALU_DEP_2)
	v_subrev_nc_u32_e32 v15, 28, v14
	v_sub_nc_u32_e32 v14, 29, v14
	v_lshlrev_b32_e32 v10, v15, v10
	v_bfe_u32 v15, v12, 27, 4
	s_delay_alu instid0(VALU_DEP_2) | instskip(NEXT) | instid1(VALU_DEP_2)
	v_and_b32_e32 v10, 7, v10
	v_cmp_eq_u32_e32 vcc_lo, 0, v15
	v_cndmask_b32_e32 v14, v15, v14, vcc_lo
	s_delay_alu instid0(VALU_DEP_3) | instskip(NEXT) | instid1(VALU_DEP_2)
	v_dual_cndmask_b32 v10, v11, v10 :: v_dual_and_b32 v11, 0x80000000, v12
	v_lshl_add_u32 v12, v14, 23, 0x3b800000
	s_delay_alu instid0(VALU_DEP_2) | instskip(NEXT) | instid1(VALU_DEP_1)
	v_lshlrev_b32_e32 v10, 20, v10
	v_or3_b32 v11, v11, v12, v10
.LBB6_5432:                             ;   in Loop: Header=BB6_4903 Depth=2
	s_or_b32 exec_lo, exec_lo, s24
	s_delay_alu instid0(VALU_DEP_1) | instskip(SKIP_2) | instid1(VALU_DEP_2)
	v_mul_f32_e32 v10, s23, v11
	v_mov_b32_e32 v160, 0x80
	s_mov_b32 s24, exec_lo
	v_and_b32_e32 v11, 0x7f800000, v10
	s_delay_alu instid0(VALU_DEP_1)
	v_cmpx_ne_u32_e32 0x7f800000, v11
	s_cbranch_execz .LBB6_5440
; %bb.5433:                             ;   in Loop: Header=BB6_4903 Depth=2
	v_mov_b32_e32 v160, 0
	s_mov_b32 s25, exec_lo
	v_cmpx_ne_u32_e32 0, v10
	s_cbranch_execz .LBB6_5439
; %bb.5434:                             ;   in Loop: Header=BB6_4903 Depth=2
	v_bfe_u32 v11, v10, 23, 8
	v_and_b32_e32 v12, 0x7fffff, v10
	s_delay_alu instid0(VALU_DEP_2) | instskip(SKIP_1) | instid1(VALU_DEP_3)
	v_sub_nc_u32_e32 v14, 0x78, v11
	v_cmp_gt_u32_e32 vcc_lo, 0x79, v11
	v_or_b32_e32 v15, 0x800000, v12
	s_delay_alu instid0(VALU_DEP_3) | instskip(SKIP_2) | instid1(VALU_DEP_3)
	v_cndmask_b32_e32 v14, 0, v14, vcc_lo
	v_cmp_eq_u32_e32 vcc_lo, 0, v11
	v_add_nc_u32_e32 v11, 0xffffff89, v11
	v_cndmask_b32_e64 v14, v14, 0x77, vcc_lo
	v_cndmask_b32_e32 v12, v15, v12, vcc_lo
	s_delay_alu instid0(VALU_DEP_3) | instskip(NEXT) | instid1(VALU_DEP_3)
	v_cndmask_b32_e64 v11, v11, 0xffffff8a, vcc_lo
	v_lshl_add_u32 v15, 0x100000, v14, -1
	s_delay_alu instid0(VALU_DEP_3) | instskip(SKIP_1) | instid1(VALU_DEP_4)
	v_lshrrev_b32_e32 v16, v14, v12
	v_lshlrev_b32_e64 v18, v14, 0x80000
	v_add_nc_u32_e32 v14, v14, v11
	s_delay_alu instid0(VALU_DEP_4) | instskip(NEXT) | instid1(VALU_DEP_4)
	v_and_b32_e32 v12, v15, v12
	v_bfe_u32 v17, v16, 20, 1
	s_delay_alu instid0(VALU_DEP_2) | instskip(NEXT) | instid1(VALU_DEP_2)
	v_cmp_eq_u32_e64 s7, v12, v18
	v_add_nc_u32_e32 v15, -1, v17
	s_delay_alu instid0(VALU_DEP_1) | instskip(SKIP_2) | instid1(VALU_DEP_2)
	v_cndmask_b32_e64 v12, 0, v15, s7
	v_lshrrev_b32_e32 v15, 23, v16
	s_mov_b32 s7, exec_lo
	v_add_nc_u32_e32 v12, v12, v16
	s_delay_alu instid0(VALU_DEP_2) | instskip(NEXT) | instid1(VALU_DEP_2)
	v_xor_b32_e32 v15, 1, v15
	v_and_b32_e32 v11, 0xfffff, v12
	s_delay_alu instid0(VALU_DEP_1) | instskip(NEXT) | instid1(VALU_DEP_3)
	v_add_nc_u32_e32 v12, v11, v16
                                        ; implicit-def: $vgpr11
	v_cmpx_ne_u32_e64 v14, v15
	s_xor_b32 s7, exec_lo, s7
; %bb.5435:                             ;   in Loop: Header=BB6_4903 Depth=2
	s_delay_alu instid0(VALU_DEP_2) | instskip(SKIP_2) | instid1(VALU_DEP_2)
	v_cmp_lt_u32_e32 vcc_lo, 0xffffff, v12
	v_sub_nc_u32_e32 v11, v14, v15
	v_cndmask_b32_e64 v14, 0, 1, vcc_lo
	v_add_co_ci_u32_e32 v11, vcc_lo, 0, v11, vcc_lo
	s_delay_alu instid0(VALU_DEP_2)
	v_lshrrev_b32_e32 v12, v14, v12
; %bb.5436:                             ;   in Loop: Header=BB6_4903 Depth=2
	s_and_not1_saveexec_b32 s7, s7
; %bb.5437:                             ;   in Loop: Header=BB6_4903 Depth=2
	s_delay_alu instid0(VALU_DEP_1)
	v_bfe_u32 v11, v12, 23, 1
; %bb.5438:                             ;   in Loop: Header=BB6_4903 Depth=2
	s_or_b32 exec_lo, exec_lo, s7
	v_lshrrev_b32_e32 v12, 20, v12
	s_delay_alu instid0(VALU_DEP_2) | instskip(SKIP_2) | instid1(VALU_DEP_4)
	v_cmp_gt_i32_e32 vcc_lo, 16, v11
	v_lshrrev_b32_e32 v10, 24, v10
	v_min_i32_e32 v14, 15, v11
	v_cndmask_b32_e32 v12, 7, v12, vcc_lo
	s_delay_alu instid0(VALU_DEP_3) | instskip(NEXT) | instid1(VALU_DEP_3)
	v_and_b32_e32 v10, 0x80, v10
	v_lshlrev_b32_e32 v14, 3, v14
	s_delay_alu instid0(VALU_DEP_3) | instskip(NEXT) | instid1(VALU_DEP_1)
	v_or_b32_e32 v11, v11, v12
	v_cmp_ne_u32_e32 vcc_lo, 0, v11
	v_and_b32_e32 v15, 7, v12
	s_delay_alu instid0(VALU_DEP_1) | instskip(NEXT) | instid1(VALU_DEP_1)
	v_or3_b32 v10, v14, v10, v15
	v_cndmask_b32_e32 v160, 0, v10, vcc_lo
.LBB6_5439:                             ;   in Loop: Header=BB6_4903 Depth=2
	s_or_b32 exec_lo, exec_lo, s25
.LBB6_5440:                             ;   in Loop: Header=BB6_4903 Depth=2
	s_delay_alu instid0(SALU_CYCLE_1) | instskip(SKIP_3) | instid1(VALU_DEP_1)
	s_or_b32 exec_lo, exec_lo, s24
	v_and_b32_e32 v11, 0xff, v13
	s_mov_b32 s7, 0
	s_mov_b32 s25, exec_lo
                                        ; implicit-def: $sgpr24
	v_cmpx_lt_i16_e32 0x7f, v11
	s_xor_b32 s25, exec_lo, s25
	s_cbranch_execnz .LBB6_6878
; %bb.5441:                             ;   in Loop: Header=BB6_4903 Depth=2
	s_or_saveexec_b32 s25, s25
	v_mov_b32_e32 v10, s24
	s_xor_b32 exec_lo, exec_lo, s25
	s_cbranch_execnz .LBB6_6881
.LBB6_5442:                             ;   in Loop: Header=BB6_4903 Depth=2
	s_or_b32 exec_lo, exec_lo, s25
	s_and_saveexec_b32 s24, s7
	s_cbranch_execz .LBB6_5444
.LBB6_5443:                             ;   in Loop: Header=BB6_4903 Depth=2
	v_bfe_u32 v14, v13, 3, 4
	s_delay_alu instid0(VALU_DEP_1) | instskip(SKIP_1) | instid1(VALU_DEP_1)
	v_cmp_eq_u32_e32 vcc_lo, 0, v14
	v_and_b32_e32 v10, 7, v13
	v_clz_i32_u32_e32 v11, v10
	s_delay_alu instid0(VALU_DEP_1) | instskip(NEXT) | instid1(VALU_DEP_1)
	v_min_u32_e32 v11, 32, v11
	v_subrev_nc_u32_e32 v12, 28, v11
	v_sub_nc_u32_e32 v11, 29, v11
	s_delay_alu instid0(VALU_DEP_1) | instskip(NEXT) | instid1(VALU_DEP_1)
	v_dual_cndmask_b32 v11, v14, v11 :: v_dual_lshlrev_b32 v12, v12, v13
	v_and_b32_e32 v12, 7, v12
	v_lshlrev_b32_e32 v15, 24, v13
	s_delay_alu instid0(VALU_DEP_3) | instskip(NEXT) | instid1(VALU_DEP_3)
	v_lshl_add_u32 v11, v11, 23, 0x3b800000
	v_cndmask_b32_e32 v10, v10, v12, vcc_lo
	s_delay_alu instid0(VALU_DEP_3) | instskip(NEXT) | instid1(VALU_DEP_2)
	v_and_b32_e32 v12, 0x80000000, v15
	v_lshlrev_b32_e32 v10, 20, v10
	s_delay_alu instid0(VALU_DEP_1)
	v_or3_b32 v10, v12, v11, v10
.LBB6_5444:                             ;   in Loop: Header=BB6_4903 Depth=2
	s_or_b32 exec_lo, exec_lo, s24
	s_delay_alu instid0(VALU_DEP_1) | instskip(SKIP_1) | instid1(VALU_DEP_1)
	v_dual_mul_f32 v10, s23, v10 :: v_dual_mov_b32 v151, 0x80
	s_mov_b32 s24, exec_lo
	v_and_b32_e32 v11, 0x7f800000, v10
	s_delay_alu instid0(VALU_DEP_1)
	v_cmpx_ne_u32_e32 0x7f800000, v11
	s_cbranch_execz .LBB6_5452
; %bb.5445:                             ;   in Loop: Header=BB6_4903 Depth=2
	v_mov_b32_e32 v151, 0
	s_mov_b32 s25, exec_lo
	v_cmpx_ne_u32_e32 0, v10
	s_cbranch_execz .LBB6_5451
; %bb.5446:                             ;   in Loop: Header=BB6_4903 Depth=2
	v_bfe_u32 v11, v10, 23, 8
	v_and_b32_e32 v12, 0x7fffff, v10
	s_delay_alu instid0(VALU_DEP_2) | instskip(SKIP_1) | instid1(VALU_DEP_3)
	v_sub_nc_u32_e32 v14, 0x78, v11
	v_cmp_gt_u32_e32 vcc_lo, 0x79, v11
	v_or_b32_e32 v15, 0x800000, v12
	s_delay_alu instid0(VALU_DEP_3) | instskip(SKIP_2) | instid1(VALU_DEP_3)
	v_cndmask_b32_e32 v14, 0, v14, vcc_lo
	v_cmp_eq_u32_e32 vcc_lo, 0, v11
	v_add_nc_u32_e32 v11, 0xffffff89, v11
	v_cndmask_b32_e64 v14, v14, 0x77, vcc_lo
	v_cndmask_b32_e32 v12, v15, v12, vcc_lo
	s_delay_alu instid0(VALU_DEP_3) | instskip(NEXT) | instid1(VALU_DEP_3)
	v_cndmask_b32_e64 v11, v11, 0xffffff8a, vcc_lo
	v_lshl_add_u32 v15, 0x100000, v14, -1
	s_delay_alu instid0(VALU_DEP_3) | instskip(SKIP_1) | instid1(VALU_DEP_4)
	v_lshrrev_b32_e32 v16, v14, v12
	v_lshlrev_b32_e64 v18, v14, 0x80000
	v_add_nc_u32_e32 v14, v14, v11
	s_delay_alu instid0(VALU_DEP_4) | instskip(NEXT) | instid1(VALU_DEP_4)
	v_and_b32_e32 v12, v15, v12
	v_bfe_u32 v17, v16, 20, 1
	s_delay_alu instid0(VALU_DEP_2) | instskip(NEXT) | instid1(VALU_DEP_2)
	v_cmp_eq_u32_e64 s7, v12, v18
	v_add_nc_u32_e32 v15, -1, v17
	s_delay_alu instid0(VALU_DEP_1) | instskip(SKIP_2) | instid1(VALU_DEP_2)
	v_cndmask_b32_e64 v12, 0, v15, s7
	v_lshrrev_b32_e32 v15, 23, v16
	s_mov_b32 s7, exec_lo
	v_add_nc_u32_e32 v12, v12, v16
	s_delay_alu instid0(VALU_DEP_2) | instskip(NEXT) | instid1(VALU_DEP_2)
	v_xor_b32_e32 v15, 1, v15
	v_and_b32_e32 v11, 0xfffff, v12
	s_delay_alu instid0(VALU_DEP_1) | instskip(NEXT) | instid1(VALU_DEP_3)
	v_add_nc_u32_e32 v12, v11, v16
                                        ; implicit-def: $vgpr11
	v_cmpx_ne_u32_e64 v14, v15
	s_xor_b32 s7, exec_lo, s7
; %bb.5447:                             ;   in Loop: Header=BB6_4903 Depth=2
	s_delay_alu instid0(VALU_DEP_2) | instskip(SKIP_2) | instid1(VALU_DEP_2)
	v_cmp_lt_u32_e32 vcc_lo, 0xffffff, v12
	v_sub_nc_u32_e32 v11, v14, v15
	v_cndmask_b32_e64 v14, 0, 1, vcc_lo
	v_add_co_ci_u32_e32 v11, vcc_lo, 0, v11, vcc_lo
	s_delay_alu instid0(VALU_DEP_2)
	v_lshrrev_b32_e32 v12, v14, v12
; %bb.5448:                             ;   in Loop: Header=BB6_4903 Depth=2
	s_and_not1_saveexec_b32 s7, s7
; %bb.5449:                             ;   in Loop: Header=BB6_4903 Depth=2
	s_delay_alu instid0(VALU_DEP_1)
	v_bfe_u32 v11, v12, 23, 1
; %bb.5450:                             ;   in Loop: Header=BB6_4903 Depth=2
	s_or_b32 exec_lo, exec_lo, s7
	v_lshrrev_b32_e32 v12, 20, v12
	s_delay_alu instid0(VALU_DEP_2) | instskip(SKIP_2) | instid1(VALU_DEP_3)
	v_min_i32_e32 v14, 15, v11
	v_cmp_gt_i32_e32 vcc_lo, 16, v11
	v_lshrrev_b32_e32 v10, 24, v10
	v_lshlrev_b32_e32 v14, 3, v14
	v_cndmask_b32_e32 v12, 7, v12, vcc_lo
	s_delay_alu instid0(VALU_DEP_3) | instskip(NEXT) | instid1(VALU_DEP_3)
	v_and_b32_e32 v10, 0x80, v10
	v_and_b32_e32 v14, 0xf8, v14
	s_delay_alu instid0(VALU_DEP_3) | instskip(SKIP_1) | instid1(VALU_DEP_2)
	v_and_b32_e32 v15, 7, v12
	v_or_b32_e32 v11, v11, v12
	v_or3_b32 v10, v14, v10, v15
	s_delay_alu instid0(VALU_DEP_2) | instskip(NEXT) | instid1(VALU_DEP_2)
	v_cmp_ne_u32_e32 vcc_lo, 0, v11
	v_cndmask_b32_e32 v151, 0, v10, vcc_lo
.LBB6_5451:                             ;   in Loop: Header=BB6_4903 Depth=2
	s_or_b32 exec_lo, exec_lo, s25
.LBB6_5452:                             ;   in Loop: Header=BB6_4903 Depth=2
	s_delay_alu instid0(SALU_CYCLE_1) | instskip(SKIP_3) | instid1(VALU_DEP_1)
	s_or_b32 exec_lo, exec_lo, s24
	v_lshrrev_b16 v10, 8, v13
	s_mov_b32 s7, 0
	s_mov_b32 s25, exec_lo
                                        ; implicit-def: $sgpr24
	v_cmpx_lt_i16_e32 0x7f, v10
	s_xor_b32 s25, exec_lo, s25
	s_cbranch_execnz .LBB6_6882
; %bb.5453:                             ;   in Loop: Header=BB6_4903 Depth=2
	s_or_saveexec_b32 s25, s25
	v_mov_b32_e32 v11, s24
	s_xor_b32 exec_lo, exec_lo, s25
	s_cbranch_execnz .LBB6_6885
.LBB6_5454:                             ;   in Loop: Header=BB6_4903 Depth=2
	s_or_b32 exec_lo, exec_lo, s25
	s_and_saveexec_b32 s24, s7
	s_cbranch_execz .LBB6_5456
.LBB6_5455:                             ;   in Loop: Header=BB6_4903 Depth=2
	v_and_b32_e32 v11, 0xffff, v10
	v_lshlrev_b32_e32 v10, 24, v10
	s_delay_alu instid0(VALU_DEP_2) | instskip(NEXT) | instid1(VALU_DEP_2)
	v_and_b32_e32 v12, 7, v11
	v_and_b32_e32 v10, 0x80000000, v10
	s_delay_alu instid0(VALU_DEP_2) | instskip(NEXT) | instid1(VALU_DEP_1)
	v_clz_i32_u32_e32 v14, v12
	v_min_u32_e32 v14, 32, v14
	s_delay_alu instid0(VALU_DEP_1) | instskip(SKIP_1) | instid1(VALU_DEP_2)
	v_subrev_nc_u32_e32 v15, 28, v14
	v_sub_nc_u32_e32 v14, 29, v14
	v_lshlrev_b32_e32 v15, v15, v11
	v_bfe_u32 v11, v11, 3, 4
	s_delay_alu instid0(VALU_DEP_2) | instskip(NEXT) | instid1(VALU_DEP_2)
	v_and_b32_e32 v15, 7, v15
	v_cmp_eq_u32_e32 vcc_lo, 0, v11
	s_delay_alu instid0(VALU_DEP_2) | instskip(NEXT) | instid1(VALU_DEP_1)
	v_dual_cndmask_b32 v11, v11, v14 :: v_dual_cndmask_b32 v12, v12, v15
	v_lshl_add_u32 v11, v11, 23, 0x3b800000
	s_delay_alu instid0(VALU_DEP_2) | instskip(NEXT) | instid1(VALU_DEP_1)
	v_lshlrev_b32_e32 v12, 20, v12
	v_or3_b32 v11, v10, v11, v12
.LBB6_5456:                             ;   in Loop: Header=BB6_4903 Depth=2
	s_or_b32 exec_lo, exec_lo, s24
	s_delay_alu instid0(VALU_DEP_1) | instskip(SKIP_1) | instid1(VALU_DEP_1)
	v_dual_mul_f32 v10, s23, v11 :: v_dual_mov_b32 v165, 0x8000
	s_mov_b32 s24, exec_lo
	v_and_b32_e32 v11, 0x7f800000, v10
	s_delay_alu instid0(VALU_DEP_1)
	v_cmpx_ne_u32_e32 0x7f800000, v11
	s_cbranch_execz .LBB6_5464
; %bb.5457:                             ;   in Loop: Header=BB6_4903 Depth=2
	v_mov_b32_e32 v165, 0
	s_mov_b32 s25, exec_lo
	v_cmpx_ne_u32_e32 0, v10
	s_cbranch_execz .LBB6_5463
; %bb.5458:                             ;   in Loop: Header=BB6_4903 Depth=2
	v_bfe_u32 v11, v10, 23, 8
	v_and_b32_e32 v12, 0x7fffff, v10
	s_delay_alu instid0(VALU_DEP_2) | instskip(SKIP_1) | instid1(VALU_DEP_3)
	v_sub_nc_u32_e32 v14, 0x78, v11
	v_cmp_gt_u32_e32 vcc_lo, 0x79, v11
	v_or_b32_e32 v15, 0x800000, v12
	s_delay_alu instid0(VALU_DEP_3) | instskip(SKIP_2) | instid1(VALU_DEP_3)
	v_cndmask_b32_e32 v14, 0, v14, vcc_lo
	v_cmp_eq_u32_e32 vcc_lo, 0, v11
	v_add_nc_u32_e32 v11, 0xffffff89, v11
	v_cndmask_b32_e64 v14, v14, 0x77, vcc_lo
	v_cndmask_b32_e32 v12, v15, v12, vcc_lo
	s_delay_alu instid0(VALU_DEP_3) | instskip(NEXT) | instid1(VALU_DEP_3)
	v_cndmask_b32_e64 v11, v11, 0xffffff8a, vcc_lo
	v_lshl_add_u32 v15, 0x100000, v14, -1
	s_delay_alu instid0(VALU_DEP_3) | instskip(SKIP_1) | instid1(VALU_DEP_4)
	v_lshrrev_b32_e32 v16, v14, v12
	v_lshlrev_b32_e64 v18, v14, 0x80000
	v_add_nc_u32_e32 v14, v14, v11
	s_delay_alu instid0(VALU_DEP_4) | instskip(NEXT) | instid1(VALU_DEP_4)
	v_and_b32_e32 v12, v15, v12
	v_bfe_u32 v17, v16, 20, 1
	s_delay_alu instid0(VALU_DEP_2) | instskip(NEXT) | instid1(VALU_DEP_2)
	v_cmp_eq_u32_e64 s7, v12, v18
	v_add_nc_u32_e32 v15, -1, v17
	s_delay_alu instid0(VALU_DEP_1) | instskip(SKIP_2) | instid1(VALU_DEP_2)
	v_cndmask_b32_e64 v12, 0, v15, s7
	v_lshrrev_b32_e32 v15, 23, v16
	s_mov_b32 s7, exec_lo
	v_add_nc_u32_e32 v12, v12, v16
	s_delay_alu instid0(VALU_DEP_2) | instskip(NEXT) | instid1(VALU_DEP_2)
	v_xor_b32_e32 v15, 1, v15
	v_and_b32_e32 v11, 0xfffff, v12
	s_delay_alu instid0(VALU_DEP_1) | instskip(NEXT) | instid1(VALU_DEP_3)
	v_add_nc_u32_e32 v12, v11, v16
                                        ; implicit-def: $vgpr11
	v_cmpx_ne_u32_e64 v14, v15
	s_xor_b32 s7, exec_lo, s7
; %bb.5459:                             ;   in Loop: Header=BB6_4903 Depth=2
	s_delay_alu instid0(VALU_DEP_2) | instskip(SKIP_2) | instid1(VALU_DEP_2)
	v_cmp_lt_u32_e32 vcc_lo, 0xffffff, v12
	v_sub_nc_u32_e32 v11, v14, v15
	v_cndmask_b32_e64 v14, 0, 1, vcc_lo
	v_add_co_ci_u32_e32 v11, vcc_lo, 0, v11, vcc_lo
	s_delay_alu instid0(VALU_DEP_2)
	v_lshrrev_b32_e32 v12, v14, v12
; %bb.5460:                             ;   in Loop: Header=BB6_4903 Depth=2
	s_and_not1_saveexec_b32 s7, s7
; %bb.5461:                             ;   in Loop: Header=BB6_4903 Depth=2
	s_delay_alu instid0(VALU_DEP_1)
	v_bfe_u32 v11, v12, 23, 1
; %bb.5462:                             ;   in Loop: Header=BB6_4903 Depth=2
	s_or_b32 exec_lo, exec_lo, s7
	v_lshrrev_b32_e32 v12, 20, v12
	s_delay_alu instid0(VALU_DEP_2) | instskip(SKIP_2) | instid1(VALU_DEP_3)
	v_min_i32_e32 v14, 15, v11
	v_cmp_gt_i32_e32 vcc_lo, 16, v11
	v_lshrrev_b32_e32 v10, 24, v10
	v_lshlrev_b32_e32 v14, 3, v14
	v_cndmask_b32_e32 v12, 7, v12, vcc_lo
	s_delay_alu instid0(VALU_DEP_3) | instskip(NEXT) | instid1(VALU_DEP_3)
	v_and_b32_e32 v10, 0x80, v10
	v_and_b32_e32 v14, 0xf8, v14
	s_delay_alu instid0(VALU_DEP_3) | instskip(SKIP_1) | instid1(VALU_DEP_2)
	v_and_b32_e32 v15, 7, v12
	v_or_b32_e32 v11, v11, v12
	v_or3_b32 v10, v10, v14, v15
	s_delay_alu instid0(VALU_DEP_2) | instskip(NEXT) | instid1(VALU_DEP_2)
	v_cmp_ne_u32_e32 vcc_lo, 0, v11
	v_lshlrev_b32_e32 v10, 8, v10
	s_delay_alu instid0(VALU_DEP_1)
	v_cndmask_b32_e32 v165, 0, v10, vcc_lo
.LBB6_5463:                             ;   in Loop: Header=BB6_4903 Depth=2
	s_or_b32 exec_lo, exec_lo, s25
.LBB6_5464:                             ;   in Loop: Header=BB6_4903 Depth=2
	s_delay_alu instid0(SALU_CYCLE_1) | instskip(SKIP_3) | instid1(VALU_DEP_1)
	s_or_b32 exec_lo, exec_lo, s24
	v_lshrrev_b32_e32 v10, 16, v13
	s_mov_b32 s7, 0
	s_mov_b32 s25, exec_lo
                                        ; implicit-def: $sgpr24
	v_and_b32_e32 v12, 0xff, v10
	s_delay_alu instid0(VALU_DEP_1)
	v_cmpx_lt_i16_e32 0x7f, v12
	s_xor_b32 s25, exec_lo, s25
	s_cbranch_execnz .LBB6_6886
; %bb.5465:                             ;   in Loop: Header=BB6_4903 Depth=2
	s_or_saveexec_b32 s25, s25
	v_mov_b32_e32 v11, s24
	s_xor_b32 exec_lo, exec_lo, s25
	s_cbranch_execnz .LBB6_6889
.LBB6_5466:                             ;   in Loop: Header=BB6_4903 Depth=2
	s_or_b32 exec_lo, exec_lo, s25
	s_and_saveexec_b32 s24, s7
	s_cbranch_execz .LBB6_5468
.LBB6_5467:                             ;   in Loop: Header=BB6_4903 Depth=2
	v_bfe_u32 v11, v13, 16, 3
	s_delay_alu instid0(VALU_DEP_1) | instskip(NEXT) | instid1(VALU_DEP_1)
	v_clz_i32_u32_e32 v12, v11
	v_min_u32_e32 v12, 32, v12
	s_delay_alu instid0(VALU_DEP_1) | instskip(SKIP_1) | instid1(VALU_DEP_2)
	v_subrev_nc_u32_e32 v14, 28, v12
	v_sub_nc_u32_e32 v12, 29, v12
	v_lshlrev_b32_e32 v10, v14, v10
	v_bfe_u32 v14, v13, 19, 4
	s_delay_alu instid0(VALU_DEP_2) | instskip(NEXT) | instid1(VALU_DEP_2)
	v_and_b32_e32 v10, 7, v10
	v_cmp_eq_u32_e32 vcc_lo, 0, v14
	v_dual_cndmask_b32 v12, v14, v12 :: v_dual_lshlrev_b32 v15, 8, v13
	s_delay_alu instid0(VALU_DEP_1) | instskip(NEXT) | instid1(VALU_DEP_2)
	v_dual_cndmask_b32 v10, v11, v10 :: v_dual_and_b32 v11, 0x80000000, v15
	v_lshl_add_u32 v12, v12, 23, 0x3b800000
	s_delay_alu instid0(VALU_DEP_2) | instskip(NEXT) | instid1(VALU_DEP_1)
	v_lshlrev_b32_e32 v10, 20, v10
	v_or3_b32 v11, v11, v12, v10
.LBB6_5468:                             ;   in Loop: Header=BB6_4903 Depth=2
	s_or_b32 exec_lo, exec_lo, s24
	s_delay_alu instid0(VALU_DEP_1) | instskip(SKIP_2) | instid1(VALU_DEP_2)
	v_mul_f32_e32 v10, s23, v11
	v_mov_b32_e32 v150, 0x80
	s_mov_b32 s24, exec_lo
	v_and_b32_e32 v11, 0x7f800000, v10
	s_delay_alu instid0(VALU_DEP_1)
	v_cmpx_ne_u32_e32 0x7f800000, v11
	s_cbranch_execz .LBB6_5476
; %bb.5469:                             ;   in Loop: Header=BB6_4903 Depth=2
	v_mov_b32_e32 v150, 0
	s_mov_b32 s25, exec_lo
	v_cmpx_ne_u32_e32 0, v10
	s_cbranch_execz .LBB6_5475
; %bb.5470:                             ;   in Loop: Header=BB6_4903 Depth=2
	v_bfe_u32 v11, v10, 23, 8
	v_and_b32_e32 v12, 0x7fffff, v10
	s_delay_alu instid0(VALU_DEP_2) | instskip(SKIP_1) | instid1(VALU_DEP_3)
	v_sub_nc_u32_e32 v14, 0x78, v11
	v_cmp_gt_u32_e32 vcc_lo, 0x79, v11
	v_or_b32_e32 v15, 0x800000, v12
	s_delay_alu instid0(VALU_DEP_3) | instskip(SKIP_2) | instid1(VALU_DEP_3)
	v_cndmask_b32_e32 v14, 0, v14, vcc_lo
	v_cmp_eq_u32_e32 vcc_lo, 0, v11
	v_add_nc_u32_e32 v11, 0xffffff89, v11
	v_cndmask_b32_e64 v14, v14, 0x77, vcc_lo
	v_cndmask_b32_e32 v12, v15, v12, vcc_lo
	s_delay_alu instid0(VALU_DEP_3) | instskip(NEXT) | instid1(VALU_DEP_3)
	v_cndmask_b32_e64 v11, v11, 0xffffff8a, vcc_lo
	v_lshl_add_u32 v15, 0x100000, v14, -1
	s_delay_alu instid0(VALU_DEP_3) | instskip(SKIP_1) | instid1(VALU_DEP_4)
	v_lshrrev_b32_e32 v16, v14, v12
	v_lshlrev_b32_e64 v18, v14, 0x80000
	v_add_nc_u32_e32 v14, v14, v11
	s_delay_alu instid0(VALU_DEP_4) | instskip(NEXT) | instid1(VALU_DEP_4)
	v_and_b32_e32 v12, v15, v12
	v_bfe_u32 v17, v16, 20, 1
	s_delay_alu instid0(VALU_DEP_2) | instskip(NEXT) | instid1(VALU_DEP_2)
	v_cmp_eq_u32_e64 s7, v12, v18
	v_add_nc_u32_e32 v15, -1, v17
	s_delay_alu instid0(VALU_DEP_1) | instskip(SKIP_2) | instid1(VALU_DEP_2)
	v_cndmask_b32_e64 v12, 0, v15, s7
	v_lshrrev_b32_e32 v15, 23, v16
	s_mov_b32 s7, exec_lo
	v_add_nc_u32_e32 v12, v12, v16
	s_delay_alu instid0(VALU_DEP_2) | instskip(NEXT) | instid1(VALU_DEP_2)
	v_xor_b32_e32 v15, 1, v15
	v_and_b32_e32 v11, 0xfffff, v12
	s_delay_alu instid0(VALU_DEP_1) | instskip(NEXT) | instid1(VALU_DEP_3)
	v_add_nc_u32_e32 v12, v11, v16
                                        ; implicit-def: $vgpr11
	v_cmpx_ne_u32_e64 v14, v15
	s_xor_b32 s7, exec_lo, s7
; %bb.5471:                             ;   in Loop: Header=BB6_4903 Depth=2
	s_delay_alu instid0(VALU_DEP_2) | instskip(SKIP_2) | instid1(VALU_DEP_2)
	v_cmp_lt_u32_e32 vcc_lo, 0xffffff, v12
	v_sub_nc_u32_e32 v11, v14, v15
	v_cndmask_b32_e64 v14, 0, 1, vcc_lo
	v_add_co_ci_u32_e32 v11, vcc_lo, 0, v11, vcc_lo
	s_delay_alu instid0(VALU_DEP_2)
	v_lshrrev_b32_e32 v12, v14, v12
; %bb.5472:                             ;   in Loop: Header=BB6_4903 Depth=2
	s_and_not1_saveexec_b32 s7, s7
; %bb.5473:                             ;   in Loop: Header=BB6_4903 Depth=2
	s_delay_alu instid0(VALU_DEP_1)
	v_bfe_u32 v11, v12, 23, 1
; %bb.5474:                             ;   in Loop: Header=BB6_4903 Depth=2
	s_or_b32 exec_lo, exec_lo, s7
	v_lshrrev_b32_e32 v12, 20, v12
	s_delay_alu instid0(VALU_DEP_2) | instskip(SKIP_2) | instid1(VALU_DEP_4)
	v_cmp_gt_i32_e32 vcc_lo, 16, v11
	v_min_i32_e32 v14, 15, v11
	v_lshrrev_b32_e32 v10, 24, v10
	v_cndmask_b32_e32 v12, 7, v12, vcc_lo
	s_delay_alu instid0(VALU_DEP_3) | instskip(NEXT) | instid1(VALU_DEP_3)
	v_lshlrev_b32_e32 v14, 3, v14
	v_and_b32_e32 v10, 0x80, v10
	s_delay_alu instid0(VALU_DEP_3) | instskip(NEXT) | instid1(VALU_DEP_3)
	v_or_b32_e32 v11, v11, v12
	v_and_b32_e32 v14, 0xf8, v14
	s_delay_alu instid0(VALU_DEP_2) | instskip(SKIP_1) | instid1(VALU_DEP_1)
	v_cmp_ne_u32_e32 vcc_lo, 0, v11
	v_and_b32_e32 v15, 7, v12
	v_or3_b32 v10, v14, v10, v15
	s_delay_alu instid0(VALU_DEP_1)
	v_cndmask_b32_e32 v150, 0, v10, vcc_lo
.LBB6_5475:                             ;   in Loop: Header=BB6_4903 Depth=2
	s_or_b32 exec_lo, exec_lo, s25
.LBB6_5476:                             ;   in Loop: Header=BB6_4903 Depth=2
	s_delay_alu instid0(SALU_CYCLE_1) | instskip(SKIP_3) | instid1(VALU_DEP_1)
	s_or_b32 exec_lo, exec_lo, s24
	v_lshrrev_b32_e32 v10, 24, v13
	s_mov_b32 s7, 0
	s_mov_b32 s25, exec_lo
                                        ; implicit-def: $sgpr24
	v_cmpx_lt_i16_e32 0x7f, v10
	s_xor_b32 s25, exec_lo, s25
	s_cbranch_execnz .LBB6_6890
; %bb.5477:                             ;   in Loop: Header=BB6_4903 Depth=2
	s_or_saveexec_b32 s25, s25
	v_mov_b32_e32 v11, s24
	s_xor_b32 exec_lo, exec_lo, s25
	s_cbranch_execnz .LBB6_6893
.LBB6_5478:                             ;   in Loop: Header=BB6_4903 Depth=2
	s_or_b32 exec_lo, exec_lo, s25
	s_and_saveexec_b32 s24, s7
	s_cbranch_execz .LBB6_5480
.LBB6_5479:                             ;   in Loop: Header=BB6_4903 Depth=2
	v_bfe_u32 v11, v13, 24, 3
	s_delay_alu instid0(VALU_DEP_1) | instskip(NEXT) | instid1(VALU_DEP_1)
	v_clz_i32_u32_e32 v12, v11
	v_min_u32_e32 v12, 32, v12
	s_delay_alu instid0(VALU_DEP_1) | instskip(SKIP_1) | instid1(VALU_DEP_2)
	v_subrev_nc_u32_e32 v14, 28, v12
	v_sub_nc_u32_e32 v12, 29, v12
	v_lshlrev_b32_e32 v10, v14, v10
	v_bfe_u32 v14, v13, 27, 4
	s_delay_alu instid0(VALU_DEP_2) | instskip(NEXT) | instid1(VALU_DEP_2)
	v_and_b32_e32 v10, 7, v10
	v_cmp_eq_u32_e32 vcc_lo, 0, v14
	v_cndmask_b32_e32 v12, v14, v12, vcc_lo
	s_delay_alu instid0(VALU_DEP_3) | instskip(NEXT) | instid1(VALU_DEP_2)
	v_dual_cndmask_b32 v10, v11, v10 :: v_dual_and_b32 v11, 0x80000000, v13
	v_lshl_add_u32 v12, v12, 23, 0x3b800000
	s_delay_alu instid0(VALU_DEP_2) | instskip(NEXT) | instid1(VALU_DEP_1)
	v_lshlrev_b32_e32 v10, 20, v10
	v_or3_b32 v11, v11, v12, v10
.LBB6_5480:                             ;   in Loop: Header=BB6_4903 Depth=2
	s_or_b32 exec_lo, exec_lo, s24
	s_delay_alu instid0(VALU_DEP_1) | instskip(SKIP_1) | instid1(VALU_DEP_1)
	v_dual_mul_f32 v10, s23, v11 :: v_dual_mov_b32 v161, 0x8000
	s_mov_b32 s24, exec_lo
	v_and_b32_e32 v11, 0x7f800000, v10
	s_delay_alu instid0(VALU_DEP_1)
	v_cmpx_ne_u32_e32 0x7f800000, v11
	s_cbranch_execz .LBB6_5488
; %bb.5481:                             ;   in Loop: Header=BB6_4903 Depth=2
	v_mov_b32_e32 v161, 0
	s_mov_b32 s25, exec_lo
	v_cmpx_ne_u32_e32 0, v10
	s_cbranch_execz .LBB6_5487
; %bb.5482:                             ;   in Loop: Header=BB6_4903 Depth=2
	v_bfe_u32 v11, v10, 23, 8
	s_delay_alu instid0(VALU_DEP_1) | instskip(SKIP_1) | instid1(VALU_DEP_2)
	v_sub_nc_u32_e32 v13, 0x78, v11
	v_cmp_gt_u32_e32 vcc_lo, 0x79, v11
	v_dual_cndmask_b32 v13, 0, v13 :: v_dual_and_b32 v12, 0x7fffff, v10
	s_delay_alu instid0(VALU_DEP_1) | instskip(SKIP_2) | instid1(VALU_DEP_4)
	v_or_b32_e32 v14, 0x800000, v12
	v_cmp_eq_u32_e32 vcc_lo, 0, v11
	v_add_nc_u32_e32 v11, 0xffffff89, v11
	v_cndmask_b32_e64 v13, v13, 0x77, vcc_lo
	s_delay_alu instid0(VALU_DEP_4) | instskip(NEXT) | instid1(VALU_DEP_3)
	v_cndmask_b32_e32 v12, v14, v12, vcc_lo
	v_cndmask_b32_e64 v11, v11, 0xffffff8a, vcc_lo
	s_delay_alu instid0(VALU_DEP_3) | instskip(NEXT) | instid1(VALU_DEP_3)
	v_lshl_add_u32 v14, 0x100000, v13, -1
	v_lshrrev_b32_e32 v15, v13, v12
	v_lshlrev_b32_e64 v17, v13, 0x80000
	s_delay_alu instid0(VALU_DEP_4) | instskip(NEXT) | instid1(VALU_DEP_4)
	v_add_nc_u32_e32 v13, v13, v11
	v_and_b32_e32 v12, v14, v12
	s_delay_alu instid0(VALU_DEP_4) | instskip(NEXT) | instid1(VALU_DEP_2)
	v_bfe_u32 v16, v15, 20, 1
	v_cmp_eq_u32_e64 s7, v12, v17
	s_delay_alu instid0(VALU_DEP_2) | instskip(NEXT) | instid1(VALU_DEP_1)
	v_add_nc_u32_e32 v14, -1, v16
	v_cndmask_b32_e64 v12, 0, v14, s7
	v_lshrrev_b32_e32 v14, 23, v15
	s_mov_b32 s7, exec_lo
	s_delay_alu instid0(VALU_DEP_2) | instskip(NEXT) | instid1(VALU_DEP_2)
	v_add_nc_u32_e32 v12, v12, v15
	v_xor_b32_e32 v14, 1, v14
	s_delay_alu instid0(VALU_DEP_2) | instskip(NEXT) | instid1(VALU_DEP_1)
	v_and_b32_e32 v11, 0xfffff, v12
	v_add_nc_u32_e32 v12, v11, v15
                                        ; implicit-def: $vgpr11
	s_delay_alu instid0(VALU_DEP_3)
	v_cmpx_ne_u32_e64 v13, v14
	s_xor_b32 s7, exec_lo, s7
; %bb.5483:                             ;   in Loop: Header=BB6_4903 Depth=2
	s_delay_alu instid0(VALU_DEP_2) | instskip(SKIP_2) | instid1(VALU_DEP_2)
	v_cmp_lt_u32_e32 vcc_lo, 0xffffff, v12
	v_sub_nc_u32_e32 v11, v13, v14
	v_cndmask_b32_e64 v13, 0, 1, vcc_lo
	v_add_co_ci_u32_e32 v11, vcc_lo, 0, v11, vcc_lo
	s_delay_alu instid0(VALU_DEP_2)
	v_lshrrev_b32_e32 v12, v13, v12
; %bb.5484:                             ;   in Loop: Header=BB6_4903 Depth=2
	s_and_not1_saveexec_b32 s7, s7
; %bb.5485:                             ;   in Loop: Header=BB6_4903 Depth=2
	s_delay_alu instid0(VALU_DEP_1)
	v_bfe_u32 v11, v12, 23, 1
; %bb.5486:                             ;   in Loop: Header=BB6_4903 Depth=2
	s_or_b32 exec_lo, exec_lo, s7
	v_lshrrev_b32_e32 v12, 20, v12
	s_delay_alu instid0(VALU_DEP_2) | instskip(SKIP_2) | instid1(VALU_DEP_2)
	v_cmp_gt_i32_e32 vcc_lo, 16, v11
	v_min_i32_e32 v13, 15, v11
	v_lshrrev_b32_e32 v10, 24, v10
	v_dual_cndmask_b32 v12, 7, v12 :: v_dual_lshlrev_b32 v13, 3, v13
	s_delay_alu instid0(VALU_DEP_2) | instskip(NEXT) | instid1(VALU_DEP_2)
	v_and_b32_e32 v10, 0x80, v10
	v_or_b32_e32 v11, v11, v12
	s_delay_alu instid0(VALU_DEP_3) | instskip(NEXT) | instid1(VALU_DEP_2)
	v_and_b32_e32 v13, 0xf8, v13
	v_cmp_ne_u32_e32 vcc_lo, 0, v11
	v_and_b32_e32 v14, 7, v12
	s_delay_alu instid0(VALU_DEP_1) | instskip(NEXT) | instid1(VALU_DEP_1)
	v_or3_b32 v10, v10, v13, v14
	v_lshlrev_b32_e32 v10, 8, v10
	s_delay_alu instid0(VALU_DEP_1)
	v_cndmask_b32_e32 v161, 0, v10, vcc_lo
.LBB6_5487:                             ;   in Loop: Header=BB6_4903 Depth=2
	s_or_b32 exec_lo, exec_lo, s25
.LBB6_5488:                             ;   in Loop: Header=BB6_4903 Depth=2
	s_delay_alu instid0(SALU_CYCLE_1)
	s_or_b32 exec_lo, exec_lo, s24
	global_load_b128 v[10:13], v[64:65], off offset:1536 slc dlc
	s_mov_b32 s7, 0
	s_mov_b32 s25, exec_lo
                                        ; implicit-def: $sgpr24
	s_waitcnt vmcnt(0)
	v_and_b32_e32 v15, 0xff, v10
	s_delay_alu instid0(VALU_DEP_1)
	v_cmpx_lt_i16_e32 0x7f, v15
	s_xor_b32 s25, exec_lo, s25
	s_cbranch_execnz .LBB6_6894
; %bb.5489:                             ;   in Loop: Header=BB6_4903 Depth=2
	s_or_saveexec_b32 s25, s25
	v_mov_b32_e32 v14, s24
	s_xor_b32 exec_lo, exec_lo, s25
	s_cbranch_execnz .LBB6_6897
.LBB6_5490:                             ;   in Loop: Header=BB6_4903 Depth=2
	s_or_b32 exec_lo, exec_lo, s25
	s_and_saveexec_b32 s24, s7
	s_cbranch_execz .LBB6_5492
.LBB6_5491:                             ;   in Loop: Header=BB6_4903 Depth=2
	v_bfe_u32 v17, v10, 3, 4
	v_lshlrev_b32_e32 v18, 24, v10
	s_delay_alu instid0(VALU_DEP_2) | instskip(SKIP_1) | instid1(VALU_DEP_1)
	v_cmp_eq_u32_e32 vcc_lo, 0, v17
	v_and_b32_e32 v14, 7, v10
	v_clz_i32_u32_e32 v15, v14
	s_delay_alu instid0(VALU_DEP_1) | instskip(NEXT) | instid1(VALU_DEP_1)
	v_min_u32_e32 v15, 32, v15
	v_subrev_nc_u32_e32 v16, 28, v15
	v_sub_nc_u32_e32 v15, 29, v15
	s_delay_alu instid0(VALU_DEP_1) | instskip(NEXT) | instid1(VALU_DEP_1)
	v_dual_cndmask_b32 v15, v17, v15 :: v_dual_lshlrev_b32 v16, v16, v10
	v_and_b32_e32 v16, 7, v16
	s_delay_alu instid0(VALU_DEP_2) | instskip(NEXT) | instid1(VALU_DEP_2)
	v_lshl_add_u32 v15, v15, 23, 0x3b800000
	v_cndmask_b32_e32 v14, v14, v16, vcc_lo
	v_and_b32_e32 v16, 0x80000000, v18
	s_delay_alu instid0(VALU_DEP_2) | instskip(NEXT) | instid1(VALU_DEP_1)
	v_lshlrev_b32_e32 v14, 20, v14
	v_or3_b32 v14, v16, v15, v14
.LBB6_5492:                             ;   in Loop: Header=BB6_4903 Depth=2
	s_or_b32 exec_lo, exec_lo, s24
	s_delay_alu instid0(VALU_DEP_1) | instskip(SKIP_2) | instid1(VALU_DEP_2)
	v_mul_f32_e32 v14, s23, v14
	v_mov_b32_e32 v148, 0x80
	s_mov_b32 s24, exec_lo
	v_and_b32_e32 v15, 0x7f800000, v14
	s_delay_alu instid0(VALU_DEP_1)
	v_cmpx_ne_u32_e32 0x7f800000, v15
	s_cbranch_execz .LBB6_5500
; %bb.5493:                             ;   in Loop: Header=BB6_4903 Depth=2
	v_mov_b32_e32 v148, 0
	s_mov_b32 s25, exec_lo
	v_cmpx_ne_u32_e32 0, v14
	s_cbranch_execz .LBB6_5499
; %bb.5494:                             ;   in Loop: Header=BB6_4903 Depth=2
	v_bfe_u32 v15, v14, 23, 8
	s_delay_alu instid0(VALU_DEP_1) | instskip(SKIP_1) | instid1(VALU_DEP_2)
	v_sub_nc_u32_e32 v17, 0x78, v15
	v_cmp_gt_u32_e32 vcc_lo, 0x79, v15
	v_dual_cndmask_b32 v17, 0, v17 :: v_dual_and_b32 v16, 0x7fffff, v14
	s_delay_alu instid0(VALU_DEP_1) | instskip(SKIP_2) | instid1(VALU_DEP_4)
	v_or_b32_e32 v18, 0x800000, v16
	v_cmp_eq_u32_e32 vcc_lo, 0, v15
	v_add_nc_u32_e32 v15, 0xffffff89, v15
	v_cndmask_b32_e64 v17, v17, 0x77, vcc_lo
	s_delay_alu instid0(VALU_DEP_4) | instskip(NEXT) | instid1(VALU_DEP_3)
	v_cndmask_b32_e32 v16, v18, v16, vcc_lo
	v_cndmask_b32_e64 v15, v15, 0xffffff8a, vcc_lo
	s_delay_alu instid0(VALU_DEP_3) | instskip(NEXT) | instid1(VALU_DEP_3)
	v_lshl_add_u32 v18, 0x100000, v17, -1
	v_lshrrev_b32_e32 v19, v17, v16
	v_lshlrev_b32_e64 v21, v17, 0x80000
	s_delay_alu instid0(VALU_DEP_4) | instskip(NEXT) | instid1(VALU_DEP_4)
	v_add_nc_u32_e32 v17, v17, v15
	v_and_b32_e32 v16, v18, v16
	s_delay_alu instid0(VALU_DEP_4) | instskip(NEXT) | instid1(VALU_DEP_2)
	v_bfe_u32 v20, v19, 20, 1
	v_cmp_eq_u32_e64 s7, v16, v21
	s_delay_alu instid0(VALU_DEP_2) | instskip(NEXT) | instid1(VALU_DEP_1)
	v_add_nc_u32_e32 v18, -1, v20
	v_cndmask_b32_e64 v16, 0, v18, s7
	v_lshrrev_b32_e32 v18, 23, v19
	s_mov_b32 s7, exec_lo
	s_delay_alu instid0(VALU_DEP_2) | instskip(NEXT) | instid1(VALU_DEP_2)
	v_add_nc_u32_e32 v16, v16, v19
	v_xor_b32_e32 v18, 1, v18
	s_delay_alu instid0(VALU_DEP_2) | instskip(NEXT) | instid1(VALU_DEP_1)
	v_and_b32_e32 v15, 0xfffff, v16
	v_add_nc_u32_e32 v16, v15, v19
                                        ; implicit-def: $vgpr15
	s_delay_alu instid0(VALU_DEP_3)
	v_cmpx_ne_u32_e64 v17, v18
	s_xor_b32 s7, exec_lo, s7
; %bb.5495:                             ;   in Loop: Header=BB6_4903 Depth=2
	s_delay_alu instid0(VALU_DEP_2) | instskip(SKIP_2) | instid1(VALU_DEP_2)
	v_cmp_lt_u32_e32 vcc_lo, 0xffffff, v16
	v_sub_nc_u32_e32 v15, v17, v18
	v_cndmask_b32_e64 v17, 0, 1, vcc_lo
	v_add_co_ci_u32_e32 v15, vcc_lo, 0, v15, vcc_lo
	s_delay_alu instid0(VALU_DEP_2)
	v_lshrrev_b32_e32 v16, v17, v16
; %bb.5496:                             ;   in Loop: Header=BB6_4903 Depth=2
	s_and_not1_saveexec_b32 s7, s7
; %bb.5497:                             ;   in Loop: Header=BB6_4903 Depth=2
	s_delay_alu instid0(VALU_DEP_1)
	v_bfe_u32 v15, v16, 23, 1
; %bb.5498:                             ;   in Loop: Header=BB6_4903 Depth=2
	s_or_b32 exec_lo, exec_lo, s7
	v_lshrrev_b32_e32 v16, 20, v16
	s_delay_alu instid0(VALU_DEP_2) | instskip(SKIP_2) | instid1(VALU_DEP_4)
	v_cmp_gt_i32_e32 vcc_lo, 16, v15
	v_lshrrev_b32_e32 v14, 24, v14
	v_min_i32_e32 v17, 15, v15
	v_cndmask_b32_e32 v16, 7, v16, vcc_lo
	s_delay_alu instid0(VALU_DEP_3) | instskip(NEXT) | instid1(VALU_DEP_3)
	v_and_b32_e32 v14, 0x80, v14
	v_lshlrev_b32_e32 v17, 3, v17
	s_delay_alu instid0(VALU_DEP_3) | instskip(SKIP_1) | instid1(VALU_DEP_2)
	v_and_b32_e32 v18, 7, v16
	v_or_b32_e32 v15, v15, v16
	v_or3_b32 v14, v17, v14, v18
	s_delay_alu instid0(VALU_DEP_2) | instskip(NEXT) | instid1(VALU_DEP_2)
	v_cmp_ne_u32_e32 vcc_lo, 0, v15
	v_cndmask_b32_e32 v148, 0, v14, vcc_lo
.LBB6_5499:                             ;   in Loop: Header=BB6_4903 Depth=2
	s_or_b32 exec_lo, exec_lo, s25
.LBB6_5500:                             ;   in Loop: Header=BB6_4903 Depth=2
	s_delay_alu instid0(SALU_CYCLE_1) | instskip(SKIP_3) | instid1(VALU_DEP_1)
	s_or_b32 exec_lo, exec_lo, s24
	v_lshrrev_b16 v14, 8, v10
	s_mov_b32 s7, 0
	s_mov_b32 s25, exec_lo
                                        ; implicit-def: $sgpr24
	v_cmpx_lt_i16_e32 0x7f, v14
	s_xor_b32 s25, exec_lo, s25
	s_cbranch_execnz .LBB6_6898
; %bb.5501:                             ;   in Loop: Header=BB6_4903 Depth=2
	s_or_saveexec_b32 s25, s25
	v_mov_b32_e32 v15, s24
	s_xor_b32 exec_lo, exec_lo, s25
	s_cbranch_execnz .LBB6_6901
.LBB6_5502:                             ;   in Loop: Header=BB6_4903 Depth=2
	s_or_b32 exec_lo, exec_lo, s25
	s_and_saveexec_b32 s24, s7
	s_cbranch_execz .LBB6_5504
.LBB6_5503:                             ;   in Loop: Header=BB6_4903 Depth=2
	v_and_b32_e32 v15, 0xffff, v14
	v_lshlrev_b32_e32 v14, 24, v14
	s_delay_alu instid0(VALU_DEP_2) | instskip(NEXT) | instid1(VALU_DEP_2)
	v_and_b32_e32 v16, 7, v15
	v_and_b32_e32 v14, 0x80000000, v14
	s_delay_alu instid0(VALU_DEP_2) | instskip(NEXT) | instid1(VALU_DEP_1)
	v_clz_i32_u32_e32 v17, v16
	v_min_u32_e32 v17, 32, v17
	s_delay_alu instid0(VALU_DEP_1) | instskip(SKIP_1) | instid1(VALU_DEP_2)
	v_subrev_nc_u32_e32 v18, 28, v17
	v_sub_nc_u32_e32 v17, 29, v17
	v_lshlrev_b32_e32 v18, v18, v15
	v_bfe_u32 v15, v15, 3, 4
	s_delay_alu instid0(VALU_DEP_2) | instskip(NEXT) | instid1(VALU_DEP_2)
	v_and_b32_e32 v18, 7, v18
	v_cmp_eq_u32_e32 vcc_lo, 0, v15
	s_delay_alu instid0(VALU_DEP_2) | instskip(NEXT) | instid1(VALU_DEP_1)
	v_dual_cndmask_b32 v15, v15, v17 :: v_dual_cndmask_b32 v16, v16, v18
	v_lshl_add_u32 v15, v15, 23, 0x3b800000
	s_delay_alu instid0(VALU_DEP_2) | instskip(NEXT) | instid1(VALU_DEP_1)
	v_lshlrev_b32_e32 v16, 20, v16
	v_or3_b32 v15, v14, v15, v16
.LBB6_5504:                             ;   in Loop: Header=BB6_4903 Depth=2
	s_or_b32 exec_lo, exec_lo, s24
	s_delay_alu instid0(VALU_DEP_1) | instskip(SKIP_2) | instid1(VALU_DEP_2)
	v_mul_f32_e32 v14, s23, v15
	v_mov_b32_e32 v146, 0x80
	s_mov_b32 s24, exec_lo
	v_and_b32_e32 v15, 0x7f800000, v14
	s_delay_alu instid0(VALU_DEP_1)
	v_cmpx_ne_u32_e32 0x7f800000, v15
	s_cbranch_execz .LBB6_5512
; %bb.5505:                             ;   in Loop: Header=BB6_4903 Depth=2
	v_mov_b32_e32 v146, 0
	s_mov_b32 s25, exec_lo
	v_cmpx_ne_u32_e32 0, v14
	s_cbranch_execz .LBB6_5511
; %bb.5506:                             ;   in Loop: Header=BB6_4903 Depth=2
	v_bfe_u32 v15, v14, 23, 8
	s_delay_alu instid0(VALU_DEP_1) | instskip(SKIP_1) | instid1(VALU_DEP_2)
	v_sub_nc_u32_e32 v17, 0x78, v15
	v_cmp_gt_u32_e32 vcc_lo, 0x79, v15
	v_dual_cndmask_b32 v17, 0, v17 :: v_dual_and_b32 v16, 0x7fffff, v14
	s_delay_alu instid0(VALU_DEP_1) | instskip(SKIP_2) | instid1(VALU_DEP_4)
	v_or_b32_e32 v18, 0x800000, v16
	v_cmp_eq_u32_e32 vcc_lo, 0, v15
	v_add_nc_u32_e32 v15, 0xffffff89, v15
	v_cndmask_b32_e64 v17, v17, 0x77, vcc_lo
	s_delay_alu instid0(VALU_DEP_4) | instskip(NEXT) | instid1(VALU_DEP_3)
	v_cndmask_b32_e32 v16, v18, v16, vcc_lo
	v_cndmask_b32_e64 v15, v15, 0xffffff8a, vcc_lo
	s_delay_alu instid0(VALU_DEP_3) | instskip(NEXT) | instid1(VALU_DEP_3)
	v_lshl_add_u32 v18, 0x100000, v17, -1
	v_lshrrev_b32_e32 v19, v17, v16
	v_lshlrev_b32_e64 v21, v17, 0x80000
	s_delay_alu instid0(VALU_DEP_4) | instskip(NEXT) | instid1(VALU_DEP_4)
	v_add_nc_u32_e32 v17, v17, v15
	v_and_b32_e32 v16, v18, v16
	s_delay_alu instid0(VALU_DEP_4) | instskip(NEXT) | instid1(VALU_DEP_2)
	v_bfe_u32 v20, v19, 20, 1
	v_cmp_eq_u32_e64 s7, v16, v21
	s_delay_alu instid0(VALU_DEP_2) | instskip(NEXT) | instid1(VALU_DEP_1)
	v_add_nc_u32_e32 v18, -1, v20
	v_cndmask_b32_e64 v16, 0, v18, s7
	v_lshrrev_b32_e32 v18, 23, v19
	s_mov_b32 s7, exec_lo
	s_delay_alu instid0(VALU_DEP_2) | instskip(NEXT) | instid1(VALU_DEP_2)
	v_add_nc_u32_e32 v16, v16, v19
	v_xor_b32_e32 v18, 1, v18
	s_delay_alu instid0(VALU_DEP_2) | instskip(NEXT) | instid1(VALU_DEP_1)
	v_and_b32_e32 v15, 0xfffff, v16
	v_add_nc_u32_e32 v16, v15, v19
                                        ; implicit-def: $vgpr15
	s_delay_alu instid0(VALU_DEP_3)
	v_cmpx_ne_u32_e64 v17, v18
	s_xor_b32 s7, exec_lo, s7
; %bb.5507:                             ;   in Loop: Header=BB6_4903 Depth=2
	s_delay_alu instid0(VALU_DEP_2) | instskip(SKIP_2) | instid1(VALU_DEP_2)
	v_cmp_lt_u32_e32 vcc_lo, 0xffffff, v16
	v_sub_nc_u32_e32 v15, v17, v18
	v_cndmask_b32_e64 v17, 0, 1, vcc_lo
	v_add_co_ci_u32_e32 v15, vcc_lo, 0, v15, vcc_lo
	s_delay_alu instid0(VALU_DEP_2)
	v_lshrrev_b32_e32 v16, v17, v16
; %bb.5508:                             ;   in Loop: Header=BB6_4903 Depth=2
	s_and_not1_saveexec_b32 s7, s7
; %bb.5509:                             ;   in Loop: Header=BB6_4903 Depth=2
	s_delay_alu instid0(VALU_DEP_1)
	v_bfe_u32 v15, v16, 23, 1
; %bb.5510:                             ;   in Loop: Header=BB6_4903 Depth=2
	s_or_b32 exec_lo, exec_lo, s7
	v_lshrrev_b32_e32 v16, 20, v16
	s_delay_alu instid0(VALU_DEP_2) | instskip(SKIP_2) | instid1(VALU_DEP_4)
	v_cmp_gt_i32_e32 vcc_lo, 16, v15
	v_lshrrev_b32_e32 v14, 24, v14
	v_min_i32_e32 v17, 15, v15
	v_cndmask_b32_e32 v16, 7, v16, vcc_lo
	s_delay_alu instid0(VALU_DEP_3) | instskip(NEXT) | instid1(VALU_DEP_3)
	v_and_b32_e32 v14, 0x80, v14
	v_lshlrev_b32_e32 v17, 3, v17
	s_delay_alu instid0(VALU_DEP_3) | instskip(SKIP_1) | instid1(VALU_DEP_2)
	v_and_b32_e32 v18, 7, v16
	v_or_b32_e32 v15, v15, v16
	v_or3_b32 v14, v17, v14, v18
	s_delay_alu instid0(VALU_DEP_2) | instskip(NEXT) | instid1(VALU_DEP_2)
	v_cmp_ne_u32_e32 vcc_lo, 0, v15
	v_cndmask_b32_e32 v146, 0, v14, vcc_lo
.LBB6_5511:                             ;   in Loop: Header=BB6_4903 Depth=2
	s_or_b32 exec_lo, exec_lo, s25
.LBB6_5512:                             ;   in Loop: Header=BB6_4903 Depth=2
	s_delay_alu instid0(SALU_CYCLE_1) | instskip(SKIP_3) | instid1(VALU_DEP_1)
	s_or_b32 exec_lo, exec_lo, s24
	v_lshrrev_b32_e32 v14, 16, v10
	s_mov_b32 s7, 0
	s_mov_b32 s25, exec_lo
                                        ; implicit-def: $sgpr24
	v_and_b32_e32 v16, 0xff, v14
	s_delay_alu instid0(VALU_DEP_1)
	v_cmpx_lt_i16_e32 0x7f, v16
	s_xor_b32 s25, exec_lo, s25
	s_cbranch_execnz .LBB6_6902
; %bb.5513:                             ;   in Loop: Header=BB6_4903 Depth=2
	s_or_saveexec_b32 s25, s25
	v_mov_b32_e32 v15, s24
	s_xor_b32 exec_lo, exec_lo, s25
	s_cbranch_execnz .LBB6_6905
.LBB6_5514:                             ;   in Loop: Header=BB6_4903 Depth=2
	s_or_b32 exec_lo, exec_lo, s25
	s_and_saveexec_b32 s24, s7
	s_cbranch_execz .LBB6_5516
.LBB6_5515:                             ;   in Loop: Header=BB6_4903 Depth=2
	v_bfe_u32 v15, v10, 16, 3
	v_lshlrev_b32_e32 v18, 8, v10
	s_delay_alu instid0(VALU_DEP_2) | instskip(NEXT) | instid1(VALU_DEP_1)
	v_clz_i32_u32_e32 v16, v15
	v_min_u32_e32 v16, 32, v16
	s_delay_alu instid0(VALU_DEP_1) | instskip(SKIP_1) | instid1(VALU_DEP_2)
	v_subrev_nc_u32_e32 v17, 28, v16
	v_sub_nc_u32_e32 v16, 29, v16
	v_lshlrev_b32_e32 v14, v17, v14
	v_bfe_u32 v17, v10, 19, 4
	s_delay_alu instid0(VALU_DEP_2) | instskip(NEXT) | instid1(VALU_DEP_2)
	v_and_b32_e32 v14, 7, v14
	v_cmp_eq_u32_e32 vcc_lo, 0, v17
	v_cndmask_b32_e32 v16, v17, v16, vcc_lo
	s_delay_alu instid0(VALU_DEP_3) | instskip(SKIP_1) | instid1(VALU_DEP_3)
	v_cndmask_b32_e32 v14, v15, v14, vcc_lo
	v_and_b32_e32 v15, 0x80000000, v18
	v_lshl_add_u32 v16, v16, 23, 0x3b800000
	s_delay_alu instid0(VALU_DEP_3) | instskip(NEXT) | instid1(VALU_DEP_1)
	v_lshlrev_b32_e32 v14, 20, v14
	v_or3_b32 v15, v15, v16, v14
.LBB6_5516:                             ;   in Loop: Header=BB6_4903 Depth=2
	s_or_b32 exec_lo, exec_lo, s24
	s_delay_alu instid0(VALU_DEP_1) | instskip(SKIP_2) | instid1(VALU_DEP_2)
	v_mul_f32_e32 v14, s23, v15
	v_mov_b32_e32 v144, 0x80
	s_mov_b32 s24, exec_lo
	v_and_b32_e32 v15, 0x7f800000, v14
	s_delay_alu instid0(VALU_DEP_1)
	v_cmpx_ne_u32_e32 0x7f800000, v15
	s_cbranch_execz .LBB6_5524
; %bb.5517:                             ;   in Loop: Header=BB6_4903 Depth=2
	v_mov_b32_e32 v144, 0
	s_mov_b32 s25, exec_lo
	v_cmpx_ne_u32_e32 0, v14
	s_cbranch_execz .LBB6_5523
; %bb.5518:                             ;   in Loop: Header=BB6_4903 Depth=2
	v_bfe_u32 v15, v14, 23, 8
	s_delay_alu instid0(VALU_DEP_1) | instskip(SKIP_1) | instid1(VALU_DEP_2)
	v_sub_nc_u32_e32 v17, 0x78, v15
	v_cmp_gt_u32_e32 vcc_lo, 0x79, v15
	v_dual_cndmask_b32 v17, 0, v17 :: v_dual_and_b32 v16, 0x7fffff, v14
	s_delay_alu instid0(VALU_DEP_1) | instskip(SKIP_2) | instid1(VALU_DEP_4)
	v_or_b32_e32 v18, 0x800000, v16
	v_cmp_eq_u32_e32 vcc_lo, 0, v15
	v_add_nc_u32_e32 v15, 0xffffff89, v15
	v_cndmask_b32_e64 v17, v17, 0x77, vcc_lo
	s_delay_alu instid0(VALU_DEP_4) | instskip(NEXT) | instid1(VALU_DEP_3)
	v_cndmask_b32_e32 v16, v18, v16, vcc_lo
	v_cndmask_b32_e64 v15, v15, 0xffffff8a, vcc_lo
	s_delay_alu instid0(VALU_DEP_3) | instskip(NEXT) | instid1(VALU_DEP_3)
	v_lshl_add_u32 v18, 0x100000, v17, -1
	v_lshrrev_b32_e32 v19, v17, v16
	v_lshlrev_b32_e64 v21, v17, 0x80000
	s_delay_alu instid0(VALU_DEP_4) | instskip(NEXT) | instid1(VALU_DEP_4)
	v_add_nc_u32_e32 v17, v17, v15
	v_and_b32_e32 v16, v18, v16
	s_delay_alu instid0(VALU_DEP_4) | instskip(NEXT) | instid1(VALU_DEP_2)
	v_bfe_u32 v20, v19, 20, 1
	v_cmp_eq_u32_e64 s7, v16, v21
	s_delay_alu instid0(VALU_DEP_2) | instskip(NEXT) | instid1(VALU_DEP_1)
	v_add_nc_u32_e32 v18, -1, v20
	v_cndmask_b32_e64 v16, 0, v18, s7
	v_lshrrev_b32_e32 v18, 23, v19
	s_mov_b32 s7, exec_lo
	s_delay_alu instid0(VALU_DEP_2) | instskip(NEXT) | instid1(VALU_DEP_2)
	v_add_nc_u32_e32 v16, v16, v19
	v_xor_b32_e32 v18, 1, v18
	s_delay_alu instid0(VALU_DEP_2) | instskip(NEXT) | instid1(VALU_DEP_1)
	v_and_b32_e32 v15, 0xfffff, v16
	v_add_nc_u32_e32 v16, v15, v19
                                        ; implicit-def: $vgpr15
	s_delay_alu instid0(VALU_DEP_3)
	v_cmpx_ne_u32_e64 v17, v18
	s_xor_b32 s7, exec_lo, s7
; %bb.5519:                             ;   in Loop: Header=BB6_4903 Depth=2
	s_delay_alu instid0(VALU_DEP_2) | instskip(SKIP_2) | instid1(VALU_DEP_2)
	v_cmp_lt_u32_e32 vcc_lo, 0xffffff, v16
	v_sub_nc_u32_e32 v15, v17, v18
	v_cndmask_b32_e64 v17, 0, 1, vcc_lo
	v_add_co_ci_u32_e32 v15, vcc_lo, 0, v15, vcc_lo
	s_delay_alu instid0(VALU_DEP_2)
	v_lshrrev_b32_e32 v16, v17, v16
; %bb.5520:                             ;   in Loop: Header=BB6_4903 Depth=2
	s_and_not1_saveexec_b32 s7, s7
; %bb.5521:                             ;   in Loop: Header=BB6_4903 Depth=2
	s_delay_alu instid0(VALU_DEP_1)
	v_bfe_u32 v15, v16, 23, 1
; %bb.5522:                             ;   in Loop: Header=BB6_4903 Depth=2
	s_or_b32 exec_lo, exec_lo, s7
	v_lshrrev_b32_e32 v16, 20, v16
	s_delay_alu instid0(VALU_DEP_2) | instskip(SKIP_2) | instid1(VALU_DEP_4)
	v_cmp_gt_i32_e32 vcc_lo, 16, v15
	v_lshrrev_b32_e32 v14, 24, v14
	v_min_i32_e32 v17, 15, v15
	v_cndmask_b32_e32 v16, 7, v16, vcc_lo
	s_delay_alu instid0(VALU_DEP_3) | instskip(NEXT) | instid1(VALU_DEP_3)
	v_and_b32_e32 v14, 0x80, v14
	v_lshlrev_b32_e32 v17, 3, v17
	s_delay_alu instid0(VALU_DEP_3) | instskip(SKIP_1) | instid1(VALU_DEP_2)
	v_and_b32_e32 v18, 7, v16
	v_or_b32_e32 v15, v15, v16
	v_or3_b32 v14, v17, v14, v18
	s_delay_alu instid0(VALU_DEP_2) | instskip(NEXT) | instid1(VALU_DEP_2)
	v_cmp_ne_u32_e32 vcc_lo, 0, v15
	v_cndmask_b32_e32 v144, 0, v14, vcc_lo
.LBB6_5523:                             ;   in Loop: Header=BB6_4903 Depth=2
	s_or_b32 exec_lo, exec_lo, s25
.LBB6_5524:                             ;   in Loop: Header=BB6_4903 Depth=2
	s_delay_alu instid0(SALU_CYCLE_1) | instskip(SKIP_3) | instid1(VALU_DEP_1)
	s_or_b32 exec_lo, exec_lo, s24
	v_lshrrev_b32_e32 v14, 24, v10
	s_mov_b32 s7, 0
	s_mov_b32 s25, exec_lo
                                        ; implicit-def: $sgpr24
	v_cmpx_lt_i16_e32 0x7f, v14
	s_xor_b32 s25, exec_lo, s25
	s_cbranch_execnz .LBB6_6906
; %bb.5525:                             ;   in Loop: Header=BB6_4903 Depth=2
	s_or_saveexec_b32 s25, s25
	v_mov_b32_e32 v15, s24
	s_xor_b32 exec_lo, exec_lo, s25
	s_cbranch_execnz .LBB6_6909
.LBB6_5526:                             ;   in Loop: Header=BB6_4903 Depth=2
	s_or_b32 exec_lo, exec_lo, s25
	s_and_saveexec_b32 s24, s7
	s_cbranch_execz .LBB6_5528
.LBB6_5527:                             ;   in Loop: Header=BB6_4903 Depth=2
	v_bfe_u32 v15, v10, 24, 3
	s_delay_alu instid0(VALU_DEP_1) | instskip(NEXT) | instid1(VALU_DEP_1)
	v_clz_i32_u32_e32 v16, v15
	v_min_u32_e32 v16, 32, v16
	s_delay_alu instid0(VALU_DEP_1) | instskip(SKIP_1) | instid1(VALU_DEP_2)
	v_subrev_nc_u32_e32 v17, 28, v16
	v_sub_nc_u32_e32 v16, 29, v16
	v_lshlrev_b32_e32 v14, v17, v14
	v_bfe_u32 v17, v10, 27, 4
	v_and_b32_e32 v10, 0x80000000, v10
	s_delay_alu instid0(VALU_DEP_3) | instskip(NEXT) | instid1(VALU_DEP_3)
	v_and_b32_e32 v14, 7, v14
	v_cmp_eq_u32_e32 vcc_lo, 0, v17
	v_cndmask_b32_e32 v16, v17, v16, vcc_lo
	s_delay_alu instid0(VALU_DEP_3) | instskip(NEXT) | instid1(VALU_DEP_2)
	v_cndmask_b32_e32 v14, v15, v14, vcc_lo
	v_lshl_add_u32 v15, v16, 23, 0x3b800000
	s_delay_alu instid0(VALU_DEP_2) | instskip(NEXT) | instid1(VALU_DEP_1)
	v_lshlrev_b32_e32 v14, 20, v14
	v_or3_b32 v15, v10, v15, v14
.LBB6_5528:                             ;   in Loop: Header=BB6_4903 Depth=2
	s_or_b32 exec_lo, exec_lo, s24
	s_delay_alu instid0(VALU_DEP_1) | instskip(SKIP_2) | instid1(VALU_DEP_2)
	v_mul_f32_e32 v10, s23, v15
	v_mov_b32_e32 v134, 0x80
	s_mov_b32 s24, exec_lo
	v_and_b32_e32 v14, 0x7f800000, v10
	s_delay_alu instid0(VALU_DEP_1)
	v_cmpx_ne_u32_e32 0x7f800000, v14
	s_cbranch_execz .LBB6_5536
; %bb.5529:                             ;   in Loop: Header=BB6_4903 Depth=2
	v_mov_b32_e32 v134, 0
	s_mov_b32 s25, exec_lo
	v_cmpx_ne_u32_e32 0, v10
	s_cbranch_execz .LBB6_5535
; %bb.5530:                             ;   in Loop: Header=BB6_4903 Depth=2
	v_bfe_u32 v14, v10, 23, 8
	s_delay_alu instid0(VALU_DEP_1) | instskip(SKIP_1) | instid1(VALU_DEP_2)
	v_sub_nc_u32_e32 v16, 0x78, v14
	v_cmp_gt_u32_e32 vcc_lo, 0x79, v14
	v_dual_cndmask_b32 v16, 0, v16 :: v_dual_and_b32 v15, 0x7fffff, v10
	s_delay_alu instid0(VALU_DEP_1) | instskip(SKIP_2) | instid1(VALU_DEP_4)
	v_or_b32_e32 v17, 0x800000, v15
	v_cmp_eq_u32_e32 vcc_lo, 0, v14
	v_add_nc_u32_e32 v14, 0xffffff89, v14
	v_cndmask_b32_e64 v16, v16, 0x77, vcc_lo
	s_delay_alu instid0(VALU_DEP_4) | instskip(NEXT) | instid1(VALU_DEP_3)
	v_cndmask_b32_e32 v15, v17, v15, vcc_lo
	v_cndmask_b32_e64 v14, v14, 0xffffff8a, vcc_lo
	s_delay_alu instid0(VALU_DEP_3) | instskip(NEXT) | instid1(VALU_DEP_3)
	v_lshl_add_u32 v17, 0x100000, v16, -1
	v_lshrrev_b32_e32 v18, v16, v15
	v_lshlrev_b32_e64 v20, v16, 0x80000
	s_delay_alu instid0(VALU_DEP_4) | instskip(NEXT) | instid1(VALU_DEP_4)
	v_add_nc_u32_e32 v16, v16, v14
	v_and_b32_e32 v15, v17, v15
	s_delay_alu instid0(VALU_DEP_4) | instskip(NEXT) | instid1(VALU_DEP_2)
	v_bfe_u32 v19, v18, 20, 1
	v_cmp_eq_u32_e64 s7, v15, v20
	s_delay_alu instid0(VALU_DEP_2) | instskip(NEXT) | instid1(VALU_DEP_1)
	v_add_nc_u32_e32 v17, -1, v19
	v_cndmask_b32_e64 v15, 0, v17, s7
	v_lshrrev_b32_e32 v17, 23, v18
	s_mov_b32 s7, exec_lo
	s_delay_alu instid0(VALU_DEP_2) | instskip(NEXT) | instid1(VALU_DEP_2)
	v_add_nc_u32_e32 v15, v15, v18
	v_xor_b32_e32 v17, 1, v17
	s_delay_alu instid0(VALU_DEP_2) | instskip(NEXT) | instid1(VALU_DEP_1)
	v_and_b32_e32 v14, 0xfffff, v15
	v_add_nc_u32_e32 v15, v14, v18
                                        ; implicit-def: $vgpr14
	s_delay_alu instid0(VALU_DEP_3)
	v_cmpx_ne_u32_e64 v16, v17
	s_xor_b32 s7, exec_lo, s7
; %bb.5531:                             ;   in Loop: Header=BB6_4903 Depth=2
	s_delay_alu instid0(VALU_DEP_2) | instskip(SKIP_2) | instid1(VALU_DEP_2)
	v_cmp_lt_u32_e32 vcc_lo, 0xffffff, v15
	v_sub_nc_u32_e32 v14, v16, v17
	v_cndmask_b32_e64 v16, 0, 1, vcc_lo
	v_add_co_ci_u32_e32 v14, vcc_lo, 0, v14, vcc_lo
	s_delay_alu instid0(VALU_DEP_2)
	v_lshrrev_b32_e32 v15, v16, v15
; %bb.5532:                             ;   in Loop: Header=BB6_4903 Depth=2
	s_and_not1_saveexec_b32 s7, s7
; %bb.5533:                             ;   in Loop: Header=BB6_4903 Depth=2
	s_delay_alu instid0(VALU_DEP_1)
	v_bfe_u32 v14, v15, 23, 1
; %bb.5534:                             ;   in Loop: Header=BB6_4903 Depth=2
	s_or_b32 exec_lo, exec_lo, s7
	v_lshrrev_b32_e32 v15, 20, v15
	s_delay_alu instid0(VALU_DEP_2) | instskip(SKIP_2) | instid1(VALU_DEP_2)
	v_cmp_gt_i32_e32 vcc_lo, 16, v14
	v_lshrrev_b32_e32 v10, 24, v10
	v_min_i32_e32 v16, 15, v14
	v_dual_cndmask_b32 v15, 7, v15 :: v_dual_and_b32 v10, 0x80, v10
	s_delay_alu instid0(VALU_DEP_2) | instskip(NEXT) | instid1(VALU_DEP_2)
	v_lshlrev_b32_e32 v16, 3, v16
	v_or_b32_e32 v14, v14, v15
	s_delay_alu instid0(VALU_DEP_1) | instskip(SKIP_1) | instid1(VALU_DEP_1)
	v_cmp_ne_u32_e32 vcc_lo, 0, v14
	v_and_b32_e32 v17, 7, v15
	v_or3_b32 v10, v16, v10, v17
	s_delay_alu instid0(VALU_DEP_1)
	v_cndmask_b32_e32 v134, 0, v10, vcc_lo
.LBB6_5535:                             ;   in Loop: Header=BB6_4903 Depth=2
	s_or_b32 exec_lo, exec_lo, s25
.LBB6_5536:                             ;   in Loop: Header=BB6_4903 Depth=2
	s_delay_alu instid0(SALU_CYCLE_1) | instskip(SKIP_3) | instid1(VALU_DEP_1)
	s_or_b32 exec_lo, exec_lo, s24
	v_and_b32_e32 v14, 0xff, v11
	s_mov_b32 s7, 0
	s_mov_b32 s25, exec_lo
                                        ; implicit-def: $sgpr24
	v_cmpx_lt_i16_e32 0x7f, v14
	s_xor_b32 s25, exec_lo, s25
	s_cbranch_execnz .LBB6_6910
; %bb.5537:                             ;   in Loop: Header=BB6_4903 Depth=2
	s_or_saveexec_b32 s25, s25
	v_mov_b32_e32 v10, s24
	s_xor_b32 exec_lo, exec_lo, s25
	s_cbranch_execnz .LBB6_6913
.LBB6_5538:                             ;   in Loop: Header=BB6_4903 Depth=2
	s_or_b32 exec_lo, exec_lo, s25
	s_and_saveexec_b32 s24, s7
	s_cbranch_execz .LBB6_5540
.LBB6_5539:                             ;   in Loop: Header=BB6_4903 Depth=2
	v_and_b32_e32 v10, 7, v11
	v_bfe_u32 v16, v11, 3, 4
	v_lshlrev_b32_e32 v17, 24, v11
	s_delay_alu instid0(VALU_DEP_3) | instskip(NEXT) | instid1(VALU_DEP_3)
	v_clz_i32_u32_e32 v14, v10
	v_cmp_eq_u32_e32 vcc_lo, 0, v16
	s_delay_alu instid0(VALU_DEP_2) | instskip(NEXT) | instid1(VALU_DEP_1)
	v_min_u32_e32 v14, 32, v14
	v_subrev_nc_u32_e32 v15, 28, v14
	v_sub_nc_u32_e32 v14, 29, v14
	s_delay_alu instid0(VALU_DEP_1) | instskip(NEXT) | instid1(VALU_DEP_1)
	v_dual_cndmask_b32 v14, v16, v14 :: v_dual_lshlrev_b32 v15, v15, v11
	v_and_b32_e32 v15, 7, v15
	s_delay_alu instid0(VALU_DEP_2) | instskip(NEXT) | instid1(VALU_DEP_2)
	v_lshl_add_u32 v14, v14, 23, 0x3b800000
	v_dual_cndmask_b32 v10, v10, v15 :: v_dual_and_b32 v15, 0x80000000, v17
	s_delay_alu instid0(VALU_DEP_1) | instskip(NEXT) | instid1(VALU_DEP_1)
	v_lshlrev_b32_e32 v10, 20, v10
	v_or3_b32 v10, v15, v14, v10
.LBB6_5540:                             ;   in Loop: Header=BB6_4903 Depth=2
	s_or_b32 exec_lo, exec_lo, s24
	s_delay_alu instid0(VALU_DEP_1) | instskip(SKIP_1) | instid1(VALU_DEP_1)
	v_dual_mul_f32 v10, s23, v10 :: v_dual_mov_b32 v133, 0x80
	s_mov_b32 s24, exec_lo
	v_and_b32_e32 v14, 0x7f800000, v10
	s_delay_alu instid0(VALU_DEP_1)
	v_cmpx_ne_u32_e32 0x7f800000, v14
	s_cbranch_execz .LBB6_5548
; %bb.5541:                             ;   in Loop: Header=BB6_4903 Depth=2
	v_mov_b32_e32 v133, 0
	s_mov_b32 s25, exec_lo
	v_cmpx_ne_u32_e32 0, v10
	s_cbranch_execz .LBB6_5547
; %bb.5542:                             ;   in Loop: Header=BB6_4903 Depth=2
	v_bfe_u32 v14, v10, 23, 8
	s_delay_alu instid0(VALU_DEP_1) | instskip(SKIP_1) | instid1(VALU_DEP_2)
	v_sub_nc_u32_e32 v16, 0x78, v14
	v_cmp_gt_u32_e32 vcc_lo, 0x79, v14
	v_dual_cndmask_b32 v16, 0, v16 :: v_dual_and_b32 v15, 0x7fffff, v10
	s_delay_alu instid0(VALU_DEP_1) | instskip(SKIP_2) | instid1(VALU_DEP_4)
	v_or_b32_e32 v17, 0x800000, v15
	v_cmp_eq_u32_e32 vcc_lo, 0, v14
	v_add_nc_u32_e32 v14, 0xffffff89, v14
	v_cndmask_b32_e64 v16, v16, 0x77, vcc_lo
	s_delay_alu instid0(VALU_DEP_4) | instskip(NEXT) | instid1(VALU_DEP_3)
	v_cndmask_b32_e32 v15, v17, v15, vcc_lo
	v_cndmask_b32_e64 v14, v14, 0xffffff8a, vcc_lo
	s_delay_alu instid0(VALU_DEP_3) | instskip(NEXT) | instid1(VALU_DEP_3)
	v_lshl_add_u32 v17, 0x100000, v16, -1
	v_lshrrev_b32_e32 v18, v16, v15
	v_lshlrev_b32_e64 v20, v16, 0x80000
	s_delay_alu instid0(VALU_DEP_4) | instskip(NEXT) | instid1(VALU_DEP_4)
	v_add_nc_u32_e32 v16, v16, v14
	v_and_b32_e32 v15, v17, v15
	s_delay_alu instid0(VALU_DEP_4) | instskip(NEXT) | instid1(VALU_DEP_2)
	v_bfe_u32 v19, v18, 20, 1
	v_cmp_eq_u32_e64 s7, v15, v20
	s_delay_alu instid0(VALU_DEP_2) | instskip(NEXT) | instid1(VALU_DEP_1)
	v_add_nc_u32_e32 v17, -1, v19
	v_cndmask_b32_e64 v15, 0, v17, s7
	v_lshrrev_b32_e32 v17, 23, v18
	s_mov_b32 s7, exec_lo
	s_delay_alu instid0(VALU_DEP_2) | instskip(NEXT) | instid1(VALU_DEP_2)
	v_add_nc_u32_e32 v15, v15, v18
	v_xor_b32_e32 v17, 1, v17
	s_delay_alu instid0(VALU_DEP_2) | instskip(NEXT) | instid1(VALU_DEP_1)
	v_and_b32_e32 v14, 0xfffff, v15
	v_add_nc_u32_e32 v15, v14, v18
                                        ; implicit-def: $vgpr14
	s_delay_alu instid0(VALU_DEP_3)
	v_cmpx_ne_u32_e64 v16, v17
	s_xor_b32 s7, exec_lo, s7
; %bb.5543:                             ;   in Loop: Header=BB6_4903 Depth=2
	s_delay_alu instid0(VALU_DEP_2) | instskip(SKIP_2) | instid1(VALU_DEP_2)
	v_cmp_lt_u32_e32 vcc_lo, 0xffffff, v15
	v_sub_nc_u32_e32 v14, v16, v17
	v_cndmask_b32_e64 v16, 0, 1, vcc_lo
	v_add_co_ci_u32_e32 v14, vcc_lo, 0, v14, vcc_lo
	s_delay_alu instid0(VALU_DEP_2)
	v_lshrrev_b32_e32 v15, v16, v15
; %bb.5544:                             ;   in Loop: Header=BB6_4903 Depth=2
	s_and_not1_saveexec_b32 s7, s7
; %bb.5545:                             ;   in Loop: Header=BB6_4903 Depth=2
	s_delay_alu instid0(VALU_DEP_1)
	v_bfe_u32 v14, v15, 23, 1
; %bb.5546:                             ;   in Loop: Header=BB6_4903 Depth=2
	s_or_b32 exec_lo, exec_lo, s7
	v_lshrrev_b32_e32 v15, 20, v15
	s_delay_alu instid0(VALU_DEP_2) | instskip(SKIP_2) | instid1(VALU_DEP_2)
	v_cmp_gt_i32_e32 vcc_lo, 16, v14
	v_min_i32_e32 v16, 15, v14
	v_lshrrev_b32_e32 v10, 24, v10
	v_dual_cndmask_b32 v15, 7, v15 :: v_dual_lshlrev_b32 v16, 3, v16
	s_delay_alu instid0(VALU_DEP_2) | instskip(NEXT) | instid1(VALU_DEP_2)
	v_and_b32_e32 v10, 0x80, v10
	v_or_b32_e32 v14, v14, v15
	v_and_b32_e32 v17, 7, v15
	s_delay_alu instid0(VALU_DEP_2) | instskip(SKIP_1) | instid1(VALU_DEP_1)
	v_cmp_ne_u32_e32 vcc_lo, 0, v14
	v_and_b32_e32 v16, 0xf8, v16
	v_or3_b32 v10, v16, v10, v17
	s_delay_alu instid0(VALU_DEP_1)
	v_cndmask_b32_e32 v133, 0, v10, vcc_lo
.LBB6_5547:                             ;   in Loop: Header=BB6_4903 Depth=2
	s_or_b32 exec_lo, exec_lo, s25
.LBB6_5548:                             ;   in Loop: Header=BB6_4903 Depth=2
	s_delay_alu instid0(SALU_CYCLE_1) | instskip(SKIP_3) | instid1(VALU_DEP_1)
	s_or_b32 exec_lo, exec_lo, s24
	v_lshrrev_b16 v10, 8, v11
	s_mov_b32 s7, 0
	s_mov_b32 s25, exec_lo
                                        ; implicit-def: $sgpr24
	v_cmpx_lt_i16_e32 0x7f, v10
	s_xor_b32 s25, exec_lo, s25
	s_cbranch_execnz .LBB6_6914
; %bb.5549:                             ;   in Loop: Header=BB6_4903 Depth=2
	s_or_saveexec_b32 s25, s25
	v_mov_b32_e32 v14, s24
	s_xor_b32 exec_lo, exec_lo, s25
	s_cbranch_execnz .LBB6_6917
.LBB6_5550:                             ;   in Loop: Header=BB6_4903 Depth=2
	s_or_b32 exec_lo, exec_lo, s25
	s_and_saveexec_b32 s24, s7
	s_cbranch_execz .LBB6_5552
.LBB6_5551:                             ;   in Loop: Header=BB6_4903 Depth=2
	v_and_b32_e32 v14, 0xffff, v10
	v_lshlrev_b32_e32 v10, 24, v10
	s_delay_alu instid0(VALU_DEP_2) | instskip(NEXT) | instid1(VALU_DEP_2)
	v_and_b32_e32 v15, 7, v14
	v_and_b32_e32 v10, 0x80000000, v10
	s_delay_alu instid0(VALU_DEP_2) | instskip(NEXT) | instid1(VALU_DEP_1)
	v_clz_i32_u32_e32 v16, v15
	v_min_u32_e32 v16, 32, v16
	s_delay_alu instid0(VALU_DEP_1) | instskip(SKIP_1) | instid1(VALU_DEP_2)
	v_subrev_nc_u32_e32 v17, 28, v16
	v_sub_nc_u32_e32 v16, 29, v16
	v_lshlrev_b32_e32 v17, v17, v14
	v_bfe_u32 v14, v14, 3, 4
	s_delay_alu instid0(VALU_DEP_2) | instskip(NEXT) | instid1(VALU_DEP_2)
	v_and_b32_e32 v17, 7, v17
	v_cmp_eq_u32_e32 vcc_lo, 0, v14
	s_delay_alu instid0(VALU_DEP_2) | instskip(NEXT) | instid1(VALU_DEP_1)
	v_dual_cndmask_b32 v14, v14, v16 :: v_dual_cndmask_b32 v15, v15, v17
	v_lshl_add_u32 v14, v14, 23, 0x3b800000
	s_delay_alu instid0(VALU_DEP_2) | instskip(NEXT) | instid1(VALU_DEP_1)
	v_lshlrev_b32_e32 v15, 20, v15
	v_or3_b32 v14, v10, v14, v15
.LBB6_5552:                             ;   in Loop: Header=BB6_4903 Depth=2
	s_or_b32 exec_lo, exec_lo, s24
	s_delay_alu instid0(VALU_DEP_1) | instskip(SKIP_1) | instid1(VALU_DEP_1)
	v_dual_mul_f32 v10, s23, v14 :: v_dual_mov_b32 v147, 0x8000
	s_mov_b32 s24, exec_lo
	v_and_b32_e32 v14, 0x7f800000, v10
	s_delay_alu instid0(VALU_DEP_1)
	v_cmpx_ne_u32_e32 0x7f800000, v14
	s_cbranch_execz .LBB6_5560
; %bb.5553:                             ;   in Loop: Header=BB6_4903 Depth=2
	v_mov_b32_e32 v147, 0
	s_mov_b32 s25, exec_lo
	v_cmpx_ne_u32_e32 0, v10
	s_cbranch_execz .LBB6_5559
; %bb.5554:                             ;   in Loop: Header=BB6_4903 Depth=2
	v_bfe_u32 v14, v10, 23, 8
	s_delay_alu instid0(VALU_DEP_1) | instskip(SKIP_1) | instid1(VALU_DEP_2)
	v_sub_nc_u32_e32 v16, 0x78, v14
	v_cmp_gt_u32_e32 vcc_lo, 0x79, v14
	v_dual_cndmask_b32 v16, 0, v16 :: v_dual_and_b32 v15, 0x7fffff, v10
	s_delay_alu instid0(VALU_DEP_1) | instskip(SKIP_2) | instid1(VALU_DEP_4)
	v_or_b32_e32 v17, 0x800000, v15
	v_cmp_eq_u32_e32 vcc_lo, 0, v14
	v_add_nc_u32_e32 v14, 0xffffff89, v14
	v_cndmask_b32_e64 v16, v16, 0x77, vcc_lo
	s_delay_alu instid0(VALU_DEP_4) | instskip(NEXT) | instid1(VALU_DEP_3)
	v_cndmask_b32_e32 v15, v17, v15, vcc_lo
	v_cndmask_b32_e64 v14, v14, 0xffffff8a, vcc_lo
	s_delay_alu instid0(VALU_DEP_3) | instskip(NEXT) | instid1(VALU_DEP_3)
	v_lshl_add_u32 v17, 0x100000, v16, -1
	v_lshrrev_b32_e32 v18, v16, v15
	v_lshlrev_b32_e64 v20, v16, 0x80000
	s_delay_alu instid0(VALU_DEP_4) | instskip(NEXT) | instid1(VALU_DEP_4)
	v_add_nc_u32_e32 v16, v16, v14
	v_and_b32_e32 v15, v17, v15
	s_delay_alu instid0(VALU_DEP_4) | instskip(NEXT) | instid1(VALU_DEP_2)
	v_bfe_u32 v19, v18, 20, 1
	v_cmp_eq_u32_e64 s7, v15, v20
	s_delay_alu instid0(VALU_DEP_2) | instskip(NEXT) | instid1(VALU_DEP_1)
	v_add_nc_u32_e32 v17, -1, v19
	v_cndmask_b32_e64 v15, 0, v17, s7
	v_lshrrev_b32_e32 v17, 23, v18
	s_mov_b32 s7, exec_lo
	s_delay_alu instid0(VALU_DEP_2) | instskip(NEXT) | instid1(VALU_DEP_2)
	v_add_nc_u32_e32 v15, v15, v18
	v_xor_b32_e32 v17, 1, v17
	s_delay_alu instid0(VALU_DEP_2) | instskip(NEXT) | instid1(VALU_DEP_1)
	v_and_b32_e32 v14, 0xfffff, v15
	v_add_nc_u32_e32 v15, v14, v18
                                        ; implicit-def: $vgpr14
	s_delay_alu instid0(VALU_DEP_3)
	v_cmpx_ne_u32_e64 v16, v17
	s_xor_b32 s7, exec_lo, s7
; %bb.5555:                             ;   in Loop: Header=BB6_4903 Depth=2
	s_delay_alu instid0(VALU_DEP_2) | instskip(SKIP_2) | instid1(VALU_DEP_2)
	v_cmp_lt_u32_e32 vcc_lo, 0xffffff, v15
	v_sub_nc_u32_e32 v14, v16, v17
	v_cndmask_b32_e64 v16, 0, 1, vcc_lo
	v_add_co_ci_u32_e32 v14, vcc_lo, 0, v14, vcc_lo
	s_delay_alu instid0(VALU_DEP_2)
	v_lshrrev_b32_e32 v15, v16, v15
; %bb.5556:                             ;   in Loop: Header=BB6_4903 Depth=2
	s_and_not1_saveexec_b32 s7, s7
; %bb.5557:                             ;   in Loop: Header=BB6_4903 Depth=2
	s_delay_alu instid0(VALU_DEP_1)
	v_bfe_u32 v14, v15, 23, 1
; %bb.5558:                             ;   in Loop: Header=BB6_4903 Depth=2
	s_or_b32 exec_lo, exec_lo, s7
	v_lshrrev_b32_e32 v15, 20, v15
	s_delay_alu instid0(VALU_DEP_2) | instskip(SKIP_2) | instid1(VALU_DEP_2)
	v_cmp_gt_i32_e32 vcc_lo, 16, v14
	v_min_i32_e32 v16, 15, v14
	v_lshrrev_b32_e32 v10, 24, v10
	v_dual_cndmask_b32 v15, 7, v15 :: v_dual_lshlrev_b32 v16, 3, v16
	s_delay_alu instid0(VALU_DEP_2) | instskip(NEXT) | instid1(VALU_DEP_2)
	v_and_b32_e32 v10, 0x80, v10
	v_or_b32_e32 v14, v14, v15
	v_and_b32_e32 v17, 7, v15
	s_delay_alu instid0(VALU_DEP_2) | instskip(SKIP_1) | instid1(VALU_DEP_1)
	v_cmp_ne_u32_e32 vcc_lo, 0, v14
	v_and_b32_e32 v16, 0xf8, v16
	v_or3_b32 v10, v10, v16, v17
	s_delay_alu instid0(VALU_DEP_1) | instskip(NEXT) | instid1(VALU_DEP_1)
	v_lshlrev_b32_e32 v10, 8, v10
	v_cndmask_b32_e32 v147, 0, v10, vcc_lo
.LBB6_5559:                             ;   in Loop: Header=BB6_4903 Depth=2
	s_or_b32 exec_lo, exec_lo, s25
.LBB6_5560:                             ;   in Loop: Header=BB6_4903 Depth=2
	s_delay_alu instid0(SALU_CYCLE_1) | instskip(SKIP_3) | instid1(VALU_DEP_1)
	s_or_b32 exec_lo, exec_lo, s24
	v_lshrrev_b32_e32 v10, 16, v11
	s_mov_b32 s7, 0
	s_mov_b32 s25, exec_lo
                                        ; implicit-def: $sgpr24
	v_and_b32_e32 v15, 0xff, v10
	s_delay_alu instid0(VALU_DEP_1)
	v_cmpx_lt_i16_e32 0x7f, v15
	s_xor_b32 s25, exec_lo, s25
	s_cbranch_execnz .LBB6_6918
; %bb.5561:                             ;   in Loop: Header=BB6_4903 Depth=2
	s_or_saveexec_b32 s25, s25
	v_mov_b32_e32 v14, s24
	s_xor_b32 exec_lo, exec_lo, s25
	s_cbranch_execnz .LBB6_6921
.LBB6_5562:                             ;   in Loop: Header=BB6_4903 Depth=2
	s_or_b32 exec_lo, exec_lo, s25
	s_and_saveexec_b32 s24, s7
	s_cbranch_execz .LBB6_5564
.LBB6_5563:                             ;   in Loop: Header=BB6_4903 Depth=2
	v_bfe_u32 v14, v11, 16, 3
	s_delay_alu instid0(VALU_DEP_1) | instskip(NEXT) | instid1(VALU_DEP_1)
	v_clz_i32_u32_e32 v15, v14
	v_min_u32_e32 v15, 32, v15
	s_delay_alu instid0(VALU_DEP_1) | instskip(SKIP_1) | instid1(VALU_DEP_2)
	v_subrev_nc_u32_e32 v16, 28, v15
	v_sub_nc_u32_e32 v15, 29, v15
	v_lshlrev_b32_e32 v10, v16, v10
	v_bfe_u32 v16, v11, 19, 4
	s_delay_alu instid0(VALU_DEP_1) | instskip(NEXT) | instid1(VALU_DEP_3)
	v_cmp_eq_u32_e32 vcc_lo, 0, v16
	v_dual_cndmask_b32 v15, v16, v15 :: v_dual_and_b32 v10, 7, v10
	s_delay_alu instid0(VALU_DEP_1) | instskip(NEXT) | instid1(VALU_DEP_2)
	v_dual_cndmask_b32 v10, v14, v10 :: v_dual_lshlrev_b32 v17, 8, v11
	v_lshl_add_u32 v15, v15, 23, 0x3b800000
	s_delay_alu instid0(VALU_DEP_2) | instskip(NEXT) | instid1(VALU_DEP_3)
	v_and_b32_e32 v14, 0x80000000, v17
	v_lshlrev_b32_e32 v10, 20, v10
	s_delay_alu instid0(VALU_DEP_1)
	v_or3_b32 v14, v14, v15, v10
.LBB6_5564:                             ;   in Loop: Header=BB6_4903 Depth=2
	s_or_b32 exec_lo, exec_lo, s24
	s_delay_alu instid0(VALU_DEP_1) | instskip(SKIP_2) | instid1(VALU_DEP_2)
	v_mul_f32_e32 v10, s23, v14
	v_mov_b32_e32 v132, 0x80
	s_mov_b32 s24, exec_lo
	v_and_b32_e32 v14, 0x7f800000, v10
	s_delay_alu instid0(VALU_DEP_1)
	v_cmpx_ne_u32_e32 0x7f800000, v14
	s_cbranch_execz .LBB6_5572
; %bb.5565:                             ;   in Loop: Header=BB6_4903 Depth=2
	v_mov_b32_e32 v132, 0
	s_mov_b32 s25, exec_lo
	v_cmpx_ne_u32_e32 0, v10
	s_cbranch_execz .LBB6_5571
; %bb.5566:                             ;   in Loop: Header=BB6_4903 Depth=2
	v_bfe_u32 v14, v10, 23, 8
	s_delay_alu instid0(VALU_DEP_1) | instskip(SKIP_1) | instid1(VALU_DEP_2)
	v_sub_nc_u32_e32 v16, 0x78, v14
	v_cmp_gt_u32_e32 vcc_lo, 0x79, v14
	v_dual_cndmask_b32 v16, 0, v16 :: v_dual_and_b32 v15, 0x7fffff, v10
	s_delay_alu instid0(VALU_DEP_1) | instskip(SKIP_2) | instid1(VALU_DEP_4)
	v_or_b32_e32 v17, 0x800000, v15
	v_cmp_eq_u32_e32 vcc_lo, 0, v14
	v_add_nc_u32_e32 v14, 0xffffff89, v14
	v_cndmask_b32_e64 v16, v16, 0x77, vcc_lo
	s_delay_alu instid0(VALU_DEP_4) | instskip(NEXT) | instid1(VALU_DEP_3)
	v_cndmask_b32_e32 v15, v17, v15, vcc_lo
	v_cndmask_b32_e64 v14, v14, 0xffffff8a, vcc_lo
	s_delay_alu instid0(VALU_DEP_3) | instskip(NEXT) | instid1(VALU_DEP_3)
	v_lshl_add_u32 v17, 0x100000, v16, -1
	v_lshrrev_b32_e32 v18, v16, v15
	v_lshlrev_b32_e64 v20, v16, 0x80000
	s_delay_alu instid0(VALU_DEP_4) | instskip(NEXT) | instid1(VALU_DEP_4)
	v_add_nc_u32_e32 v16, v16, v14
	v_and_b32_e32 v15, v17, v15
	s_delay_alu instid0(VALU_DEP_4) | instskip(NEXT) | instid1(VALU_DEP_2)
	v_bfe_u32 v19, v18, 20, 1
	v_cmp_eq_u32_e64 s7, v15, v20
	s_delay_alu instid0(VALU_DEP_2) | instskip(NEXT) | instid1(VALU_DEP_1)
	v_add_nc_u32_e32 v17, -1, v19
	v_cndmask_b32_e64 v15, 0, v17, s7
	v_lshrrev_b32_e32 v17, 23, v18
	s_mov_b32 s7, exec_lo
	s_delay_alu instid0(VALU_DEP_2) | instskip(NEXT) | instid1(VALU_DEP_2)
	v_add_nc_u32_e32 v15, v15, v18
	v_xor_b32_e32 v17, 1, v17
	s_delay_alu instid0(VALU_DEP_2) | instskip(NEXT) | instid1(VALU_DEP_1)
	v_and_b32_e32 v14, 0xfffff, v15
	v_add_nc_u32_e32 v15, v14, v18
                                        ; implicit-def: $vgpr14
	s_delay_alu instid0(VALU_DEP_3)
	v_cmpx_ne_u32_e64 v16, v17
	s_xor_b32 s7, exec_lo, s7
; %bb.5567:                             ;   in Loop: Header=BB6_4903 Depth=2
	s_delay_alu instid0(VALU_DEP_2) | instskip(SKIP_2) | instid1(VALU_DEP_2)
	v_cmp_lt_u32_e32 vcc_lo, 0xffffff, v15
	v_sub_nc_u32_e32 v14, v16, v17
	v_cndmask_b32_e64 v16, 0, 1, vcc_lo
	v_add_co_ci_u32_e32 v14, vcc_lo, 0, v14, vcc_lo
	s_delay_alu instid0(VALU_DEP_2)
	v_lshrrev_b32_e32 v15, v16, v15
; %bb.5568:                             ;   in Loop: Header=BB6_4903 Depth=2
	s_and_not1_saveexec_b32 s7, s7
; %bb.5569:                             ;   in Loop: Header=BB6_4903 Depth=2
	s_delay_alu instid0(VALU_DEP_1)
	v_bfe_u32 v14, v15, 23, 1
; %bb.5570:                             ;   in Loop: Header=BB6_4903 Depth=2
	s_or_b32 exec_lo, exec_lo, s7
	v_lshrrev_b32_e32 v15, 20, v15
	s_delay_alu instid0(VALU_DEP_2) | instskip(SKIP_2) | instid1(VALU_DEP_2)
	v_cmp_gt_i32_e32 vcc_lo, 16, v14
	v_min_i32_e32 v16, 15, v14
	v_lshrrev_b32_e32 v10, 24, v10
	v_dual_cndmask_b32 v15, 7, v15 :: v_dual_lshlrev_b32 v16, 3, v16
	s_delay_alu instid0(VALU_DEP_2) | instskip(NEXT) | instid1(VALU_DEP_2)
	v_and_b32_e32 v10, 0x80, v10
	v_or_b32_e32 v14, v14, v15
	s_delay_alu instid0(VALU_DEP_3) | instskip(NEXT) | instid1(VALU_DEP_2)
	v_and_b32_e32 v16, 0xf8, v16
	v_cmp_ne_u32_e32 vcc_lo, 0, v14
	v_and_b32_e32 v17, 7, v15
	s_delay_alu instid0(VALU_DEP_1) | instskip(NEXT) | instid1(VALU_DEP_1)
	v_or3_b32 v10, v16, v10, v17
	v_cndmask_b32_e32 v132, 0, v10, vcc_lo
.LBB6_5571:                             ;   in Loop: Header=BB6_4903 Depth=2
	s_or_b32 exec_lo, exec_lo, s25
.LBB6_5572:                             ;   in Loop: Header=BB6_4903 Depth=2
	s_delay_alu instid0(SALU_CYCLE_1) | instskip(SKIP_3) | instid1(VALU_DEP_1)
	s_or_b32 exec_lo, exec_lo, s24
	v_lshrrev_b32_e32 v10, 24, v11
	s_mov_b32 s7, 0
	s_mov_b32 s25, exec_lo
                                        ; implicit-def: $sgpr24
	v_cmpx_lt_i16_e32 0x7f, v10
	s_xor_b32 s25, exec_lo, s25
	s_cbranch_execnz .LBB6_6922
; %bb.5573:                             ;   in Loop: Header=BB6_4903 Depth=2
	s_or_saveexec_b32 s25, s25
	v_mov_b32_e32 v14, s24
	s_xor_b32 exec_lo, exec_lo, s25
	s_cbranch_execnz .LBB6_6925
.LBB6_5574:                             ;   in Loop: Header=BB6_4903 Depth=2
	s_or_b32 exec_lo, exec_lo, s25
	s_and_saveexec_b32 s24, s7
	s_cbranch_execz .LBB6_5576
.LBB6_5575:                             ;   in Loop: Header=BB6_4903 Depth=2
	v_bfe_u32 v14, v11, 24, 3
	s_delay_alu instid0(VALU_DEP_1) | instskip(NEXT) | instid1(VALU_DEP_1)
	v_clz_i32_u32_e32 v15, v14
	v_min_u32_e32 v15, 32, v15
	s_delay_alu instid0(VALU_DEP_1) | instskip(SKIP_1) | instid1(VALU_DEP_2)
	v_subrev_nc_u32_e32 v16, 28, v15
	v_sub_nc_u32_e32 v15, 29, v15
	v_lshlrev_b32_e32 v10, v16, v10
	v_bfe_u32 v16, v11, 27, 4
	v_and_b32_e32 v11, 0x80000000, v11
	s_delay_alu instid0(VALU_DEP_2) | instskip(NEXT) | instid1(VALU_DEP_4)
	v_cmp_eq_u32_e32 vcc_lo, 0, v16
	v_dual_cndmask_b32 v15, v16, v15 :: v_dual_and_b32 v10, 7, v10
	s_delay_alu instid0(VALU_DEP_1) | instskip(NEXT) | instid1(VALU_DEP_2)
	v_cndmask_b32_e32 v10, v14, v10, vcc_lo
	v_lshl_add_u32 v14, v15, 23, 0x3b800000
	s_delay_alu instid0(VALU_DEP_2) | instskip(NEXT) | instid1(VALU_DEP_1)
	v_lshlrev_b32_e32 v10, 20, v10
	v_or3_b32 v14, v11, v14, v10
.LBB6_5576:                             ;   in Loop: Header=BB6_4903 Depth=2
	s_or_b32 exec_lo, exec_lo, s24
	s_delay_alu instid0(VALU_DEP_1) | instskip(SKIP_1) | instid1(VALU_DEP_1)
	v_dual_mul_f32 v10, s23, v14 :: v_dual_mov_b32 v135, 0x8000
	s_mov_b32 s24, exec_lo
	v_and_b32_e32 v11, 0x7f800000, v10
	s_delay_alu instid0(VALU_DEP_1)
	v_cmpx_ne_u32_e32 0x7f800000, v11
	s_cbranch_execz .LBB6_5584
; %bb.5577:                             ;   in Loop: Header=BB6_4903 Depth=2
	v_mov_b32_e32 v135, 0
	s_mov_b32 s25, exec_lo
	v_cmpx_ne_u32_e32 0, v10
	s_cbranch_execz .LBB6_5583
; %bb.5578:                             ;   in Loop: Header=BB6_4903 Depth=2
	v_bfe_u32 v11, v10, 23, 8
	s_delay_alu instid0(VALU_DEP_1) | instskip(SKIP_1) | instid1(VALU_DEP_2)
	v_sub_nc_u32_e32 v15, 0x78, v11
	v_cmp_gt_u32_e32 vcc_lo, 0x79, v11
	v_dual_cndmask_b32 v15, 0, v15 :: v_dual_and_b32 v14, 0x7fffff, v10
	s_delay_alu instid0(VALU_DEP_1) | instskip(SKIP_2) | instid1(VALU_DEP_4)
	v_or_b32_e32 v16, 0x800000, v14
	v_cmp_eq_u32_e32 vcc_lo, 0, v11
	v_add_nc_u32_e32 v11, 0xffffff89, v11
	v_cndmask_b32_e64 v15, v15, 0x77, vcc_lo
	s_delay_alu instid0(VALU_DEP_4) | instskip(NEXT) | instid1(VALU_DEP_3)
	v_cndmask_b32_e32 v14, v16, v14, vcc_lo
	v_cndmask_b32_e64 v11, v11, 0xffffff8a, vcc_lo
	s_delay_alu instid0(VALU_DEP_3) | instskip(NEXT) | instid1(VALU_DEP_3)
	v_lshl_add_u32 v16, 0x100000, v15, -1
	v_lshrrev_b32_e32 v17, v15, v14
	v_lshlrev_b32_e64 v19, v15, 0x80000
	s_delay_alu instid0(VALU_DEP_4) | instskip(NEXT) | instid1(VALU_DEP_4)
	v_add_nc_u32_e32 v15, v15, v11
	v_and_b32_e32 v14, v16, v14
	s_delay_alu instid0(VALU_DEP_4) | instskip(NEXT) | instid1(VALU_DEP_2)
	v_bfe_u32 v18, v17, 20, 1
	v_cmp_eq_u32_e64 s7, v14, v19
	s_delay_alu instid0(VALU_DEP_2) | instskip(NEXT) | instid1(VALU_DEP_1)
	v_add_nc_u32_e32 v16, -1, v18
	v_cndmask_b32_e64 v14, 0, v16, s7
	v_lshrrev_b32_e32 v16, 23, v17
	s_mov_b32 s7, exec_lo
	s_delay_alu instid0(VALU_DEP_2) | instskip(NEXT) | instid1(VALU_DEP_2)
	v_add_nc_u32_e32 v14, v14, v17
	v_xor_b32_e32 v16, 1, v16
	s_delay_alu instid0(VALU_DEP_2) | instskip(NEXT) | instid1(VALU_DEP_1)
	v_and_b32_e32 v11, 0xfffff, v14
	v_add_nc_u32_e32 v14, v11, v17
                                        ; implicit-def: $vgpr11
	s_delay_alu instid0(VALU_DEP_3)
	v_cmpx_ne_u32_e64 v15, v16
	s_xor_b32 s7, exec_lo, s7
; %bb.5579:                             ;   in Loop: Header=BB6_4903 Depth=2
	s_delay_alu instid0(VALU_DEP_2) | instskip(SKIP_2) | instid1(VALU_DEP_2)
	v_cmp_lt_u32_e32 vcc_lo, 0xffffff, v14
	v_sub_nc_u32_e32 v11, v15, v16
	v_cndmask_b32_e64 v15, 0, 1, vcc_lo
	v_add_co_ci_u32_e32 v11, vcc_lo, 0, v11, vcc_lo
	s_delay_alu instid0(VALU_DEP_2)
	v_lshrrev_b32_e32 v14, v15, v14
; %bb.5580:                             ;   in Loop: Header=BB6_4903 Depth=2
	s_and_not1_saveexec_b32 s7, s7
; %bb.5581:                             ;   in Loop: Header=BB6_4903 Depth=2
	s_delay_alu instid0(VALU_DEP_1)
	v_bfe_u32 v11, v14, 23, 1
; %bb.5582:                             ;   in Loop: Header=BB6_4903 Depth=2
	s_or_b32 exec_lo, exec_lo, s7
	v_lshrrev_b32_e32 v14, 20, v14
	s_delay_alu instid0(VALU_DEP_2) | instskip(SKIP_2) | instid1(VALU_DEP_3)
	v_min_i32_e32 v15, 15, v11
	v_cmp_gt_i32_e32 vcc_lo, 16, v11
	v_lshrrev_b32_e32 v10, 24, v10
	v_dual_cndmask_b32 v14, 7, v14 :: v_dual_lshlrev_b32 v15, 3, v15
	s_delay_alu instid0(VALU_DEP_2) | instskip(NEXT) | instid1(VALU_DEP_2)
	v_and_b32_e32 v10, 0x80, v10
	v_and_b32_e32 v15, 0xf8, v15
	s_delay_alu instid0(VALU_DEP_3) | instskip(SKIP_1) | instid1(VALU_DEP_2)
	v_and_b32_e32 v16, 7, v14
	v_or_b32_e32 v11, v11, v14
	v_or3_b32 v10, v10, v15, v16
	s_delay_alu instid0(VALU_DEP_2) | instskip(NEXT) | instid1(VALU_DEP_2)
	v_cmp_ne_u32_e32 vcc_lo, 0, v11
	v_lshlrev_b32_e32 v10, 8, v10
	s_delay_alu instid0(VALU_DEP_1)
	v_cndmask_b32_e32 v135, 0, v10, vcc_lo
.LBB6_5583:                             ;   in Loop: Header=BB6_4903 Depth=2
	s_or_b32 exec_lo, exec_lo, s25
.LBB6_5584:                             ;   in Loop: Header=BB6_4903 Depth=2
	s_delay_alu instid0(SALU_CYCLE_1) | instskip(SKIP_3) | instid1(VALU_DEP_1)
	s_or_b32 exec_lo, exec_lo, s24
	v_and_b32_e32 v11, 0xff, v12
	s_mov_b32 s7, 0
	s_mov_b32 s25, exec_lo
                                        ; implicit-def: $sgpr24
	v_cmpx_lt_i16_e32 0x7f, v11
	s_xor_b32 s25, exec_lo, s25
	s_cbranch_execnz .LBB6_6926
; %bb.5585:                             ;   in Loop: Header=BB6_4903 Depth=2
	s_or_saveexec_b32 s25, s25
	v_mov_b32_e32 v10, s24
	s_xor_b32 exec_lo, exec_lo, s25
	s_cbranch_execnz .LBB6_6929
.LBB6_5586:                             ;   in Loop: Header=BB6_4903 Depth=2
	s_or_b32 exec_lo, exec_lo, s25
	s_and_saveexec_b32 s24, s7
	s_cbranch_execz .LBB6_5588
.LBB6_5587:                             ;   in Loop: Header=BB6_4903 Depth=2
	v_bfe_u32 v15, v12, 3, 4
	v_lshlrev_b32_e32 v16, 24, v12
	s_delay_alu instid0(VALU_DEP_2) | instskip(SKIP_1) | instid1(VALU_DEP_1)
	v_cmp_eq_u32_e32 vcc_lo, 0, v15
	v_and_b32_e32 v10, 7, v12
	v_clz_i32_u32_e32 v11, v10
	s_delay_alu instid0(VALU_DEP_1) | instskip(NEXT) | instid1(VALU_DEP_1)
	v_min_u32_e32 v11, 32, v11
	v_subrev_nc_u32_e32 v14, 28, v11
	v_sub_nc_u32_e32 v11, 29, v11
	s_delay_alu instid0(VALU_DEP_1) | instskip(NEXT) | instid1(VALU_DEP_1)
	v_dual_cndmask_b32 v11, v15, v11 :: v_dual_lshlrev_b32 v14, v14, v12
	v_and_b32_e32 v14, 7, v14
	s_delay_alu instid0(VALU_DEP_2) | instskip(NEXT) | instid1(VALU_DEP_2)
	v_lshl_add_u32 v11, v11, 23, 0x3b800000
	v_cndmask_b32_e32 v10, v10, v14, vcc_lo
	v_and_b32_e32 v14, 0x80000000, v16
	s_delay_alu instid0(VALU_DEP_2) | instskip(NEXT) | instid1(VALU_DEP_1)
	v_lshlrev_b32_e32 v10, 20, v10
	v_or3_b32 v10, v14, v11, v10
.LBB6_5588:                             ;   in Loop: Header=BB6_4903 Depth=2
	s_or_b32 exec_lo, exec_lo, s24
	s_delay_alu instid0(VALU_DEP_1) | instskip(SKIP_1) | instid1(VALU_DEP_1)
	v_dual_mul_f32 v10, s23, v10 :: v_dual_mov_b32 v131, 0x80
	s_mov_b32 s24, exec_lo
	v_and_b32_e32 v11, 0x7f800000, v10
	s_delay_alu instid0(VALU_DEP_1)
	v_cmpx_ne_u32_e32 0x7f800000, v11
	s_cbranch_execz .LBB6_5596
; %bb.5589:                             ;   in Loop: Header=BB6_4903 Depth=2
	v_mov_b32_e32 v131, 0
	s_mov_b32 s25, exec_lo
	v_cmpx_ne_u32_e32 0, v10
	s_cbranch_execz .LBB6_5595
; %bb.5590:                             ;   in Loop: Header=BB6_4903 Depth=2
	v_bfe_u32 v11, v10, 23, 8
	s_delay_alu instid0(VALU_DEP_1) | instskip(SKIP_1) | instid1(VALU_DEP_2)
	v_sub_nc_u32_e32 v15, 0x78, v11
	v_cmp_gt_u32_e32 vcc_lo, 0x79, v11
	v_dual_cndmask_b32 v15, 0, v15 :: v_dual_and_b32 v14, 0x7fffff, v10
	s_delay_alu instid0(VALU_DEP_1) | instskip(SKIP_2) | instid1(VALU_DEP_4)
	v_or_b32_e32 v16, 0x800000, v14
	v_cmp_eq_u32_e32 vcc_lo, 0, v11
	v_add_nc_u32_e32 v11, 0xffffff89, v11
	v_cndmask_b32_e64 v15, v15, 0x77, vcc_lo
	s_delay_alu instid0(VALU_DEP_4) | instskip(NEXT) | instid1(VALU_DEP_3)
	v_cndmask_b32_e32 v14, v16, v14, vcc_lo
	v_cndmask_b32_e64 v11, v11, 0xffffff8a, vcc_lo
	s_delay_alu instid0(VALU_DEP_3) | instskip(NEXT) | instid1(VALU_DEP_3)
	v_lshl_add_u32 v16, 0x100000, v15, -1
	v_lshrrev_b32_e32 v17, v15, v14
	v_lshlrev_b32_e64 v19, v15, 0x80000
	s_delay_alu instid0(VALU_DEP_4) | instskip(NEXT) | instid1(VALU_DEP_4)
	v_add_nc_u32_e32 v15, v15, v11
	v_and_b32_e32 v14, v16, v14
	s_delay_alu instid0(VALU_DEP_4) | instskip(NEXT) | instid1(VALU_DEP_2)
	v_bfe_u32 v18, v17, 20, 1
	v_cmp_eq_u32_e64 s7, v14, v19
	s_delay_alu instid0(VALU_DEP_2) | instskip(NEXT) | instid1(VALU_DEP_1)
	v_add_nc_u32_e32 v16, -1, v18
	v_cndmask_b32_e64 v14, 0, v16, s7
	v_lshrrev_b32_e32 v16, 23, v17
	s_mov_b32 s7, exec_lo
	s_delay_alu instid0(VALU_DEP_2) | instskip(NEXT) | instid1(VALU_DEP_2)
	v_add_nc_u32_e32 v14, v14, v17
	v_xor_b32_e32 v16, 1, v16
	s_delay_alu instid0(VALU_DEP_2) | instskip(NEXT) | instid1(VALU_DEP_1)
	v_and_b32_e32 v11, 0xfffff, v14
	v_add_nc_u32_e32 v14, v11, v17
                                        ; implicit-def: $vgpr11
	s_delay_alu instid0(VALU_DEP_3)
	v_cmpx_ne_u32_e64 v15, v16
	s_xor_b32 s7, exec_lo, s7
; %bb.5591:                             ;   in Loop: Header=BB6_4903 Depth=2
	s_delay_alu instid0(VALU_DEP_2) | instskip(SKIP_2) | instid1(VALU_DEP_2)
	v_cmp_lt_u32_e32 vcc_lo, 0xffffff, v14
	v_sub_nc_u32_e32 v11, v15, v16
	v_cndmask_b32_e64 v15, 0, 1, vcc_lo
	v_add_co_ci_u32_e32 v11, vcc_lo, 0, v11, vcc_lo
	s_delay_alu instid0(VALU_DEP_2)
	v_lshrrev_b32_e32 v14, v15, v14
; %bb.5592:                             ;   in Loop: Header=BB6_4903 Depth=2
	s_and_not1_saveexec_b32 s7, s7
; %bb.5593:                             ;   in Loop: Header=BB6_4903 Depth=2
	s_delay_alu instid0(VALU_DEP_1)
	v_bfe_u32 v11, v14, 23, 1
; %bb.5594:                             ;   in Loop: Header=BB6_4903 Depth=2
	s_or_b32 exec_lo, exec_lo, s7
	v_lshrrev_b32_e32 v14, 20, v14
	s_delay_alu instid0(VALU_DEP_2) | instskip(SKIP_2) | instid1(VALU_DEP_4)
	v_cmp_gt_i32_e32 vcc_lo, 16, v11
	v_lshrrev_b32_e32 v10, 24, v10
	v_min_i32_e32 v15, 15, v11
	v_cndmask_b32_e32 v14, 7, v14, vcc_lo
	s_delay_alu instid0(VALU_DEP_3) | instskip(NEXT) | instid1(VALU_DEP_3)
	v_and_b32_e32 v10, 0x80, v10
	v_lshlrev_b32_e32 v15, 3, v15
	s_delay_alu instid0(VALU_DEP_3) | instskip(SKIP_1) | instid1(VALU_DEP_2)
	v_and_b32_e32 v16, 7, v14
	v_or_b32_e32 v11, v11, v14
	v_or3_b32 v10, v15, v10, v16
	s_delay_alu instid0(VALU_DEP_2) | instskip(NEXT) | instid1(VALU_DEP_2)
	v_cmp_ne_u32_e32 vcc_lo, 0, v11
	v_cndmask_b32_e32 v131, 0, v10, vcc_lo
.LBB6_5595:                             ;   in Loop: Header=BB6_4903 Depth=2
	s_or_b32 exec_lo, exec_lo, s25
.LBB6_5596:                             ;   in Loop: Header=BB6_4903 Depth=2
	s_delay_alu instid0(SALU_CYCLE_1) | instskip(SKIP_3) | instid1(VALU_DEP_1)
	s_or_b32 exec_lo, exec_lo, s24
	v_lshrrev_b16 v10, 8, v12
	s_mov_b32 s7, 0
	s_mov_b32 s25, exec_lo
                                        ; implicit-def: $sgpr24
	v_cmpx_lt_i16_e32 0x7f, v10
	s_xor_b32 s25, exec_lo, s25
	s_cbranch_execnz .LBB6_6930
; %bb.5597:                             ;   in Loop: Header=BB6_4903 Depth=2
	s_or_saveexec_b32 s25, s25
	v_mov_b32_e32 v11, s24
	s_xor_b32 exec_lo, exec_lo, s25
	s_cbranch_execnz .LBB6_6933
.LBB6_5598:                             ;   in Loop: Header=BB6_4903 Depth=2
	s_or_b32 exec_lo, exec_lo, s25
	s_and_saveexec_b32 s24, s7
	s_cbranch_execz .LBB6_5600
.LBB6_5599:                             ;   in Loop: Header=BB6_4903 Depth=2
	v_and_b32_e32 v11, 0xffff, v10
	v_lshlrev_b32_e32 v10, 24, v10
	s_delay_alu instid0(VALU_DEP_2) | instskip(NEXT) | instid1(VALU_DEP_2)
	v_and_b32_e32 v14, 7, v11
	v_and_b32_e32 v10, 0x80000000, v10
	s_delay_alu instid0(VALU_DEP_2) | instskip(NEXT) | instid1(VALU_DEP_1)
	v_clz_i32_u32_e32 v15, v14
	v_min_u32_e32 v15, 32, v15
	s_delay_alu instid0(VALU_DEP_1) | instskip(SKIP_1) | instid1(VALU_DEP_2)
	v_subrev_nc_u32_e32 v16, 28, v15
	v_sub_nc_u32_e32 v15, 29, v15
	v_lshlrev_b32_e32 v16, v16, v11
	v_bfe_u32 v11, v11, 3, 4
	s_delay_alu instid0(VALU_DEP_1) | instskip(NEXT) | instid1(VALU_DEP_3)
	v_cmp_eq_u32_e32 vcc_lo, 0, v11
	v_dual_cndmask_b32 v11, v11, v15 :: v_dual_and_b32 v16, 7, v16
	s_delay_alu instid0(VALU_DEP_1) | instskip(NEXT) | instid1(VALU_DEP_2)
	v_cndmask_b32_e32 v14, v14, v16, vcc_lo
	v_lshl_add_u32 v11, v11, 23, 0x3b800000
	s_delay_alu instid0(VALU_DEP_2) | instskip(NEXT) | instid1(VALU_DEP_1)
	v_lshlrev_b32_e32 v14, 20, v14
	v_or3_b32 v11, v10, v11, v14
.LBB6_5600:                             ;   in Loop: Header=BB6_4903 Depth=2
	s_or_b32 exec_lo, exec_lo, s24
	s_delay_alu instid0(VALU_DEP_1) | instskip(SKIP_2) | instid1(VALU_DEP_2)
	v_mul_f32_e32 v10, s23, v11
	v_mov_b32_e32 v128, 0x80
	s_mov_b32 s24, exec_lo
	v_and_b32_e32 v11, 0x7f800000, v10
	s_delay_alu instid0(VALU_DEP_1)
	v_cmpx_ne_u32_e32 0x7f800000, v11
	s_cbranch_execz .LBB6_5608
; %bb.5601:                             ;   in Loop: Header=BB6_4903 Depth=2
	v_mov_b32_e32 v128, 0
	s_mov_b32 s25, exec_lo
	v_cmpx_ne_u32_e32 0, v10
	s_cbranch_execz .LBB6_5607
; %bb.5602:                             ;   in Loop: Header=BB6_4903 Depth=2
	v_bfe_u32 v11, v10, 23, 8
	s_delay_alu instid0(VALU_DEP_1) | instskip(SKIP_1) | instid1(VALU_DEP_2)
	v_sub_nc_u32_e32 v15, 0x78, v11
	v_cmp_gt_u32_e32 vcc_lo, 0x79, v11
	v_dual_cndmask_b32 v15, 0, v15 :: v_dual_and_b32 v14, 0x7fffff, v10
	s_delay_alu instid0(VALU_DEP_1) | instskip(SKIP_2) | instid1(VALU_DEP_4)
	v_or_b32_e32 v16, 0x800000, v14
	v_cmp_eq_u32_e32 vcc_lo, 0, v11
	v_add_nc_u32_e32 v11, 0xffffff89, v11
	v_cndmask_b32_e64 v15, v15, 0x77, vcc_lo
	s_delay_alu instid0(VALU_DEP_4) | instskip(NEXT) | instid1(VALU_DEP_3)
	v_cndmask_b32_e32 v14, v16, v14, vcc_lo
	v_cndmask_b32_e64 v11, v11, 0xffffff8a, vcc_lo
	s_delay_alu instid0(VALU_DEP_3) | instskip(NEXT) | instid1(VALU_DEP_3)
	v_lshl_add_u32 v16, 0x100000, v15, -1
	v_lshrrev_b32_e32 v17, v15, v14
	v_lshlrev_b32_e64 v19, v15, 0x80000
	s_delay_alu instid0(VALU_DEP_4) | instskip(NEXT) | instid1(VALU_DEP_4)
	v_add_nc_u32_e32 v15, v15, v11
	v_and_b32_e32 v14, v16, v14
	s_delay_alu instid0(VALU_DEP_4) | instskip(NEXT) | instid1(VALU_DEP_2)
	v_bfe_u32 v18, v17, 20, 1
	v_cmp_eq_u32_e64 s7, v14, v19
	s_delay_alu instid0(VALU_DEP_2) | instskip(NEXT) | instid1(VALU_DEP_1)
	v_add_nc_u32_e32 v16, -1, v18
	v_cndmask_b32_e64 v14, 0, v16, s7
	v_lshrrev_b32_e32 v16, 23, v17
	s_mov_b32 s7, exec_lo
	s_delay_alu instid0(VALU_DEP_2) | instskip(NEXT) | instid1(VALU_DEP_2)
	v_add_nc_u32_e32 v14, v14, v17
	v_xor_b32_e32 v16, 1, v16
	s_delay_alu instid0(VALU_DEP_2) | instskip(NEXT) | instid1(VALU_DEP_1)
	v_and_b32_e32 v11, 0xfffff, v14
	v_add_nc_u32_e32 v14, v11, v17
                                        ; implicit-def: $vgpr11
	s_delay_alu instid0(VALU_DEP_3)
	v_cmpx_ne_u32_e64 v15, v16
	s_xor_b32 s7, exec_lo, s7
; %bb.5603:                             ;   in Loop: Header=BB6_4903 Depth=2
	s_delay_alu instid0(VALU_DEP_2) | instskip(SKIP_2) | instid1(VALU_DEP_2)
	v_cmp_lt_u32_e32 vcc_lo, 0xffffff, v14
	v_sub_nc_u32_e32 v11, v15, v16
	v_cndmask_b32_e64 v15, 0, 1, vcc_lo
	v_add_co_ci_u32_e32 v11, vcc_lo, 0, v11, vcc_lo
	s_delay_alu instid0(VALU_DEP_2)
	v_lshrrev_b32_e32 v14, v15, v14
; %bb.5604:                             ;   in Loop: Header=BB6_4903 Depth=2
	s_and_not1_saveexec_b32 s7, s7
; %bb.5605:                             ;   in Loop: Header=BB6_4903 Depth=2
	s_delay_alu instid0(VALU_DEP_1)
	v_bfe_u32 v11, v14, 23, 1
; %bb.5606:                             ;   in Loop: Header=BB6_4903 Depth=2
	s_or_b32 exec_lo, exec_lo, s7
	v_lshrrev_b32_e32 v14, 20, v14
	s_delay_alu instid0(VALU_DEP_2) | instskip(SKIP_2) | instid1(VALU_DEP_4)
	v_cmp_gt_i32_e32 vcc_lo, 16, v11
	v_lshrrev_b32_e32 v10, 24, v10
	v_min_i32_e32 v15, 15, v11
	v_cndmask_b32_e32 v14, 7, v14, vcc_lo
	s_delay_alu instid0(VALU_DEP_3) | instskip(NEXT) | instid1(VALU_DEP_3)
	v_and_b32_e32 v10, 0x80, v10
	v_lshlrev_b32_e32 v15, 3, v15
	s_delay_alu instid0(VALU_DEP_3) | instskip(SKIP_1) | instid1(VALU_DEP_2)
	v_and_b32_e32 v16, 7, v14
	v_or_b32_e32 v11, v11, v14
	v_or3_b32 v10, v15, v10, v16
	s_delay_alu instid0(VALU_DEP_2) | instskip(NEXT) | instid1(VALU_DEP_2)
	v_cmp_ne_u32_e32 vcc_lo, 0, v11
	v_cndmask_b32_e32 v128, 0, v10, vcc_lo
.LBB6_5607:                             ;   in Loop: Header=BB6_4903 Depth=2
	s_or_b32 exec_lo, exec_lo, s25
.LBB6_5608:                             ;   in Loop: Header=BB6_4903 Depth=2
	s_delay_alu instid0(SALU_CYCLE_1) | instskip(SKIP_3) | instid1(VALU_DEP_1)
	s_or_b32 exec_lo, exec_lo, s24
	v_lshrrev_b32_e32 v10, 16, v12
	s_mov_b32 s7, 0
	s_mov_b32 s25, exec_lo
                                        ; implicit-def: $sgpr24
	v_and_b32_e32 v14, 0xff, v10
	s_delay_alu instid0(VALU_DEP_1)
	v_cmpx_lt_i16_e32 0x7f, v14
	s_xor_b32 s25, exec_lo, s25
	s_cbranch_execnz .LBB6_6934
; %bb.5609:                             ;   in Loop: Header=BB6_4903 Depth=2
	s_or_saveexec_b32 s25, s25
	v_mov_b32_e32 v11, s24
	s_xor_b32 exec_lo, exec_lo, s25
	s_cbranch_execnz .LBB6_6937
.LBB6_5610:                             ;   in Loop: Header=BB6_4903 Depth=2
	s_or_b32 exec_lo, exec_lo, s25
	s_and_saveexec_b32 s24, s7
	s_cbranch_execz .LBB6_5612
.LBB6_5611:                             ;   in Loop: Header=BB6_4903 Depth=2
	v_bfe_u32 v11, v12, 16, 3
	v_lshlrev_b32_e32 v16, 8, v12
	s_delay_alu instid0(VALU_DEP_2) | instskip(NEXT) | instid1(VALU_DEP_1)
	v_clz_i32_u32_e32 v14, v11
	v_min_u32_e32 v14, 32, v14
	s_delay_alu instid0(VALU_DEP_1) | instskip(SKIP_1) | instid1(VALU_DEP_2)
	v_subrev_nc_u32_e32 v15, 28, v14
	v_sub_nc_u32_e32 v14, 29, v14
	v_lshlrev_b32_e32 v10, v15, v10
	v_bfe_u32 v15, v12, 19, 4
	s_delay_alu instid0(VALU_DEP_2) | instskip(NEXT) | instid1(VALU_DEP_2)
	v_and_b32_e32 v10, 7, v10
	v_cmp_eq_u32_e32 vcc_lo, 0, v15
	v_cndmask_b32_e32 v14, v15, v14, vcc_lo
	s_delay_alu instid0(VALU_DEP_3) | instskip(NEXT) | instid1(VALU_DEP_2)
	v_dual_cndmask_b32 v10, v11, v10 :: v_dual_and_b32 v11, 0x80000000, v16
	v_lshl_add_u32 v14, v14, 23, 0x3b800000
	s_delay_alu instid0(VALU_DEP_2) | instskip(NEXT) | instid1(VALU_DEP_1)
	v_lshlrev_b32_e32 v10, 20, v10
	v_or3_b32 v11, v11, v14, v10
.LBB6_5612:                             ;   in Loop: Header=BB6_4903 Depth=2
	s_or_b32 exec_lo, exec_lo, s24
	s_delay_alu instid0(VALU_DEP_1) | instskip(SKIP_1) | instid1(VALU_DEP_1)
	v_dual_mul_f32 v10, s23, v11 :: v_dual_mov_b32 v119, 0x80
	s_mov_b32 s24, exec_lo
	v_and_b32_e32 v11, 0x7f800000, v10
	s_delay_alu instid0(VALU_DEP_1)
	v_cmpx_ne_u32_e32 0x7f800000, v11
	s_cbranch_execz .LBB6_5620
; %bb.5613:                             ;   in Loop: Header=BB6_4903 Depth=2
	v_mov_b32_e32 v119, 0
	s_mov_b32 s25, exec_lo
	v_cmpx_ne_u32_e32 0, v10
	s_cbranch_execz .LBB6_5619
; %bb.5614:                             ;   in Loop: Header=BB6_4903 Depth=2
	v_bfe_u32 v11, v10, 23, 8
	s_delay_alu instid0(VALU_DEP_1) | instskip(SKIP_1) | instid1(VALU_DEP_2)
	v_sub_nc_u32_e32 v15, 0x78, v11
	v_cmp_gt_u32_e32 vcc_lo, 0x79, v11
	v_dual_cndmask_b32 v15, 0, v15 :: v_dual_and_b32 v14, 0x7fffff, v10
	s_delay_alu instid0(VALU_DEP_1) | instskip(SKIP_2) | instid1(VALU_DEP_4)
	v_or_b32_e32 v16, 0x800000, v14
	v_cmp_eq_u32_e32 vcc_lo, 0, v11
	v_add_nc_u32_e32 v11, 0xffffff89, v11
	v_cndmask_b32_e64 v15, v15, 0x77, vcc_lo
	s_delay_alu instid0(VALU_DEP_4) | instskip(NEXT) | instid1(VALU_DEP_3)
	v_cndmask_b32_e32 v14, v16, v14, vcc_lo
	v_cndmask_b32_e64 v11, v11, 0xffffff8a, vcc_lo
	s_delay_alu instid0(VALU_DEP_3) | instskip(NEXT) | instid1(VALU_DEP_3)
	v_lshl_add_u32 v16, 0x100000, v15, -1
	v_lshrrev_b32_e32 v17, v15, v14
	v_lshlrev_b32_e64 v19, v15, 0x80000
	s_delay_alu instid0(VALU_DEP_4) | instskip(NEXT) | instid1(VALU_DEP_4)
	v_add_nc_u32_e32 v15, v15, v11
	v_and_b32_e32 v14, v16, v14
	s_delay_alu instid0(VALU_DEP_4) | instskip(NEXT) | instid1(VALU_DEP_2)
	v_bfe_u32 v18, v17, 20, 1
	v_cmp_eq_u32_e64 s7, v14, v19
	s_delay_alu instid0(VALU_DEP_2) | instskip(NEXT) | instid1(VALU_DEP_1)
	v_add_nc_u32_e32 v16, -1, v18
	v_cndmask_b32_e64 v14, 0, v16, s7
	v_lshrrev_b32_e32 v16, 23, v17
	s_mov_b32 s7, exec_lo
	s_delay_alu instid0(VALU_DEP_2) | instskip(NEXT) | instid1(VALU_DEP_2)
	v_add_nc_u32_e32 v14, v14, v17
	v_xor_b32_e32 v16, 1, v16
	s_delay_alu instid0(VALU_DEP_2) | instskip(NEXT) | instid1(VALU_DEP_1)
	v_and_b32_e32 v11, 0xfffff, v14
	v_add_nc_u32_e32 v14, v11, v17
                                        ; implicit-def: $vgpr11
	s_delay_alu instid0(VALU_DEP_3)
	v_cmpx_ne_u32_e64 v15, v16
	s_xor_b32 s7, exec_lo, s7
; %bb.5615:                             ;   in Loop: Header=BB6_4903 Depth=2
	s_delay_alu instid0(VALU_DEP_2) | instskip(SKIP_2) | instid1(VALU_DEP_2)
	v_cmp_lt_u32_e32 vcc_lo, 0xffffff, v14
	v_sub_nc_u32_e32 v11, v15, v16
	v_cndmask_b32_e64 v15, 0, 1, vcc_lo
	v_add_co_ci_u32_e32 v11, vcc_lo, 0, v11, vcc_lo
	s_delay_alu instid0(VALU_DEP_2)
	v_lshrrev_b32_e32 v14, v15, v14
; %bb.5616:                             ;   in Loop: Header=BB6_4903 Depth=2
	s_and_not1_saveexec_b32 s7, s7
; %bb.5617:                             ;   in Loop: Header=BB6_4903 Depth=2
	s_delay_alu instid0(VALU_DEP_1)
	v_bfe_u32 v11, v14, 23, 1
; %bb.5618:                             ;   in Loop: Header=BB6_4903 Depth=2
	s_or_b32 exec_lo, exec_lo, s7
	v_lshrrev_b32_e32 v14, 20, v14
	s_delay_alu instid0(VALU_DEP_2) | instskip(SKIP_2) | instid1(VALU_DEP_4)
	v_cmp_gt_i32_e32 vcc_lo, 16, v11
	v_lshrrev_b32_e32 v10, 24, v10
	v_min_i32_e32 v15, 15, v11
	v_cndmask_b32_e32 v14, 7, v14, vcc_lo
	s_delay_alu instid0(VALU_DEP_3) | instskip(NEXT) | instid1(VALU_DEP_3)
	v_and_b32_e32 v10, 0x80, v10
	v_lshlrev_b32_e32 v15, 3, v15
	s_delay_alu instid0(VALU_DEP_3) | instskip(SKIP_1) | instid1(VALU_DEP_2)
	v_and_b32_e32 v16, 7, v14
	v_or_b32_e32 v11, v11, v14
	v_or3_b32 v10, v15, v10, v16
	s_delay_alu instid0(VALU_DEP_2) | instskip(NEXT) | instid1(VALU_DEP_2)
	v_cmp_ne_u32_e32 vcc_lo, 0, v11
	v_cndmask_b32_e32 v119, 0, v10, vcc_lo
.LBB6_5619:                             ;   in Loop: Header=BB6_4903 Depth=2
	s_or_b32 exec_lo, exec_lo, s25
.LBB6_5620:                             ;   in Loop: Header=BB6_4903 Depth=2
	s_delay_alu instid0(SALU_CYCLE_1) | instskip(SKIP_3) | instid1(VALU_DEP_1)
	s_or_b32 exec_lo, exec_lo, s24
	v_lshrrev_b32_e32 v10, 24, v12
	s_mov_b32 s7, 0
	s_mov_b32 s25, exec_lo
                                        ; implicit-def: $sgpr24
	v_cmpx_lt_i16_e32 0x7f, v10
	s_xor_b32 s25, exec_lo, s25
	s_cbranch_execnz .LBB6_6938
; %bb.5621:                             ;   in Loop: Header=BB6_4903 Depth=2
	s_or_saveexec_b32 s25, s25
	v_mov_b32_e32 v11, s24
	s_xor_b32 exec_lo, exec_lo, s25
	s_cbranch_execnz .LBB6_6941
.LBB6_5622:                             ;   in Loop: Header=BB6_4903 Depth=2
	s_or_b32 exec_lo, exec_lo, s25
	s_and_saveexec_b32 s24, s7
	s_cbranch_execz .LBB6_5624
.LBB6_5623:                             ;   in Loop: Header=BB6_4903 Depth=2
	v_bfe_u32 v11, v12, 24, 3
	s_delay_alu instid0(VALU_DEP_1) | instskip(NEXT) | instid1(VALU_DEP_1)
	v_clz_i32_u32_e32 v14, v11
	v_min_u32_e32 v14, 32, v14
	s_delay_alu instid0(VALU_DEP_1) | instskip(SKIP_1) | instid1(VALU_DEP_2)
	v_subrev_nc_u32_e32 v15, 28, v14
	v_sub_nc_u32_e32 v14, 29, v14
	v_lshlrev_b32_e32 v10, v15, v10
	v_bfe_u32 v15, v12, 27, 4
	s_delay_alu instid0(VALU_DEP_2) | instskip(NEXT) | instid1(VALU_DEP_2)
	v_and_b32_e32 v10, 7, v10
	v_cmp_eq_u32_e32 vcc_lo, 0, v15
	v_cndmask_b32_e32 v14, v15, v14, vcc_lo
	s_delay_alu instid0(VALU_DEP_3) | instskip(NEXT) | instid1(VALU_DEP_2)
	v_dual_cndmask_b32 v10, v11, v10 :: v_dual_and_b32 v11, 0x80000000, v12
	v_lshl_add_u32 v12, v14, 23, 0x3b800000
	s_delay_alu instid0(VALU_DEP_2) | instskip(NEXT) | instid1(VALU_DEP_1)
	v_lshlrev_b32_e32 v10, 20, v10
	v_or3_b32 v11, v11, v12, v10
.LBB6_5624:                             ;   in Loop: Header=BB6_4903 Depth=2
	s_or_b32 exec_lo, exec_lo, s24
	s_delay_alu instid0(VALU_DEP_1) | instskip(SKIP_1) | instid1(VALU_DEP_1)
	v_dual_mul_f32 v10, s23, v11 :: v_dual_mov_b32 v117, 0x80
	s_mov_b32 s24, exec_lo
	v_and_b32_e32 v11, 0x7f800000, v10
	s_delay_alu instid0(VALU_DEP_1)
	v_cmpx_ne_u32_e32 0x7f800000, v11
	s_cbranch_execz .LBB6_5632
; %bb.5625:                             ;   in Loop: Header=BB6_4903 Depth=2
	v_mov_b32_e32 v117, 0
	s_mov_b32 s25, exec_lo
	v_cmpx_ne_u32_e32 0, v10
	s_cbranch_execz .LBB6_5631
; %bb.5626:                             ;   in Loop: Header=BB6_4903 Depth=2
	v_bfe_u32 v11, v10, 23, 8
	v_and_b32_e32 v12, 0x7fffff, v10
	s_delay_alu instid0(VALU_DEP_2) | instskip(SKIP_1) | instid1(VALU_DEP_3)
	v_sub_nc_u32_e32 v14, 0x78, v11
	v_cmp_gt_u32_e32 vcc_lo, 0x79, v11
	v_or_b32_e32 v15, 0x800000, v12
	s_delay_alu instid0(VALU_DEP_3) | instskip(SKIP_2) | instid1(VALU_DEP_3)
	v_cndmask_b32_e32 v14, 0, v14, vcc_lo
	v_cmp_eq_u32_e32 vcc_lo, 0, v11
	v_add_nc_u32_e32 v11, 0xffffff89, v11
	v_cndmask_b32_e64 v14, v14, 0x77, vcc_lo
	v_cndmask_b32_e32 v12, v15, v12, vcc_lo
	s_delay_alu instid0(VALU_DEP_3) | instskip(NEXT) | instid1(VALU_DEP_3)
	v_cndmask_b32_e64 v11, v11, 0xffffff8a, vcc_lo
	v_lshl_add_u32 v15, 0x100000, v14, -1
	s_delay_alu instid0(VALU_DEP_3) | instskip(SKIP_1) | instid1(VALU_DEP_4)
	v_lshrrev_b32_e32 v16, v14, v12
	v_lshlrev_b32_e64 v18, v14, 0x80000
	v_add_nc_u32_e32 v14, v14, v11
	s_delay_alu instid0(VALU_DEP_4) | instskip(NEXT) | instid1(VALU_DEP_4)
	v_and_b32_e32 v12, v15, v12
	v_bfe_u32 v17, v16, 20, 1
	s_delay_alu instid0(VALU_DEP_2) | instskip(NEXT) | instid1(VALU_DEP_2)
	v_cmp_eq_u32_e64 s7, v12, v18
	v_add_nc_u32_e32 v15, -1, v17
	s_delay_alu instid0(VALU_DEP_1) | instskip(SKIP_2) | instid1(VALU_DEP_2)
	v_cndmask_b32_e64 v12, 0, v15, s7
	v_lshrrev_b32_e32 v15, 23, v16
	s_mov_b32 s7, exec_lo
	v_add_nc_u32_e32 v12, v12, v16
	s_delay_alu instid0(VALU_DEP_2) | instskip(NEXT) | instid1(VALU_DEP_2)
	v_xor_b32_e32 v15, 1, v15
	v_and_b32_e32 v11, 0xfffff, v12
	s_delay_alu instid0(VALU_DEP_1) | instskip(NEXT) | instid1(VALU_DEP_3)
	v_add_nc_u32_e32 v12, v11, v16
                                        ; implicit-def: $vgpr11
	v_cmpx_ne_u32_e64 v14, v15
	s_xor_b32 s7, exec_lo, s7
; %bb.5627:                             ;   in Loop: Header=BB6_4903 Depth=2
	s_delay_alu instid0(VALU_DEP_2) | instskip(SKIP_2) | instid1(VALU_DEP_2)
	v_cmp_lt_u32_e32 vcc_lo, 0xffffff, v12
	v_sub_nc_u32_e32 v11, v14, v15
	v_cndmask_b32_e64 v14, 0, 1, vcc_lo
	v_add_co_ci_u32_e32 v11, vcc_lo, 0, v11, vcc_lo
	s_delay_alu instid0(VALU_DEP_2)
	v_lshrrev_b32_e32 v12, v14, v12
; %bb.5628:                             ;   in Loop: Header=BB6_4903 Depth=2
	s_and_not1_saveexec_b32 s7, s7
; %bb.5629:                             ;   in Loop: Header=BB6_4903 Depth=2
	s_delay_alu instid0(VALU_DEP_1)
	v_bfe_u32 v11, v12, 23, 1
; %bb.5630:                             ;   in Loop: Header=BB6_4903 Depth=2
	s_or_b32 exec_lo, exec_lo, s7
	v_lshrrev_b32_e32 v12, 20, v12
	s_delay_alu instid0(VALU_DEP_2) | instskip(SKIP_2) | instid1(VALU_DEP_4)
	v_cmp_gt_i32_e32 vcc_lo, 16, v11
	v_lshrrev_b32_e32 v10, 24, v10
	v_min_i32_e32 v14, 15, v11
	v_cndmask_b32_e32 v12, 7, v12, vcc_lo
	s_delay_alu instid0(VALU_DEP_3) | instskip(NEXT) | instid1(VALU_DEP_3)
	v_and_b32_e32 v10, 0x80, v10
	v_lshlrev_b32_e32 v14, 3, v14
	s_delay_alu instid0(VALU_DEP_3) | instskip(SKIP_1) | instid1(VALU_DEP_2)
	v_and_b32_e32 v15, 7, v12
	v_or_b32_e32 v11, v11, v12
	v_or3_b32 v10, v14, v10, v15
	s_delay_alu instid0(VALU_DEP_2) | instskip(NEXT) | instid1(VALU_DEP_2)
	v_cmp_ne_u32_e32 vcc_lo, 0, v11
	v_cndmask_b32_e32 v117, 0, v10, vcc_lo
.LBB6_5631:                             ;   in Loop: Header=BB6_4903 Depth=2
	s_or_b32 exec_lo, exec_lo, s25
.LBB6_5632:                             ;   in Loop: Header=BB6_4903 Depth=2
	s_delay_alu instid0(SALU_CYCLE_1) | instskip(SKIP_3) | instid1(VALU_DEP_1)
	s_or_b32 exec_lo, exec_lo, s24
	v_and_b32_e32 v11, 0xff, v13
	s_mov_b32 s7, 0
	s_mov_b32 s25, exec_lo
                                        ; implicit-def: $sgpr24
	v_cmpx_lt_i16_e32 0x7f, v11
	s_xor_b32 s25, exec_lo, s25
	s_cbranch_execnz .LBB6_6942
; %bb.5633:                             ;   in Loop: Header=BB6_4903 Depth=2
	s_or_saveexec_b32 s25, s25
	v_mov_b32_e32 v10, s24
	s_xor_b32 exec_lo, exec_lo, s25
	s_cbranch_execnz .LBB6_6945
.LBB6_5634:                             ;   in Loop: Header=BB6_4903 Depth=2
	s_or_b32 exec_lo, exec_lo, s25
	s_and_saveexec_b32 s24, s7
	s_cbranch_execz .LBB6_5636
.LBB6_5635:                             ;   in Loop: Header=BB6_4903 Depth=2
	v_bfe_u32 v14, v13, 3, 4
	s_delay_alu instid0(VALU_DEP_1) | instskip(SKIP_1) | instid1(VALU_DEP_1)
	v_cmp_eq_u32_e32 vcc_lo, 0, v14
	v_and_b32_e32 v10, 7, v13
	v_clz_i32_u32_e32 v11, v10
	s_delay_alu instid0(VALU_DEP_1) | instskip(NEXT) | instid1(VALU_DEP_1)
	v_min_u32_e32 v11, 32, v11
	v_subrev_nc_u32_e32 v12, 28, v11
	v_sub_nc_u32_e32 v11, 29, v11
	s_delay_alu instid0(VALU_DEP_1) | instskip(NEXT) | instid1(VALU_DEP_1)
	v_dual_cndmask_b32 v11, v14, v11 :: v_dual_lshlrev_b32 v12, v12, v13
	v_and_b32_e32 v12, 7, v12
	v_lshlrev_b32_e32 v15, 24, v13
	s_delay_alu instid0(VALU_DEP_3) | instskip(NEXT) | instid1(VALU_DEP_3)
	v_lshl_add_u32 v11, v11, 23, 0x3b800000
	v_cndmask_b32_e32 v10, v10, v12, vcc_lo
	s_delay_alu instid0(VALU_DEP_3) | instskip(NEXT) | instid1(VALU_DEP_2)
	v_and_b32_e32 v12, 0x80000000, v15
	v_lshlrev_b32_e32 v10, 20, v10
	s_delay_alu instid0(VALU_DEP_1)
	v_or3_b32 v10, v12, v11, v10
.LBB6_5636:                             ;   in Loop: Header=BB6_4903 Depth=2
	s_or_b32 exec_lo, exec_lo, s24
	s_delay_alu instid0(VALU_DEP_1) | instskip(SKIP_2) | instid1(VALU_DEP_2)
	v_mul_f32_e32 v10, s23, v10
	v_mov_b32_e32 v116, 0x80
	s_mov_b32 s24, exec_lo
	v_and_b32_e32 v11, 0x7f800000, v10
	s_delay_alu instid0(VALU_DEP_1)
	v_cmpx_ne_u32_e32 0x7f800000, v11
	s_cbranch_execz .LBB6_5644
; %bb.5637:                             ;   in Loop: Header=BB6_4903 Depth=2
	v_mov_b32_e32 v116, 0
	s_mov_b32 s25, exec_lo
	v_cmpx_ne_u32_e32 0, v10
	s_cbranch_execz .LBB6_5643
; %bb.5638:                             ;   in Loop: Header=BB6_4903 Depth=2
	v_bfe_u32 v11, v10, 23, 8
	v_and_b32_e32 v12, 0x7fffff, v10
	s_delay_alu instid0(VALU_DEP_2) | instskip(SKIP_1) | instid1(VALU_DEP_3)
	v_sub_nc_u32_e32 v14, 0x78, v11
	v_cmp_gt_u32_e32 vcc_lo, 0x79, v11
	v_or_b32_e32 v15, 0x800000, v12
	s_delay_alu instid0(VALU_DEP_3) | instskip(SKIP_2) | instid1(VALU_DEP_3)
	v_cndmask_b32_e32 v14, 0, v14, vcc_lo
	v_cmp_eq_u32_e32 vcc_lo, 0, v11
	v_add_nc_u32_e32 v11, 0xffffff89, v11
	v_cndmask_b32_e64 v14, v14, 0x77, vcc_lo
	v_cndmask_b32_e32 v12, v15, v12, vcc_lo
	s_delay_alu instid0(VALU_DEP_3) | instskip(NEXT) | instid1(VALU_DEP_3)
	v_cndmask_b32_e64 v11, v11, 0xffffff8a, vcc_lo
	v_lshl_add_u32 v15, 0x100000, v14, -1
	s_delay_alu instid0(VALU_DEP_3) | instskip(SKIP_1) | instid1(VALU_DEP_4)
	v_lshrrev_b32_e32 v16, v14, v12
	v_lshlrev_b32_e64 v18, v14, 0x80000
	v_add_nc_u32_e32 v14, v14, v11
	s_delay_alu instid0(VALU_DEP_4) | instskip(NEXT) | instid1(VALU_DEP_4)
	v_and_b32_e32 v12, v15, v12
	v_bfe_u32 v17, v16, 20, 1
	s_delay_alu instid0(VALU_DEP_2) | instskip(NEXT) | instid1(VALU_DEP_2)
	v_cmp_eq_u32_e64 s7, v12, v18
	v_add_nc_u32_e32 v15, -1, v17
	s_delay_alu instid0(VALU_DEP_1) | instskip(SKIP_2) | instid1(VALU_DEP_2)
	v_cndmask_b32_e64 v12, 0, v15, s7
	v_lshrrev_b32_e32 v15, 23, v16
	s_mov_b32 s7, exec_lo
	v_add_nc_u32_e32 v12, v12, v16
	s_delay_alu instid0(VALU_DEP_2) | instskip(NEXT) | instid1(VALU_DEP_2)
	v_xor_b32_e32 v15, 1, v15
	v_and_b32_e32 v11, 0xfffff, v12
	s_delay_alu instid0(VALU_DEP_1) | instskip(NEXT) | instid1(VALU_DEP_3)
	v_add_nc_u32_e32 v12, v11, v16
                                        ; implicit-def: $vgpr11
	v_cmpx_ne_u32_e64 v14, v15
	s_xor_b32 s7, exec_lo, s7
; %bb.5639:                             ;   in Loop: Header=BB6_4903 Depth=2
	s_delay_alu instid0(VALU_DEP_2) | instskip(SKIP_2) | instid1(VALU_DEP_2)
	v_cmp_lt_u32_e32 vcc_lo, 0xffffff, v12
	v_sub_nc_u32_e32 v11, v14, v15
	v_cndmask_b32_e64 v14, 0, 1, vcc_lo
	v_add_co_ci_u32_e32 v11, vcc_lo, 0, v11, vcc_lo
	s_delay_alu instid0(VALU_DEP_2)
	v_lshrrev_b32_e32 v12, v14, v12
; %bb.5640:                             ;   in Loop: Header=BB6_4903 Depth=2
	s_and_not1_saveexec_b32 s7, s7
; %bb.5641:                             ;   in Loop: Header=BB6_4903 Depth=2
	s_delay_alu instid0(VALU_DEP_1)
	v_bfe_u32 v11, v12, 23, 1
; %bb.5642:                             ;   in Loop: Header=BB6_4903 Depth=2
	s_or_b32 exec_lo, exec_lo, s7
	v_lshrrev_b32_e32 v12, 20, v12
	s_delay_alu instid0(VALU_DEP_2) | instskip(SKIP_2) | instid1(VALU_DEP_4)
	v_cmp_gt_i32_e32 vcc_lo, 16, v11
	v_min_i32_e32 v14, 15, v11
	v_lshrrev_b32_e32 v10, 24, v10
	v_cndmask_b32_e32 v12, 7, v12, vcc_lo
	s_delay_alu instid0(VALU_DEP_3) | instskip(NEXT) | instid1(VALU_DEP_3)
	v_lshlrev_b32_e32 v14, 3, v14
	v_and_b32_e32 v10, 0x80, v10
	s_delay_alu instid0(VALU_DEP_3) | instskip(NEXT) | instid1(VALU_DEP_3)
	v_or_b32_e32 v11, v11, v12
	v_and_b32_e32 v14, 0xf8, v14
	s_delay_alu instid0(VALU_DEP_2) | instskip(SKIP_1) | instid1(VALU_DEP_1)
	v_cmp_ne_u32_e32 vcc_lo, 0, v11
	v_and_b32_e32 v15, 7, v12
	v_or3_b32 v10, v14, v10, v15
	s_delay_alu instid0(VALU_DEP_1)
	v_cndmask_b32_e32 v116, 0, v10, vcc_lo
.LBB6_5643:                             ;   in Loop: Header=BB6_4903 Depth=2
	s_or_b32 exec_lo, exec_lo, s25
.LBB6_5644:                             ;   in Loop: Header=BB6_4903 Depth=2
	s_delay_alu instid0(SALU_CYCLE_1) | instskip(SKIP_3) | instid1(VALU_DEP_1)
	s_or_b32 exec_lo, exec_lo, s24
	v_lshrrev_b16 v10, 8, v13
	s_mov_b32 s7, 0
	s_mov_b32 s25, exec_lo
                                        ; implicit-def: $sgpr24
	v_cmpx_lt_i16_e32 0x7f, v10
	s_xor_b32 s25, exec_lo, s25
	s_cbranch_execnz .LBB6_6946
; %bb.5645:                             ;   in Loop: Header=BB6_4903 Depth=2
	s_or_saveexec_b32 s25, s25
	v_mov_b32_e32 v11, s24
	s_xor_b32 exec_lo, exec_lo, s25
	s_cbranch_execnz .LBB6_6949
.LBB6_5646:                             ;   in Loop: Header=BB6_4903 Depth=2
	s_or_b32 exec_lo, exec_lo, s25
	s_and_saveexec_b32 s24, s7
	s_cbranch_execz .LBB6_5648
.LBB6_5647:                             ;   in Loop: Header=BB6_4903 Depth=2
	v_and_b32_e32 v11, 0xffff, v10
	v_lshlrev_b32_e32 v10, 24, v10
	s_delay_alu instid0(VALU_DEP_2) | instskip(NEXT) | instid1(VALU_DEP_2)
	v_and_b32_e32 v12, 7, v11
	v_and_b32_e32 v10, 0x80000000, v10
	s_delay_alu instid0(VALU_DEP_2) | instskip(NEXT) | instid1(VALU_DEP_1)
	v_clz_i32_u32_e32 v14, v12
	v_min_u32_e32 v14, 32, v14
	s_delay_alu instid0(VALU_DEP_1) | instskip(SKIP_1) | instid1(VALU_DEP_2)
	v_subrev_nc_u32_e32 v15, 28, v14
	v_sub_nc_u32_e32 v14, 29, v14
	v_lshlrev_b32_e32 v15, v15, v11
	v_bfe_u32 v11, v11, 3, 4
	s_delay_alu instid0(VALU_DEP_2) | instskip(NEXT) | instid1(VALU_DEP_2)
	v_and_b32_e32 v15, 7, v15
	v_cmp_eq_u32_e32 vcc_lo, 0, v11
	s_delay_alu instid0(VALU_DEP_2) | instskip(NEXT) | instid1(VALU_DEP_1)
	v_dual_cndmask_b32 v11, v11, v14 :: v_dual_cndmask_b32 v12, v12, v15
	v_lshl_add_u32 v11, v11, 23, 0x3b800000
	s_delay_alu instid0(VALU_DEP_2) | instskip(NEXT) | instid1(VALU_DEP_1)
	v_lshlrev_b32_e32 v12, 20, v12
	v_or3_b32 v11, v10, v11, v12
.LBB6_5648:                             ;   in Loop: Header=BB6_4903 Depth=2
	s_or_b32 exec_lo, exec_lo, s24
	s_delay_alu instid0(VALU_DEP_1) | instskip(SKIP_1) | instid1(VALU_DEP_1)
	v_dual_mul_f32 v10, s23, v11 :: v_dual_mov_b32 v129, 0x8000
	s_mov_b32 s24, exec_lo
	v_and_b32_e32 v11, 0x7f800000, v10
	s_delay_alu instid0(VALU_DEP_1)
	v_cmpx_ne_u32_e32 0x7f800000, v11
	s_cbranch_execz .LBB6_5656
; %bb.5649:                             ;   in Loop: Header=BB6_4903 Depth=2
	v_mov_b32_e32 v129, 0
	s_mov_b32 s25, exec_lo
	v_cmpx_ne_u32_e32 0, v10
	s_cbranch_execz .LBB6_5655
; %bb.5650:                             ;   in Loop: Header=BB6_4903 Depth=2
	v_bfe_u32 v11, v10, 23, 8
	v_and_b32_e32 v12, 0x7fffff, v10
	s_delay_alu instid0(VALU_DEP_2) | instskip(SKIP_1) | instid1(VALU_DEP_3)
	v_sub_nc_u32_e32 v14, 0x78, v11
	v_cmp_gt_u32_e32 vcc_lo, 0x79, v11
	v_or_b32_e32 v15, 0x800000, v12
	s_delay_alu instid0(VALU_DEP_3) | instskip(SKIP_2) | instid1(VALU_DEP_3)
	v_cndmask_b32_e32 v14, 0, v14, vcc_lo
	v_cmp_eq_u32_e32 vcc_lo, 0, v11
	v_add_nc_u32_e32 v11, 0xffffff89, v11
	v_cndmask_b32_e64 v14, v14, 0x77, vcc_lo
	v_cndmask_b32_e32 v12, v15, v12, vcc_lo
	s_delay_alu instid0(VALU_DEP_3) | instskip(NEXT) | instid1(VALU_DEP_3)
	v_cndmask_b32_e64 v11, v11, 0xffffff8a, vcc_lo
	v_lshl_add_u32 v15, 0x100000, v14, -1
	s_delay_alu instid0(VALU_DEP_3) | instskip(SKIP_1) | instid1(VALU_DEP_4)
	v_lshrrev_b32_e32 v16, v14, v12
	v_lshlrev_b32_e64 v18, v14, 0x80000
	v_add_nc_u32_e32 v14, v14, v11
	s_delay_alu instid0(VALU_DEP_4) | instskip(NEXT) | instid1(VALU_DEP_4)
	v_and_b32_e32 v12, v15, v12
	v_bfe_u32 v17, v16, 20, 1
	s_delay_alu instid0(VALU_DEP_2) | instskip(NEXT) | instid1(VALU_DEP_2)
	v_cmp_eq_u32_e64 s7, v12, v18
	v_add_nc_u32_e32 v15, -1, v17
	s_delay_alu instid0(VALU_DEP_1) | instskip(SKIP_2) | instid1(VALU_DEP_2)
	v_cndmask_b32_e64 v12, 0, v15, s7
	v_lshrrev_b32_e32 v15, 23, v16
	s_mov_b32 s7, exec_lo
	v_add_nc_u32_e32 v12, v12, v16
	s_delay_alu instid0(VALU_DEP_2) | instskip(NEXT) | instid1(VALU_DEP_2)
	v_xor_b32_e32 v15, 1, v15
	v_and_b32_e32 v11, 0xfffff, v12
	s_delay_alu instid0(VALU_DEP_1) | instskip(NEXT) | instid1(VALU_DEP_3)
	v_add_nc_u32_e32 v12, v11, v16
                                        ; implicit-def: $vgpr11
	v_cmpx_ne_u32_e64 v14, v15
	s_xor_b32 s7, exec_lo, s7
; %bb.5651:                             ;   in Loop: Header=BB6_4903 Depth=2
	s_delay_alu instid0(VALU_DEP_2) | instskip(SKIP_2) | instid1(VALU_DEP_2)
	v_cmp_lt_u32_e32 vcc_lo, 0xffffff, v12
	v_sub_nc_u32_e32 v11, v14, v15
	v_cndmask_b32_e64 v14, 0, 1, vcc_lo
	v_add_co_ci_u32_e32 v11, vcc_lo, 0, v11, vcc_lo
	s_delay_alu instid0(VALU_DEP_2)
	v_lshrrev_b32_e32 v12, v14, v12
; %bb.5652:                             ;   in Loop: Header=BB6_4903 Depth=2
	s_and_not1_saveexec_b32 s7, s7
; %bb.5653:                             ;   in Loop: Header=BB6_4903 Depth=2
	s_delay_alu instid0(VALU_DEP_1)
	v_bfe_u32 v11, v12, 23, 1
; %bb.5654:                             ;   in Loop: Header=BB6_4903 Depth=2
	s_or_b32 exec_lo, exec_lo, s7
	v_lshrrev_b32_e32 v12, 20, v12
	s_delay_alu instid0(VALU_DEP_2) | instskip(SKIP_2) | instid1(VALU_DEP_3)
	v_min_i32_e32 v14, 15, v11
	v_cmp_gt_i32_e32 vcc_lo, 16, v11
	v_lshrrev_b32_e32 v10, 24, v10
	v_lshlrev_b32_e32 v14, 3, v14
	v_cndmask_b32_e32 v12, 7, v12, vcc_lo
	s_delay_alu instid0(VALU_DEP_3) | instskip(NEXT) | instid1(VALU_DEP_3)
	v_and_b32_e32 v10, 0x80, v10
	v_and_b32_e32 v14, 0xf8, v14
	s_delay_alu instid0(VALU_DEP_3) | instskip(SKIP_1) | instid1(VALU_DEP_2)
	v_and_b32_e32 v15, 7, v12
	v_or_b32_e32 v11, v11, v12
	v_or3_b32 v10, v10, v14, v15
	s_delay_alu instid0(VALU_DEP_2) | instskip(NEXT) | instid1(VALU_DEP_2)
	v_cmp_ne_u32_e32 vcc_lo, 0, v11
	v_lshlrev_b32_e32 v10, 8, v10
	s_delay_alu instid0(VALU_DEP_1)
	v_cndmask_b32_e32 v129, 0, v10, vcc_lo
.LBB6_5655:                             ;   in Loop: Header=BB6_4903 Depth=2
	s_or_b32 exec_lo, exec_lo, s25
.LBB6_5656:                             ;   in Loop: Header=BB6_4903 Depth=2
	s_delay_alu instid0(SALU_CYCLE_1) | instskip(SKIP_3) | instid1(VALU_DEP_1)
	s_or_b32 exec_lo, exec_lo, s24
	v_lshrrev_b32_e32 v10, 16, v13
	s_mov_b32 s7, 0
	s_mov_b32 s25, exec_lo
                                        ; implicit-def: $sgpr24
	v_and_b32_e32 v12, 0xff, v10
	s_delay_alu instid0(VALU_DEP_1)
	v_cmpx_lt_i16_e32 0x7f, v12
	s_xor_b32 s25, exec_lo, s25
	s_cbranch_execnz .LBB6_6950
; %bb.5657:                             ;   in Loop: Header=BB6_4903 Depth=2
	s_or_saveexec_b32 s25, s25
	v_mov_b32_e32 v11, s24
	s_xor_b32 exec_lo, exec_lo, s25
	s_cbranch_execnz .LBB6_6953
.LBB6_5658:                             ;   in Loop: Header=BB6_4903 Depth=2
	s_or_b32 exec_lo, exec_lo, s25
	s_and_saveexec_b32 s24, s7
	s_cbranch_execz .LBB6_5660
.LBB6_5659:                             ;   in Loop: Header=BB6_4903 Depth=2
	v_bfe_u32 v11, v13, 16, 3
	s_delay_alu instid0(VALU_DEP_1) | instskip(NEXT) | instid1(VALU_DEP_1)
	v_clz_i32_u32_e32 v12, v11
	v_min_u32_e32 v12, 32, v12
	s_delay_alu instid0(VALU_DEP_1) | instskip(SKIP_1) | instid1(VALU_DEP_2)
	v_subrev_nc_u32_e32 v14, 28, v12
	v_sub_nc_u32_e32 v12, 29, v12
	v_lshlrev_b32_e32 v10, v14, v10
	v_bfe_u32 v14, v13, 19, 4
	s_delay_alu instid0(VALU_DEP_2) | instskip(NEXT) | instid1(VALU_DEP_2)
	v_and_b32_e32 v10, 7, v10
	v_cmp_eq_u32_e32 vcc_lo, 0, v14
	v_dual_cndmask_b32 v12, v14, v12 :: v_dual_lshlrev_b32 v15, 8, v13
	s_delay_alu instid0(VALU_DEP_1) | instskip(NEXT) | instid1(VALU_DEP_2)
	v_dual_cndmask_b32 v10, v11, v10 :: v_dual_and_b32 v11, 0x80000000, v15
	v_lshl_add_u32 v12, v12, 23, 0x3b800000
	s_delay_alu instid0(VALU_DEP_2) | instskip(NEXT) | instid1(VALU_DEP_1)
	v_lshlrev_b32_e32 v10, 20, v10
	v_or3_b32 v11, v11, v12, v10
.LBB6_5660:                             ;   in Loop: Header=BB6_4903 Depth=2
	s_or_b32 exec_lo, exec_lo, s24
	s_delay_alu instid0(VALU_DEP_1) | instskip(SKIP_2) | instid1(VALU_DEP_2)
	v_mul_f32_e32 v10, s23, v11
	v_mov_b32_e32 v114, 0x80
	s_mov_b32 s24, exec_lo
	v_and_b32_e32 v11, 0x7f800000, v10
	s_delay_alu instid0(VALU_DEP_1)
	v_cmpx_ne_u32_e32 0x7f800000, v11
	s_cbranch_execz .LBB6_5668
; %bb.5661:                             ;   in Loop: Header=BB6_4903 Depth=2
	v_mov_b32_e32 v114, 0
	s_mov_b32 s25, exec_lo
	v_cmpx_ne_u32_e32 0, v10
	s_cbranch_execz .LBB6_5667
; %bb.5662:                             ;   in Loop: Header=BB6_4903 Depth=2
	v_bfe_u32 v11, v10, 23, 8
	v_and_b32_e32 v12, 0x7fffff, v10
	s_delay_alu instid0(VALU_DEP_2) | instskip(SKIP_1) | instid1(VALU_DEP_3)
	v_sub_nc_u32_e32 v14, 0x78, v11
	v_cmp_gt_u32_e32 vcc_lo, 0x79, v11
	v_or_b32_e32 v15, 0x800000, v12
	s_delay_alu instid0(VALU_DEP_3) | instskip(SKIP_2) | instid1(VALU_DEP_3)
	v_cndmask_b32_e32 v14, 0, v14, vcc_lo
	v_cmp_eq_u32_e32 vcc_lo, 0, v11
	v_add_nc_u32_e32 v11, 0xffffff89, v11
	v_cndmask_b32_e64 v14, v14, 0x77, vcc_lo
	v_cndmask_b32_e32 v12, v15, v12, vcc_lo
	s_delay_alu instid0(VALU_DEP_3) | instskip(NEXT) | instid1(VALU_DEP_3)
	v_cndmask_b32_e64 v11, v11, 0xffffff8a, vcc_lo
	v_lshl_add_u32 v15, 0x100000, v14, -1
	s_delay_alu instid0(VALU_DEP_3) | instskip(SKIP_1) | instid1(VALU_DEP_4)
	v_lshrrev_b32_e32 v16, v14, v12
	v_lshlrev_b32_e64 v18, v14, 0x80000
	v_add_nc_u32_e32 v14, v14, v11
	s_delay_alu instid0(VALU_DEP_4) | instskip(NEXT) | instid1(VALU_DEP_4)
	v_and_b32_e32 v12, v15, v12
	v_bfe_u32 v17, v16, 20, 1
	s_delay_alu instid0(VALU_DEP_2) | instskip(NEXT) | instid1(VALU_DEP_2)
	v_cmp_eq_u32_e64 s7, v12, v18
	v_add_nc_u32_e32 v15, -1, v17
	s_delay_alu instid0(VALU_DEP_1) | instskip(SKIP_2) | instid1(VALU_DEP_2)
	v_cndmask_b32_e64 v12, 0, v15, s7
	v_lshrrev_b32_e32 v15, 23, v16
	s_mov_b32 s7, exec_lo
	v_add_nc_u32_e32 v12, v12, v16
	s_delay_alu instid0(VALU_DEP_2) | instskip(NEXT) | instid1(VALU_DEP_2)
	v_xor_b32_e32 v15, 1, v15
	v_and_b32_e32 v11, 0xfffff, v12
	s_delay_alu instid0(VALU_DEP_1) | instskip(NEXT) | instid1(VALU_DEP_3)
	v_add_nc_u32_e32 v12, v11, v16
                                        ; implicit-def: $vgpr11
	v_cmpx_ne_u32_e64 v14, v15
	s_xor_b32 s7, exec_lo, s7
; %bb.5663:                             ;   in Loop: Header=BB6_4903 Depth=2
	s_delay_alu instid0(VALU_DEP_2) | instskip(SKIP_2) | instid1(VALU_DEP_2)
	v_cmp_lt_u32_e32 vcc_lo, 0xffffff, v12
	v_sub_nc_u32_e32 v11, v14, v15
	v_cndmask_b32_e64 v14, 0, 1, vcc_lo
	v_add_co_ci_u32_e32 v11, vcc_lo, 0, v11, vcc_lo
	s_delay_alu instid0(VALU_DEP_2)
	v_lshrrev_b32_e32 v12, v14, v12
; %bb.5664:                             ;   in Loop: Header=BB6_4903 Depth=2
	s_and_not1_saveexec_b32 s7, s7
; %bb.5665:                             ;   in Loop: Header=BB6_4903 Depth=2
	s_delay_alu instid0(VALU_DEP_1)
	v_bfe_u32 v11, v12, 23, 1
; %bb.5666:                             ;   in Loop: Header=BB6_4903 Depth=2
	s_or_b32 exec_lo, exec_lo, s7
	v_lshrrev_b32_e32 v12, 20, v12
	s_delay_alu instid0(VALU_DEP_2) | instskip(SKIP_2) | instid1(VALU_DEP_4)
	v_cmp_gt_i32_e32 vcc_lo, 16, v11
	v_min_i32_e32 v14, 15, v11
	v_lshrrev_b32_e32 v10, 24, v10
	v_cndmask_b32_e32 v12, 7, v12, vcc_lo
	s_delay_alu instid0(VALU_DEP_3) | instskip(NEXT) | instid1(VALU_DEP_3)
	v_lshlrev_b32_e32 v14, 3, v14
	v_and_b32_e32 v10, 0x80, v10
	s_delay_alu instid0(VALU_DEP_3) | instskip(NEXT) | instid1(VALU_DEP_3)
	v_or_b32_e32 v11, v11, v12
	v_and_b32_e32 v14, 0xf8, v14
	s_delay_alu instid0(VALU_DEP_2) | instskip(SKIP_1) | instid1(VALU_DEP_1)
	v_cmp_ne_u32_e32 vcc_lo, 0, v11
	v_and_b32_e32 v15, 7, v12
	v_or3_b32 v10, v14, v10, v15
	s_delay_alu instid0(VALU_DEP_1)
	v_cndmask_b32_e32 v114, 0, v10, vcc_lo
.LBB6_5667:                             ;   in Loop: Header=BB6_4903 Depth=2
	s_or_b32 exec_lo, exec_lo, s25
.LBB6_5668:                             ;   in Loop: Header=BB6_4903 Depth=2
	s_delay_alu instid0(SALU_CYCLE_1) | instskip(SKIP_3) | instid1(VALU_DEP_1)
	s_or_b32 exec_lo, exec_lo, s24
	v_lshrrev_b32_e32 v10, 24, v13
	s_mov_b32 s7, 0
	s_mov_b32 s25, exec_lo
                                        ; implicit-def: $sgpr24
	v_cmpx_lt_i16_e32 0x7f, v10
	s_xor_b32 s25, exec_lo, s25
	s_cbranch_execnz .LBB6_6954
; %bb.5669:                             ;   in Loop: Header=BB6_4903 Depth=2
	s_or_saveexec_b32 s25, s25
	v_mov_b32_e32 v11, s24
	s_xor_b32 exec_lo, exec_lo, s25
	s_cbranch_execnz .LBB6_6957
.LBB6_5670:                             ;   in Loop: Header=BB6_4903 Depth=2
	s_or_b32 exec_lo, exec_lo, s25
	s_and_saveexec_b32 s24, s7
	s_cbranch_execz .LBB6_5672
.LBB6_5671:                             ;   in Loop: Header=BB6_4903 Depth=2
	v_bfe_u32 v11, v13, 24, 3
	s_delay_alu instid0(VALU_DEP_1) | instskip(NEXT) | instid1(VALU_DEP_1)
	v_clz_i32_u32_e32 v12, v11
	v_min_u32_e32 v12, 32, v12
	s_delay_alu instid0(VALU_DEP_1) | instskip(SKIP_1) | instid1(VALU_DEP_2)
	v_subrev_nc_u32_e32 v14, 28, v12
	v_sub_nc_u32_e32 v12, 29, v12
	v_lshlrev_b32_e32 v10, v14, v10
	v_bfe_u32 v14, v13, 27, 4
	s_delay_alu instid0(VALU_DEP_2) | instskip(NEXT) | instid1(VALU_DEP_2)
	v_and_b32_e32 v10, 7, v10
	v_cmp_eq_u32_e32 vcc_lo, 0, v14
	v_cndmask_b32_e32 v12, v14, v12, vcc_lo
	s_delay_alu instid0(VALU_DEP_3) | instskip(NEXT) | instid1(VALU_DEP_2)
	v_dual_cndmask_b32 v10, v11, v10 :: v_dual_and_b32 v11, 0x80000000, v13
	v_lshl_add_u32 v12, v12, 23, 0x3b800000
	s_delay_alu instid0(VALU_DEP_2) | instskip(NEXT) | instid1(VALU_DEP_1)
	v_lshlrev_b32_e32 v10, 20, v10
	v_or3_b32 v11, v11, v12, v10
.LBB6_5672:                             ;   in Loop: Header=BB6_4903 Depth=2
	s_or_b32 exec_lo, exec_lo, s24
	s_delay_alu instid0(VALU_DEP_1) | instskip(SKIP_2) | instid1(VALU_DEP_2)
	v_mul_f32_e32 v10, s23, v11
	v_mov_b32_e32 v118, 0x8000
	s_mov_b32 s23, exec_lo
	v_and_b32_e32 v11, 0x7f800000, v10
	s_delay_alu instid0(VALU_DEP_1)
	v_cmpx_ne_u32_e32 0x7f800000, v11
	s_cbranch_execz .LBB6_5680
; %bb.5673:                             ;   in Loop: Header=BB6_4903 Depth=2
	v_mov_b32_e32 v118, 0
	s_mov_b32 s24, exec_lo
	v_cmpx_ne_u32_e32 0, v10
	s_cbranch_execz .LBB6_5679
; %bb.5674:                             ;   in Loop: Header=BB6_4903 Depth=2
	v_bfe_u32 v11, v10, 23, 8
	s_delay_alu instid0(VALU_DEP_1) | instskip(SKIP_1) | instid1(VALU_DEP_2)
	v_sub_nc_u32_e32 v13, 0x78, v11
	v_cmp_gt_u32_e32 vcc_lo, 0x79, v11
	v_dual_cndmask_b32 v13, 0, v13 :: v_dual_and_b32 v12, 0x7fffff, v10
	s_delay_alu instid0(VALU_DEP_1) | instskip(SKIP_2) | instid1(VALU_DEP_4)
	v_or_b32_e32 v14, 0x800000, v12
	v_cmp_eq_u32_e32 vcc_lo, 0, v11
	v_add_nc_u32_e32 v11, 0xffffff89, v11
	v_cndmask_b32_e64 v13, v13, 0x77, vcc_lo
	s_delay_alu instid0(VALU_DEP_4) | instskip(NEXT) | instid1(VALU_DEP_3)
	v_cndmask_b32_e32 v12, v14, v12, vcc_lo
	v_cndmask_b32_e64 v11, v11, 0xffffff8a, vcc_lo
	s_delay_alu instid0(VALU_DEP_3) | instskip(NEXT) | instid1(VALU_DEP_3)
	v_lshl_add_u32 v14, 0x100000, v13, -1
	v_lshrrev_b32_e32 v15, v13, v12
	v_lshlrev_b32_e64 v17, v13, 0x80000
	s_delay_alu instid0(VALU_DEP_4) | instskip(NEXT) | instid1(VALU_DEP_4)
	v_add_nc_u32_e32 v13, v13, v11
	v_and_b32_e32 v12, v14, v12
	s_delay_alu instid0(VALU_DEP_4) | instskip(NEXT) | instid1(VALU_DEP_2)
	v_bfe_u32 v16, v15, 20, 1
	v_cmp_eq_u32_e64 s7, v12, v17
	s_delay_alu instid0(VALU_DEP_2) | instskip(NEXT) | instid1(VALU_DEP_1)
	v_add_nc_u32_e32 v14, -1, v16
	v_cndmask_b32_e64 v12, 0, v14, s7
	v_lshrrev_b32_e32 v14, 23, v15
	s_mov_b32 s7, exec_lo
	s_delay_alu instid0(VALU_DEP_2) | instskip(NEXT) | instid1(VALU_DEP_2)
	v_add_nc_u32_e32 v12, v12, v15
	v_xor_b32_e32 v14, 1, v14
	s_delay_alu instid0(VALU_DEP_2) | instskip(NEXT) | instid1(VALU_DEP_1)
	v_and_b32_e32 v11, 0xfffff, v12
	v_add_nc_u32_e32 v12, v11, v15
                                        ; implicit-def: $vgpr11
	s_delay_alu instid0(VALU_DEP_3)
	v_cmpx_ne_u32_e64 v13, v14
	s_xor_b32 s7, exec_lo, s7
; %bb.5675:                             ;   in Loop: Header=BB6_4903 Depth=2
	s_delay_alu instid0(VALU_DEP_2) | instskip(SKIP_2) | instid1(VALU_DEP_2)
	v_cmp_lt_u32_e32 vcc_lo, 0xffffff, v12
	v_sub_nc_u32_e32 v11, v13, v14
	v_cndmask_b32_e64 v13, 0, 1, vcc_lo
	v_add_co_ci_u32_e32 v11, vcc_lo, 0, v11, vcc_lo
	s_delay_alu instid0(VALU_DEP_2)
	v_lshrrev_b32_e32 v12, v13, v12
; %bb.5676:                             ;   in Loop: Header=BB6_4903 Depth=2
	s_and_not1_saveexec_b32 s7, s7
; %bb.5677:                             ;   in Loop: Header=BB6_4903 Depth=2
	s_delay_alu instid0(VALU_DEP_1)
	v_bfe_u32 v11, v12, 23, 1
; %bb.5678:                             ;   in Loop: Header=BB6_4903 Depth=2
	s_or_b32 exec_lo, exec_lo, s7
	v_lshrrev_b32_e32 v12, 20, v12
	s_delay_alu instid0(VALU_DEP_2) | instskip(SKIP_2) | instid1(VALU_DEP_2)
	v_cmp_gt_i32_e32 vcc_lo, 16, v11
	v_min_i32_e32 v13, 15, v11
	v_lshrrev_b32_e32 v10, 24, v10
	v_dual_cndmask_b32 v12, 7, v12 :: v_dual_lshlrev_b32 v13, 3, v13
	s_delay_alu instid0(VALU_DEP_2) | instskip(NEXT) | instid1(VALU_DEP_2)
	v_and_b32_e32 v10, 0x80, v10
	v_or_b32_e32 v11, v11, v12
	v_and_b32_e32 v14, 7, v12
	s_delay_alu instid0(VALU_DEP_2) | instskip(SKIP_1) | instid1(VALU_DEP_1)
	v_cmp_ne_u32_e32 vcc_lo, 0, v11
	v_and_b32_e32 v13, 0xf8, v13
	v_or3_b32 v10, v10, v13, v14
	s_delay_alu instid0(VALU_DEP_1) | instskip(NEXT) | instid1(VALU_DEP_1)
	v_lshlrev_b32_e32 v10, 8, v10
	v_cndmask_b32_e32 v118, 0, v10, vcc_lo
.LBB6_5679:                             ;   in Loop: Header=BB6_4903 Depth=2
	s_or_b32 exec_lo, exec_lo, s24
.LBB6_5680:                             ;   in Loop: Header=BB6_4903 Depth=2
	s_delay_alu instid0(SALU_CYCLE_1)
	s_or_b32 exec_lo, exec_lo, s23
	s_clause 0x3
	global_load_b128 v[22:25], v[66:67], off slc dlc
	global_load_b128 v[18:21], v[66:67], off offset:512 slc dlc
	global_load_b128 v[14:17], v[66:67], off offset:1024 slc dlc
	;; [unrolled: 1-line block ×3, first 2 shown]
	v_and_b32_e32 v90, 0xff, v113
	s_mov_b32 s7, 0
	s_mov_b32 s24, exec_lo
                                        ; implicit-def: $sgpr23
	s_delay_alu instid0(VALU_DEP_1)
	v_cmpx_lt_i16_e32 0x7f, v90
	s_xor_b32 s24, exec_lo, s24
	s_cbranch_execnz .LBB6_6958
; %bb.5681:                             ;   in Loop: Header=BB6_4903 Depth=2
	s_or_saveexec_b32 s24, s24
	v_mov_b32_e32 v89, s23
	s_xor_b32 exec_lo, exec_lo, s24
	s_cbranch_execnz .LBB6_6961
.LBB6_5682:                             ;   in Loop: Header=BB6_4903 Depth=2
	s_or_b32 exec_lo, exec_lo, s24
	s_and_saveexec_b32 s23, s7
	s_cbranch_execz .LBB6_5684
.LBB6_5683:                             ;   in Loop: Header=BB6_4903 Depth=2
	v_bfe_u32 v92, v113, 3, 4
	s_delay_alu instid0(VALU_DEP_1) | instskip(SKIP_1) | instid1(VALU_DEP_1)
	v_cmp_eq_u32_e32 vcc_lo, 0, v92
	v_and_b32_e32 v89, 7, v113
	v_clz_i32_u32_e32 v90, v89
	s_delay_alu instid0(VALU_DEP_1) | instskip(NEXT) | instid1(VALU_DEP_1)
	v_min_u32_e32 v90, 32, v90
	v_subrev_nc_u32_e32 v91, 28, v90
	v_sub_nc_u32_e32 v90, 29, v90
	s_delay_alu instid0(VALU_DEP_1) | instskip(SKIP_1) | instid1(VALU_DEP_2)
	v_dual_cndmask_b32 v90, v92, v90 :: v_dual_lshlrev_b32 v91, v91, v113
	v_lshlrev_b32_e32 v113, 24, v113
	v_and_b32_e32 v91, 7, v91
	s_delay_alu instid0(VALU_DEP_3) | instskip(NEXT) | instid1(VALU_DEP_3)
	v_lshl_add_u32 v90, v90, 23, 0x3b800000
	v_and_b32_e32 v113, 0x80000000, v113
	s_delay_alu instid0(VALU_DEP_3) | instskip(NEXT) | instid1(VALU_DEP_1)
	v_cndmask_b32_e32 v89, v89, v91, vcc_lo
	v_lshlrev_b32_e32 v89, 20, v89
	s_delay_alu instid0(VALU_DEP_1)
	v_or3_b32 v89, v113, v90, v89
.LBB6_5684:                             ;   in Loop: Header=BB6_4903 Depth=2
	s_or_b32 exec_lo, exec_lo, s23
	s_waitcnt vmcnt(3)
	v_and_b32_e32 v90, 0xff, v22
	s_mov_b32 s7, 0
	s_mov_b32 s24, exec_lo
                                        ; implicit-def: $sgpr23
	s_delay_alu instid0(VALU_DEP_1)
	v_cmpx_lt_i16_e32 0x7f, v90
	s_xor_b32 s24, exec_lo, s24
	s_cbranch_execnz .LBB6_6962
; %bb.5685:                             ;   in Loop: Header=BB6_4903 Depth=2
	s_or_saveexec_b32 s24, s24
	v_mov_b32_e32 v113, s23
	s_xor_b32 exec_lo, exec_lo, s24
	s_cbranch_execnz .LBB6_6965
.LBB6_5686:                             ;   in Loop: Header=BB6_4903 Depth=2
	s_or_b32 exec_lo, exec_lo, s24
	s_and_saveexec_b32 s23, s7
	s_cbranch_execz .LBB6_5688
.LBB6_5687:                             ;   in Loop: Header=BB6_4903 Depth=2
	v_and_b32_e32 v113, 7, v22
	v_bfe_u32 v92, v22, 3, 4
	v_lshlrev_b32_e32 v93, 24, v22
	s_delay_alu instid0(VALU_DEP_3) | instskip(NEXT) | instid1(VALU_DEP_3)
	v_clz_i32_u32_e32 v90, v113
	v_cmp_eq_u32_e32 vcc_lo, 0, v92
	s_delay_alu instid0(VALU_DEP_2) | instskip(NEXT) | instid1(VALU_DEP_1)
	v_min_u32_e32 v90, 32, v90
	v_subrev_nc_u32_e32 v91, 28, v90
	v_sub_nc_u32_e32 v90, 29, v90
	s_delay_alu instid0(VALU_DEP_2) | instskip(NEXT) | instid1(VALU_DEP_1)
	v_lshlrev_b32_e32 v91, v91, v22
	v_dual_cndmask_b32 v90, v92, v90 :: v_dual_and_b32 v91, 7, v91
	s_delay_alu instid0(VALU_DEP_1) | instskip(NEXT) | instid1(VALU_DEP_2)
	v_lshl_add_u32 v90, v90, 23, 0x3b800000
	v_cndmask_b32_e32 v113, v113, v91, vcc_lo
	v_and_b32_e32 v91, 0x80000000, v93
	s_delay_alu instid0(VALU_DEP_2) | instskip(NEXT) | instid1(VALU_DEP_1)
	v_lshlrev_b32_e32 v113, 20, v113
	v_or3_b32 v113, v91, v90, v113
.LBB6_5688:                             ;   in Loop: Header=BB6_4903 Depth=2
	s_or_b32 exec_lo, exec_lo, s23
	s_delay_alu instid0(VALU_DEP_1) | instskip(NEXT) | instid1(VALU_DEP_1)
	v_add_f32_e32 v89, v89, v113
	v_and_b32_e32 v113, 0x7f800000, v89
	s_delay_alu instid0(VALU_DEP_1)
	v_cmp_ne_u32_e32 vcc_lo, 0x7f800000, v113
	v_mov_b32_e32 v113, 0x80
	s_and_saveexec_b32 s23, vcc_lo
	s_cbranch_execz .LBB6_5696
; %bb.5689:                             ;   in Loop: Header=BB6_4903 Depth=2
	v_mov_b32_e32 v113, 0
	s_mov_b32 s24, exec_lo
	v_cmpx_ne_u32_e32 0, v89
	s_cbranch_execz .LBB6_5695
; %bb.5690:                             ;   in Loop: Header=BB6_4903 Depth=2
	v_bfe_u32 v113, v89, 23, 8
	s_delay_alu instid0(VALU_DEP_1) | instskip(SKIP_1) | instid1(VALU_DEP_2)
	v_sub_nc_u32_e32 v91, 0x78, v113
	v_cmp_gt_u32_e32 vcc_lo, 0x79, v113
	v_dual_cndmask_b32 v91, 0, v91 :: v_dual_and_b32 v90, 0x7fffff, v89
	s_delay_alu instid0(VALU_DEP_1) | instskip(SKIP_2) | instid1(VALU_DEP_4)
	v_or_b32_e32 v92, 0x800000, v90
	v_cmp_eq_u32_e32 vcc_lo, 0, v113
	v_add_nc_u32_e32 v113, 0xffffff89, v113
	v_cndmask_b32_e64 v91, v91, 0x77, vcc_lo
	s_delay_alu instid0(VALU_DEP_4) | instskip(NEXT) | instid1(VALU_DEP_3)
	v_cndmask_b32_e32 v90, v92, v90, vcc_lo
	v_cndmask_b32_e64 v113, v113, 0xffffff8a, vcc_lo
	s_delay_alu instid0(VALU_DEP_3) | instskip(NEXT) | instid1(VALU_DEP_3)
	v_lshl_add_u32 v92, 0x100000, v91, -1
	v_lshrrev_b32_e32 v93, v91, v90
	v_lshlrev_b32_e64 v95, v91, 0x80000
	s_delay_alu instid0(VALU_DEP_4) | instskip(NEXT) | instid1(VALU_DEP_4)
	v_add_nc_u32_e32 v91, v91, v113
	v_and_b32_e32 v90, v92, v90
	s_delay_alu instid0(VALU_DEP_4) | instskip(NEXT) | instid1(VALU_DEP_2)
	v_bfe_u32 v94, v93, 20, 1
	v_cmp_eq_u32_e64 s7, v90, v95
	s_delay_alu instid0(VALU_DEP_2) | instskip(NEXT) | instid1(VALU_DEP_1)
	v_add_nc_u32_e32 v92, -1, v94
	v_cndmask_b32_e64 v90, 0, v92, s7
	v_lshrrev_b32_e32 v92, 23, v93
	s_mov_b32 s7, exec_lo
	s_delay_alu instid0(VALU_DEP_2) | instskip(NEXT) | instid1(VALU_DEP_2)
	v_add_nc_u32_e32 v90, v90, v93
	v_xor_b32_e32 v92, 1, v92
	s_delay_alu instid0(VALU_DEP_2) | instskip(NEXT) | instid1(VALU_DEP_1)
	v_and_b32_e32 v113, 0xfffff, v90
	v_add_nc_u32_e32 v90, v113, v93
                                        ; implicit-def: $vgpr113
	s_delay_alu instid0(VALU_DEP_3)
	v_cmpx_ne_u32_e64 v91, v92
	s_xor_b32 s7, exec_lo, s7
; %bb.5691:                             ;   in Loop: Header=BB6_4903 Depth=2
	s_delay_alu instid0(VALU_DEP_2) | instskip(SKIP_2) | instid1(VALU_DEP_2)
	v_cmp_lt_u32_e32 vcc_lo, 0xffffff, v90
	v_sub_nc_u32_e32 v113, v91, v92
	v_cndmask_b32_e64 v91, 0, 1, vcc_lo
	v_add_co_ci_u32_e32 v113, vcc_lo, 0, v113, vcc_lo
	s_delay_alu instid0(VALU_DEP_2)
	v_lshrrev_b32_e32 v90, v91, v90
; %bb.5692:                             ;   in Loop: Header=BB6_4903 Depth=2
	s_and_not1_saveexec_b32 s7, s7
; %bb.5693:                             ;   in Loop: Header=BB6_4903 Depth=2
	s_delay_alu instid0(VALU_DEP_1)
	v_bfe_u32 v113, v90, 23, 1
; %bb.5694:                             ;   in Loop: Header=BB6_4903 Depth=2
	s_or_b32 exec_lo, exec_lo, s7
	v_lshrrev_b32_e32 v90, 20, v90
	s_delay_alu instid0(VALU_DEP_2) | instskip(SKIP_2) | instid1(VALU_DEP_2)
	v_cmp_gt_i32_e32 vcc_lo, 16, v113
	v_lshrrev_b32_e32 v89, 24, v89
	v_min_i32_e32 v91, 15, v113
	v_dual_cndmask_b32 v90, 7, v90 :: v_dual_and_b32 v89, 0x80, v89
	s_delay_alu instid0(VALU_DEP_2) | instskip(NEXT) | instid1(VALU_DEP_2)
	v_lshlrev_b32_e32 v91, 3, v91
	v_or_b32_e32 v113, v113, v90
	s_delay_alu instid0(VALU_DEP_1) | instskip(SKIP_1) | instid1(VALU_DEP_1)
	v_cmp_ne_u32_e32 vcc_lo, 0, v113
	v_and_b32_e32 v92, 7, v90
	v_or3_b32 v89, v91, v89, v92
	s_delay_alu instid0(VALU_DEP_1)
	v_cndmask_b32_e32 v113, 0, v89, vcc_lo
.LBB6_5695:                             ;   in Loop: Header=BB6_4903 Depth=2
	s_or_b32 exec_lo, exec_lo, s24
.LBB6_5696:                             ;   in Loop: Header=BB6_4903 Depth=2
	s_delay_alu instid0(SALU_CYCLE_1) | instskip(SKIP_3) | instid1(VALU_DEP_1)
	s_or_b32 exec_lo, exec_lo, s23
	v_and_b32_e32 v90, 0xff, v115
	s_mov_b32 s7, 0
	s_mov_b32 s24, exec_lo
                                        ; implicit-def: $sgpr23
	v_cmpx_lt_i16_e32 0x7f, v90
	s_xor_b32 s24, exec_lo, s24
	s_cbranch_execnz .LBB6_6966
; %bb.5697:                             ;   in Loop: Header=BB6_4903 Depth=2
	s_or_saveexec_b32 s24, s24
	v_mov_b32_e32 v89, s23
	s_xor_b32 exec_lo, exec_lo, s24
	s_cbranch_execnz .LBB6_6969
.LBB6_5698:                             ;   in Loop: Header=BB6_4903 Depth=2
	s_or_b32 exec_lo, exec_lo, s24
	s_and_saveexec_b32 s23, s7
	s_cbranch_execz .LBB6_5700
.LBB6_5699:                             ;   in Loop: Header=BB6_4903 Depth=2
	v_bfe_u32 v92, v115, 3, 4
	s_delay_alu instid0(VALU_DEP_1) | instskip(SKIP_1) | instid1(VALU_DEP_1)
	v_cmp_eq_u32_e32 vcc_lo, 0, v92
	v_and_b32_e32 v89, 7, v115
	v_clz_i32_u32_e32 v90, v89
	s_delay_alu instid0(VALU_DEP_1) | instskip(NEXT) | instid1(VALU_DEP_1)
	v_min_u32_e32 v90, 32, v90
	v_subrev_nc_u32_e32 v91, 28, v90
	v_sub_nc_u32_e32 v90, 29, v90
	s_delay_alu instid0(VALU_DEP_1) | instskip(SKIP_1) | instid1(VALU_DEP_2)
	v_dual_cndmask_b32 v90, v92, v90 :: v_dual_lshlrev_b32 v91, v91, v115
	v_lshlrev_b32_e32 v115, 24, v115
	v_and_b32_e32 v91, 7, v91
	s_delay_alu instid0(VALU_DEP_3) | instskip(NEXT) | instid1(VALU_DEP_3)
	v_lshl_add_u32 v90, v90, 23, 0x3b800000
	v_and_b32_e32 v115, 0x80000000, v115
	s_delay_alu instid0(VALU_DEP_3) | instskip(NEXT) | instid1(VALU_DEP_1)
	v_cndmask_b32_e32 v89, v89, v91, vcc_lo
	v_lshlrev_b32_e32 v89, 20, v89
	s_delay_alu instid0(VALU_DEP_1)
	v_or3_b32 v89, v115, v90, v89
.LBB6_5700:                             ;   in Loop: Header=BB6_4903 Depth=2
	s_or_b32 exec_lo, exec_lo, s23
	v_lshrrev_b16 v115, 8, v22
	s_mov_b32 s7, 0
	s_mov_b32 s24, exec_lo
                                        ; implicit-def: $sgpr23
	s_delay_alu instid0(VALU_DEP_1)
	v_cmpx_lt_i16_e32 0x7f, v115
	s_xor_b32 s24, exec_lo, s24
	s_cbranch_execnz .LBB6_6970
; %bb.5701:                             ;   in Loop: Header=BB6_4903 Depth=2
	s_or_saveexec_b32 s24, s24
	v_mov_b32_e32 v90, s23
	s_xor_b32 exec_lo, exec_lo, s24
	s_cbranch_execnz .LBB6_6973
.LBB6_5702:                             ;   in Loop: Header=BB6_4903 Depth=2
	s_or_b32 exec_lo, exec_lo, s24
	s_and_saveexec_b32 s23, s7
	s_cbranch_execz .LBB6_5704
.LBB6_5703:                             ;   in Loop: Header=BB6_4903 Depth=2
	v_and_b32_e32 v90, 0xffff, v115
	v_lshlrev_b32_e32 v115, 24, v115
	s_delay_alu instid0(VALU_DEP_2) | instskip(NEXT) | instid1(VALU_DEP_2)
	v_and_b32_e32 v91, 7, v90
	v_and_b32_e32 v115, 0x80000000, v115
	s_delay_alu instid0(VALU_DEP_2) | instskip(NEXT) | instid1(VALU_DEP_1)
	v_clz_i32_u32_e32 v92, v91
	v_min_u32_e32 v92, 32, v92
	s_delay_alu instid0(VALU_DEP_1) | instskip(SKIP_1) | instid1(VALU_DEP_2)
	v_subrev_nc_u32_e32 v93, 28, v92
	v_sub_nc_u32_e32 v92, 29, v92
	v_lshlrev_b32_e32 v93, v93, v90
	v_bfe_u32 v90, v90, 3, 4
	s_delay_alu instid0(VALU_DEP_2) | instskip(NEXT) | instid1(VALU_DEP_2)
	v_and_b32_e32 v93, 7, v93
	v_cmp_eq_u32_e32 vcc_lo, 0, v90
	s_delay_alu instid0(VALU_DEP_2) | instskip(NEXT) | instid1(VALU_DEP_1)
	v_dual_cndmask_b32 v90, v90, v92 :: v_dual_cndmask_b32 v91, v91, v93
	v_lshl_add_u32 v90, v90, 23, 0x3b800000
	s_delay_alu instid0(VALU_DEP_2) | instskip(NEXT) | instid1(VALU_DEP_1)
	v_lshlrev_b32_e32 v91, 20, v91
	v_or3_b32 v90, v115, v90, v91
.LBB6_5704:                             ;   in Loop: Header=BB6_4903 Depth=2
	s_or_b32 exec_lo, exec_lo, s23
	s_delay_alu instid0(VALU_DEP_1) | instskip(NEXT) | instid1(VALU_DEP_1)
	v_add_f32_e32 v89, v89, v90
	v_and_b32_e32 v115, 0x7f800000, v89
	s_delay_alu instid0(VALU_DEP_1)
	v_cmp_ne_u32_e32 vcc_lo, 0x7f800000, v115
	v_mov_b32_e32 v115, 0x80
	s_and_saveexec_b32 s23, vcc_lo
	s_cbranch_execz .LBB6_5712
; %bb.5705:                             ;   in Loop: Header=BB6_4903 Depth=2
	v_mov_b32_e32 v115, 0
	s_mov_b32 s24, exec_lo
	v_cmpx_ne_u32_e32 0, v89
	s_cbranch_execz .LBB6_5711
; %bb.5706:                             ;   in Loop: Header=BB6_4903 Depth=2
	v_bfe_u32 v115, v89, 23, 8
	s_delay_alu instid0(VALU_DEP_1) | instskip(SKIP_1) | instid1(VALU_DEP_2)
	v_sub_nc_u32_e32 v91, 0x78, v115
	v_cmp_gt_u32_e32 vcc_lo, 0x79, v115
	v_dual_cndmask_b32 v91, 0, v91 :: v_dual_and_b32 v90, 0x7fffff, v89
	s_delay_alu instid0(VALU_DEP_1) | instskip(SKIP_2) | instid1(VALU_DEP_4)
	v_or_b32_e32 v92, 0x800000, v90
	v_cmp_eq_u32_e32 vcc_lo, 0, v115
	v_add_nc_u32_e32 v115, 0xffffff89, v115
	v_cndmask_b32_e64 v91, v91, 0x77, vcc_lo
	s_delay_alu instid0(VALU_DEP_4) | instskip(NEXT) | instid1(VALU_DEP_3)
	v_cndmask_b32_e32 v90, v92, v90, vcc_lo
	v_cndmask_b32_e64 v115, v115, 0xffffff8a, vcc_lo
	s_delay_alu instid0(VALU_DEP_3) | instskip(NEXT) | instid1(VALU_DEP_3)
	v_lshl_add_u32 v92, 0x100000, v91, -1
	v_lshrrev_b32_e32 v93, v91, v90
	v_lshlrev_b32_e64 v95, v91, 0x80000
	s_delay_alu instid0(VALU_DEP_4) | instskip(NEXT) | instid1(VALU_DEP_4)
	v_add_nc_u32_e32 v91, v91, v115
	v_and_b32_e32 v90, v92, v90
	s_delay_alu instid0(VALU_DEP_4) | instskip(NEXT) | instid1(VALU_DEP_2)
	v_bfe_u32 v94, v93, 20, 1
	v_cmp_eq_u32_e64 s7, v90, v95
	s_delay_alu instid0(VALU_DEP_2) | instskip(NEXT) | instid1(VALU_DEP_1)
	v_add_nc_u32_e32 v92, -1, v94
	v_cndmask_b32_e64 v90, 0, v92, s7
	v_lshrrev_b32_e32 v92, 23, v93
	s_mov_b32 s7, exec_lo
	s_delay_alu instid0(VALU_DEP_2) | instskip(NEXT) | instid1(VALU_DEP_2)
	v_add_nc_u32_e32 v90, v90, v93
	v_xor_b32_e32 v92, 1, v92
	s_delay_alu instid0(VALU_DEP_2) | instskip(NEXT) | instid1(VALU_DEP_1)
	v_and_b32_e32 v115, 0xfffff, v90
	v_add_nc_u32_e32 v90, v115, v93
                                        ; implicit-def: $vgpr115
	s_delay_alu instid0(VALU_DEP_3)
	v_cmpx_ne_u32_e64 v91, v92
	s_xor_b32 s7, exec_lo, s7
; %bb.5707:                             ;   in Loop: Header=BB6_4903 Depth=2
	s_delay_alu instid0(VALU_DEP_2) | instskip(SKIP_2) | instid1(VALU_DEP_2)
	v_cmp_lt_u32_e32 vcc_lo, 0xffffff, v90
	v_sub_nc_u32_e32 v115, v91, v92
	v_cndmask_b32_e64 v91, 0, 1, vcc_lo
	v_add_co_ci_u32_e32 v115, vcc_lo, 0, v115, vcc_lo
	s_delay_alu instid0(VALU_DEP_2)
	v_lshrrev_b32_e32 v90, v91, v90
; %bb.5708:                             ;   in Loop: Header=BB6_4903 Depth=2
	s_and_not1_saveexec_b32 s7, s7
; %bb.5709:                             ;   in Loop: Header=BB6_4903 Depth=2
	s_delay_alu instid0(VALU_DEP_1)
	v_bfe_u32 v115, v90, 23, 1
; %bb.5710:                             ;   in Loop: Header=BB6_4903 Depth=2
	s_or_b32 exec_lo, exec_lo, s7
	v_lshrrev_b32_e32 v90, 20, v90
	s_delay_alu instid0(VALU_DEP_2) | instskip(SKIP_2) | instid1(VALU_DEP_2)
	v_cmp_gt_i32_e32 vcc_lo, 16, v115
	v_lshrrev_b32_e32 v89, 24, v89
	v_min_i32_e32 v91, 15, v115
	v_dual_cndmask_b32 v90, 7, v90 :: v_dual_and_b32 v89, 0x80, v89
	s_delay_alu instid0(VALU_DEP_2) | instskip(NEXT) | instid1(VALU_DEP_2)
	v_lshlrev_b32_e32 v91, 3, v91
	v_or_b32_e32 v115, v115, v90
	s_delay_alu instid0(VALU_DEP_1) | instskip(SKIP_1) | instid1(VALU_DEP_1)
	v_cmp_ne_u32_e32 vcc_lo, 0, v115
	v_and_b32_e32 v92, 7, v90
	v_or3_b32 v89, v91, v89, v92
	s_delay_alu instid0(VALU_DEP_1)
	v_cndmask_b32_e32 v115, 0, v89, vcc_lo
.LBB6_5711:                             ;   in Loop: Header=BB6_4903 Depth=2
	s_or_b32 exec_lo, exec_lo, s24
.LBB6_5712:                             ;   in Loop: Header=BB6_4903 Depth=2
	s_delay_alu instid0(SALU_CYCLE_1) | instskip(SKIP_3) | instid1(VALU_DEP_1)
	s_or_b32 exec_lo, exec_lo, s23
	v_and_b32_e32 v90, 0xff, v130
	s_mov_b32 s7, 0
	s_mov_b32 s24, exec_lo
                                        ; implicit-def: $sgpr23
	v_cmpx_lt_i16_e32 0x7f, v90
	s_xor_b32 s24, exec_lo, s24
	s_cbranch_execnz .LBB6_6974
; %bb.5713:                             ;   in Loop: Header=BB6_4903 Depth=2
	s_or_saveexec_b32 s24, s24
	v_mov_b32_e32 v89, s23
	s_xor_b32 exec_lo, exec_lo, s24
	s_cbranch_execnz .LBB6_6977
.LBB6_5714:                             ;   in Loop: Header=BB6_4903 Depth=2
	s_or_b32 exec_lo, exec_lo, s24
	s_and_saveexec_b32 s23, s7
	s_cbranch_execz .LBB6_5716
.LBB6_5715:                             ;   in Loop: Header=BB6_4903 Depth=2
	v_and_b32_e32 v89, 7, v130
	v_bfe_u32 v92, v130, 3, 4
	s_delay_alu instid0(VALU_DEP_2) | instskip(NEXT) | instid1(VALU_DEP_2)
	v_clz_i32_u32_e32 v90, v89
	v_cmp_eq_u32_e32 vcc_lo, 0, v92
	s_delay_alu instid0(VALU_DEP_2) | instskip(NEXT) | instid1(VALU_DEP_1)
	v_min_u32_e32 v90, 32, v90
	v_subrev_nc_u32_e32 v91, 28, v90
	v_sub_nc_u32_e32 v90, 29, v90
	s_delay_alu instid0(VALU_DEP_2) | instskip(NEXT) | instid1(VALU_DEP_1)
	v_lshlrev_b32_e32 v91, v91, v130
	v_dual_cndmask_b32 v90, v92, v90 :: v_dual_and_b32 v91, 7, v91
	v_lshlrev_b32_e32 v130, 24, v130
	s_delay_alu instid0(VALU_DEP_2) | instskip(NEXT) | instid1(VALU_DEP_2)
	v_lshl_add_u32 v90, v90, 23, 0x3b800000
	v_dual_cndmask_b32 v89, v89, v91 :: v_dual_and_b32 v130, 0x80000000, v130
	s_delay_alu instid0(VALU_DEP_1) | instskip(NEXT) | instid1(VALU_DEP_1)
	v_lshlrev_b32_e32 v89, 20, v89
	v_or3_b32 v89, v130, v90, v89
.LBB6_5716:                             ;   in Loop: Header=BB6_4903 Depth=2
	s_or_b32 exec_lo, exec_lo, s23
	v_lshrrev_b32_e32 v130, 16, v22
	s_mov_b32 s7, 0
	s_mov_b32 s24, exec_lo
                                        ; implicit-def: $sgpr23
	s_delay_alu instid0(VALU_DEP_1) | instskip(NEXT) | instid1(VALU_DEP_1)
	v_and_b32_e32 v91, 0xff, v130
	v_cmpx_lt_i16_e32 0x7f, v91
	s_xor_b32 s24, exec_lo, s24
	s_cbranch_execnz .LBB6_6978
; %bb.5717:                             ;   in Loop: Header=BB6_4903 Depth=2
	s_or_saveexec_b32 s24, s24
	v_mov_b32_e32 v90, s23
	s_xor_b32 exec_lo, exec_lo, s24
	s_cbranch_execnz .LBB6_6981
.LBB6_5718:                             ;   in Loop: Header=BB6_4903 Depth=2
	s_or_b32 exec_lo, exec_lo, s24
	s_and_saveexec_b32 s23, s7
	s_cbranch_execz .LBB6_5720
.LBB6_5719:                             ;   in Loop: Header=BB6_4903 Depth=2
	v_bfe_u32 v90, v22, 16, 3
	v_lshlrev_b32_e32 v93, 8, v22
	s_delay_alu instid0(VALU_DEP_2) | instskip(NEXT) | instid1(VALU_DEP_1)
	v_clz_i32_u32_e32 v91, v90
	v_min_u32_e32 v91, 32, v91
	s_delay_alu instid0(VALU_DEP_1) | instskip(SKIP_1) | instid1(VALU_DEP_2)
	v_subrev_nc_u32_e32 v92, 28, v91
	v_sub_nc_u32_e32 v91, 29, v91
	v_lshlrev_b32_e32 v130, v92, v130
	v_bfe_u32 v92, v22, 19, 4
	s_delay_alu instid0(VALU_DEP_1) | instskip(NEXT) | instid1(VALU_DEP_3)
	v_cmp_eq_u32_e32 vcc_lo, 0, v92
	v_dual_cndmask_b32 v91, v92, v91 :: v_dual_and_b32 v130, 7, v130
	s_delay_alu instid0(VALU_DEP_1) | instskip(SKIP_1) | instid1(VALU_DEP_3)
	v_cndmask_b32_e32 v130, v90, v130, vcc_lo
	v_and_b32_e32 v90, 0x80000000, v93
	v_lshl_add_u32 v91, v91, 23, 0x3b800000
	s_delay_alu instid0(VALU_DEP_3) | instskip(NEXT) | instid1(VALU_DEP_1)
	v_lshlrev_b32_e32 v130, 20, v130
	v_or3_b32 v90, v90, v91, v130
.LBB6_5720:                             ;   in Loop: Header=BB6_4903 Depth=2
	s_or_b32 exec_lo, exec_lo, s23
	s_delay_alu instid0(VALU_DEP_1) | instskip(NEXT) | instid1(VALU_DEP_1)
	v_add_f32_e32 v89, v89, v90
	v_and_b32_e32 v130, 0x7f800000, v89
	s_delay_alu instid0(VALU_DEP_1)
	v_cmp_ne_u32_e32 vcc_lo, 0x7f800000, v130
	v_mov_b32_e32 v130, 0x80
	s_and_saveexec_b32 s23, vcc_lo
	s_cbranch_execz .LBB6_5728
; %bb.5721:                             ;   in Loop: Header=BB6_4903 Depth=2
	v_mov_b32_e32 v130, 0
	s_mov_b32 s24, exec_lo
	v_cmpx_ne_u32_e32 0, v89
	s_cbranch_execz .LBB6_5727
; %bb.5722:                             ;   in Loop: Header=BB6_4903 Depth=2
	v_bfe_u32 v130, v89, 23, 8
	s_delay_alu instid0(VALU_DEP_1) | instskip(SKIP_1) | instid1(VALU_DEP_2)
	v_sub_nc_u32_e32 v91, 0x78, v130
	v_cmp_gt_u32_e32 vcc_lo, 0x79, v130
	v_dual_cndmask_b32 v91, 0, v91 :: v_dual_and_b32 v90, 0x7fffff, v89
	s_delay_alu instid0(VALU_DEP_1) | instskip(SKIP_2) | instid1(VALU_DEP_4)
	v_or_b32_e32 v92, 0x800000, v90
	v_cmp_eq_u32_e32 vcc_lo, 0, v130
	v_add_nc_u32_e32 v130, 0xffffff89, v130
	v_cndmask_b32_e64 v91, v91, 0x77, vcc_lo
	s_delay_alu instid0(VALU_DEP_4) | instskip(NEXT) | instid1(VALU_DEP_3)
	v_cndmask_b32_e32 v90, v92, v90, vcc_lo
	v_cndmask_b32_e64 v130, v130, 0xffffff8a, vcc_lo
	s_delay_alu instid0(VALU_DEP_3) | instskip(NEXT) | instid1(VALU_DEP_3)
	v_lshl_add_u32 v92, 0x100000, v91, -1
	v_lshrrev_b32_e32 v93, v91, v90
	v_lshlrev_b32_e64 v95, v91, 0x80000
	s_delay_alu instid0(VALU_DEP_4) | instskip(NEXT) | instid1(VALU_DEP_4)
	v_add_nc_u32_e32 v91, v91, v130
	v_and_b32_e32 v90, v92, v90
	s_delay_alu instid0(VALU_DEP_4) | instskip(NEXT) | instid1(VALU_DEP_2)
	v_bfe_u32 v94, v93, 20, 1
	v_cmp_eq_u32_e64 s7, v90, v95
	s_delay_alu instid0(VALU_DEP_2) | instskip(NEXT) | instid1(VALU_DEP_1)
	v_add_nc_u32_e32 v92, -1, v94
	v_cndmask_b32_e64 v90, 0, v92, s7
	v_lshrrev_b32_e32 v92, 23, v93
	s_mov_b32 s7, exec_lo
	s_delay_alu instid0(VALU_DEP_2) | instskip(NEXT) | instid1(VALU_DEP_2)
	v_add_nc_u32_e32 v90, v90, v93
	v_xor_b32_e32 v92, 1, v92
	s_delay_alu instid0(VALU_DEP_2) | instskip(NEXT) | instid1(VALU_DEP_1)
	v_and_b32_e32 v130, 0xfffff, v90
	v_add_nc_u32_e32 v90, v130, v93
                                        ; implicit-def: $vgpr130
	s_delay_alu instid0(VALU_DEP_3)
	v_cmpx_ne_u32_e64 v91, v92
	s_xor_b32 s7, exec_lo, s7
; %bb.5723:                             ;   in Loop: Header=BB6_4903 Depth=2
	s_delay_alu instid0(VALU_DEP_2) | instskip(SKIP_2) | instid1(VALU_DEP_2)
	v_cmp_lt_u32_e32 vcc_lo, 0xffffff, v90
	v_sub_nc_u32_e32 v130, v91, v92
	v_cndmask_b32_e64 v91, 0, 1, vcc_lo
	v_add_co_ci_u32_e32 v130, vcc_lo, 0, v130, vcc_lo
	s_delay_alu instid0(VALU_DEP_2)
	v_lshrrev_b32_e32 v90, v91, v90
; %bb.5724:                             ;   in Loop: Header=BB6_4903 Depth=2
	s_and_not1_saveexec_b32 s7, s7
; %bb.5725:                             ;   in Loop: Header=BB6_4903 Depth=2
	s_delay_alu instid0(VALU_DEP_1)
	v_bfe_u32 v130, v90, 23, 1
; %bb.5726:                             ;   in Loop: Header=BB6_4903 Depth=2
	s_or_b32 exec_lo, exec_lo, s7
	v_lshrrev_b32_e32 v90, 20, v90
	s_delay_alu instid0(VALU_DEP_2) | instskip(SKIP_2) | instid1(VALU_DEP_2)
	v_cmp_gt_i32_e32 vcc_lo, 16, v130
	v_lshrrev_b32_e32 v89, 24, v89
	v_min_i32_e32 v91, 15, v130
	v_dual_cndmask_b32 v90, 7, v90 :: v_dual_and_b32 v89, 0x80, v89
	s_delay_alu instid0(VALU_DEP_1) | instskip(SKIP_1) | instid1(VALU_DEP_2)
	v_or_b32_e32 v130, v130, v90
	v_and_b32_e32 v92, 7, v90
	v_cmp_ne_u32_e32 vcc_lo, 0, v130
	v_lshlrev_b32_e32 v91, 3, v91
	s_delay_alu instid0(VALU_DEP_1) | instskip(NEXT) | instid1(VALU_DEP_1)
	v_or3_b32 v89, v91, v89, v92
	v_cndmask_b32_e32 v130, 0, v89, vcc_lo
.LBB6_5727:                             ;   in Loop: Header=BB6_4903 Depth=2
	s_or_b32 exec_lo, exec_lo, s24
.LBB6_5728:                             ;   in Loop: Header=BB6_4903 Depth=2
	s_delay_alu instid0(SALU_CYCLE_1) | instskip(SKIP_3) | instid1(VALU_DEP_1)
	s_or_b32 exec_lo, exec_lo, s23
	v_and_b32_e32 v90, 0xff, v149
	s_mov_b32 s7, 0
	s_mov_b32 s24, exec_lo
                                        ; implicit-def: $sgpr23
	v_cmpx_lt_i16_e32 0x7f, v90
	s_xor_b32 s24, exec_lo, s24
	s_cbranch_execnz .LBB6_6982
; %bb.5729:                             ;   in Loop: Header=BB6_4903 Depth=2
	s_or_saveexec_b32 s24, s24
	v_mov_b32_e32 v89, s23
	s_xor_b32 exec_lo, exec_lo, s24
	s_cbranch_execnz .LBB6_6985
.LBB6_5730:                             ;   in Loop: Header=BB6_4903 Depth=2
	s_or_b32 exec_lo, exec_lo, s24
	s_and_saveexec_b32 s23, s7
	s_cbranch_execz .LBB6_5732
.LBB6_5731:                             ;   in Loop: Header=BB6_4903 Depth=2
	v_lshlrev_b32_e32 v149, 8, v149
	s_delay_alu instid0(VALU_DEP_1) | instskip(SKIP_1) | instid1(VALU_DEP_2)
	v_and_b32_e32 v89, 0xff00, v149
	v_bfe_u32 v149, v149, 11, 4
	v_bfe_u32 v91, v89, 8, 3
	s_delay_alu instid0(VALU_DEP_2) | instskip(SKIP_1) | instid1(VALU_DEP_3)
	v_cmp_eq_u32_e32 vcc_lo, 0, v149
	v_lshlrev_b32_e32 v89, 16, v89
	v_clz_i32_u32_e32 v92, v91
	s_delay_alu instid0(VALU_DEP_2) | instskip(NEXT) | instid1(VALU_DEP_2)
	v_and_b32_e32 v89, 0x80000000, v89
	v_min_u32_e32 v92, 32, v92
	s_delay_alu instid0(VALU_DEP_1) | instskip(SKIP_1) | instid1(VALU_DEP_2)
	v_subrev_nc_u32_e32 v93, 28, v92
	v_sub_nc_u32_e32 v92, 29, v92
	v_lshlrev_b32_e32 v90, v93, v90
	s_delay_alu instid0(VALU_DEP_1) | instskip(NEXT) | instid1(VALU_DEP_1)
	v_dual_cndmask_b32 v149, v149, v92 :: v_dual_and_b32 v90, 7, v90
	v_lshl_add_u32 v149, v149, 23, 0x3b800000
	s_delay_alu instid0(VALU_DEP_2) | instskip(NEXT) | instid1(VALU_DEP_1)
	v_cndmask_b32_e32 v90, v91, v90, vcc_lo
	v_lshlrev_b32_e32 v90, 20, v90
	s_delay_alu instid0(VALU_DEP_1)
	v_or3_b32 v89, v89, v149, v90
.LBB6_5732:                             ;   in Loop: Header=BB6_4903 Depth=2
	s_or_b32 exec_lo, exec_lo, s23
	v_lshrrev_b32_e32 v149, 24, v22
	s_mov_b32 s7, 0
	s_mov_b32 s24, exec_lo
                                        ; implicit-def: $sgpr23
	s_delay_alu instid0(VALU_DEP_1)
	v_cmpx_lt_i16_e64 0x7f, v149
	s_xor_b32 s24, exec_lo, s24
	s_cbranch_execnz .LBB6_6986
; %bb.5733:                             ;   in Loop: Header=BB6_4903 Depth=2
	s_or_saveexec_b32 s24, s24
	v_mov_b32_e32 v90, s23
	s_xor_b32 exec_lo, exec_lo, s24
	s_cbranch_execnz .LBB6_6989
.LBB6_5734:                             ;   in Loop: Header=BB6_4903 Depth=2
	s_or_b32 exec_lo, exec_lo, s24
	s_and_saveexec_b32 s23, s7
	s_cbranch_execz .LBB6_5736
.LBB6_5735:                             ;   in Loop: Header=BB6_4903 Depth=2
	v_bfe_u32 v90, v22, 24, 3
	s_delay_alu instid0(VALU_DEP_1) | instskip(NEXT) | instid1(VALU_DEP_1)
	v_clz_i32_u32_e32 v91, v90
	v_min_u32_e32 v91, 32, v91
	s_delay_alu instid0(VALU_DEP_1) | instskip(SKIP_1) | instid1(VALU_DEP_2)
	v_subrev_nc_u32_e32 v92, 28, v91
	v_sub_nc_u32_e32 v91, 29, v91
	v_lshlrev_b32_e32 v149, v92, v149
	v_bfe_u32 v92, v22, 27, 4
	v_and_b32_e32 v22, 0x80000000, v22
	s_delay_alu instid0(VALU_DEP_3) | instskip(NEXT) | instid1(VALU_DEP_3)
	v_and_b32_e32 v149, 7, v149
	v_cmp_eq_u32_e32 vcc_lo, 0, v92
	v_cndmask_b32_e32 v91, v92, v91, vcc_lo
	s_delay_alu instid0(VALU_DEP_3) | instskip(NEXT) | instid1(VALU_DEP_2)
	v_cndmask_b32_e32 v149, v90, v149, vcc_lo
	v_lshl_add_u32 v90, v91, 23, 0x3b800000
	s_delay_alu instid0(VALU_DEP_2) | instskip(NEXT) | instid1(VALU_DEP_1)
	v_lshlrev_b32_e32 v149, 20, v149
	v_or3_b32 v90, v22, v90, v149
.LBB6_5736:                             ;   in Loop: Header=BB6_4903 Depth=2
	s_or_b32 exec_lo, exec_lo, s23
	s_delay_alu instid0(VALU_DEP_1) | instskip(NEXT) | instid1(VALU_DEP_1)
	v_add_f32_e32 v149, v89, v90
	v_and_b32_e32 v22, 0x7f800000, v149
	s_delay_alu instid0(VALU_DEP_1)
	v_cmp_ne_u32_e32 vcc_lo, 0x7f800000, v22
	v_mov_b32_e32 v22, 0x80
	s_and_saveexec_b32 s23, vcc_lo
	s_cbranch_execz .LBB6_5744
; %bb.5737:                             ;   in Loop: Header=BB6_4903 Depth=2
	v_mov_b32_e32 v22, 0
	s_mov_b32 s24, exec_lo
	v_cmpx_ne_u32_e32 0, v149
	s_cbranch_execz .LBB6_5743
; %bb.5738:                             ;   in Loop: Header=BB6_4903 Depth=2
	v_bfe_u32 v22, v149, 23, 8
	s_delay_alu instid0(VALU_DEP_1) | instskip(SKIP_1) | instid1(VALU_DEP_2)
	v_sub_nc_u32_e32 v90, 0x78, v22
	v_cmp_gt_u32_e32 vcc_lo, 0x79, v22
	v_dual_cndmask_b32 v90, 0, v90 :: v_dual_and_b32 v89, 0x7fffff, v149
	s_delay_alu instid0(VALU_DEP_1) | instskip(SKIP_2) | instid1(VALU_DEP_4)
	v_or_b32_e32 v91, 0x800000, v89
	v_cmp_eq_u32_e32 vcc_lo, 0, v22
	v_add_nc_u32_e32 v22, 0xffffff89, v22
	v_cndmask_b32_e64 v90, v90, 0x77, vcc_lo
	s_delay_alu instid0(VALU_DEP_4) | instskip(NEXT) | instid1(VALU_DEP_3)
	v_cndmask_b32_e32 v89, v91, v89, vcc_lo
	v_cndmask_b32_e64 v22, v22, 0xffffff8a, vcc_lo
	s_delay_alu instid0(VALU_DEP_3) | instskip(NEXT) | instid1(VALU_DEP_3)
	v_lshl_add_u32 v91, 0x100000, v90, -1
	v_lshrrev_b32_e32 v92, v90, v89
	v_lshlrev_b32_e64 v94, v90, 0x80000
	s_delay_alu instid0(VALU_DEP_4) | instskip(NEXT) | instid1(VALU_DEP_4)
	v_add_nc_u32_e32 v90, v90, v22
	v_and_b32_e32 v89, v91, v89
	s_delay_alu instid0(VALU_DEP_4) | instskip(NEXT) | instid1(VALU_DEP_2)
	v_bfe_u32 v93, v92, 20, 1
	v_cmp_eq_u32_e64 s7, v89, v94
	s_delay_alu instid0(VALU_DEP_2) | instskip(NEXT) | instid1(VALU_DEP_1)
	v_add_nc_u32_e32 v91, -1, v93
	v_cndmask_b32_e64 v89, 0, v91, s7
	v_lshrrev_b32_e32 v91, 23, v92
	s_mov_b32 s7, exec_lo
	s_delay_alu instid0(VALU_DEP_2) | instskip(NEXT) | instid1(VALU_DEP_2)
	v_add_nc_u32_e32 v89, v89, v92
	v_xor_b32_e32 v91, 1, v91
	s_delay_alu instid0(VALU_DEP_2) | instskip(NEXT) | instid1(VALU_DEP_1)
	v_and_b32_e32 v22, 0xfffff, v89
	v_add_nc_u32_e32 v89, v22, v92
                                        ; implicit-def: $vgpr22
	s_delay_alu instid0(VALU_DEP_3)
	v_cmpx_ne_u32_e64 v90, v91
	s_xor_b32 s7, exec_lo, s7
; %bb.5739:                             ;   in Loop: Header=BB6_4903 Depth=2
	s_delay_alu instid0(VALU_DEP_2) | instskip(SKIP_2) | instid1(VALU_DEP_2)
	v_cmp_lt_u32_e32 vcc_lo, 0xffffff, v89
	v_sub_nc_u32_e32 v22, v90, v91
	v_cndmask_b32_e64 v90, 0, 1, vcc_lo
	v_add_co_ci_u32_e32 v22, vcc_lo, 0, v22, vcc_lo
	s_delay_alu instid0(VALU_DEP_2)
	v_lshrrev_b32_e32 v89, v90, v89
; %bb.5740:                             ;   in Loop: Header=BB6_4903 Depth=2
	s_and_not1_saveexec_b32 s7, s7
; %bb.5741:                             ;   in Loop: Header=BB6_4903 Depth=2
	s_delay_alu instid0(VALU_DEP_1)
	v_bfe_u32 v22, v89, 23, 1
; %bb.5742:                             ;   in Loop: Header=BB6_4903 Depth=2
	s_or_b32 exec_lo, exec_lo, s7
	v_lshrrev_b32_e32 v89, 20, v89
	s_delay_alu instid0(VALU_DEP_2) | instskip(SKIP_2) | instid1(VALU_DEP_4)
	v_cmp_gt_i32_e32 vcc_lo, 16, v22
	v_lshrrev_b32_e32 v149, 24, v149
	v_min_i32_e32 v90, 15, v22
	v_cndmask_b32_e32 v89, 7, v89, vcc_lo
	s_delay_alu instid0(VALU_DEP_3) | instskip(NEXT) | instid1(VALU_DEP_3)
	v_and_b32_e32 v149, 0x80, v149
	v_lshlrev_b32_e32 v90, 3, v90
	s_delay_alu instid0(VALU_DEP_3) | instskip(SKIP_1) | instid1(VALU_DEP_2)
	v_and_b32_e32 v91, 7, v89
	v_or_b32_e32 v22, v22, v89
	v_or3_b32 v149, v90, v149, v91
	s_delay_alu instid0(VALU_DEP_2) | instskip(NEXT) | instid1(VALU_DEP_2)
	v_cmp_ne_u32_e32 vcc_lo, 0, v22
	v_cndmask_b32_e32 v22, 0, v149, vcc_lo
.LBB6_5743:                             ;   in Loop: Header=BB6_4903 Depth=2
	s_or_b32 exec_lo, exec_lo, s24
.LBB6_5744:                             ;   in Loop: Header=BB6_4903 Depth=2
	s_delay_alu instid0(SALU_CYCLE_1) | instskip(SKIP_3) | instid1(VALU_DEP_1)
	s_or_b32 exec_lo, exec_lo, s23
	v_or_b32_e32 v88, v88, v145
	s_mov_b32 s7, 0
	s_mov_b32 s24, exec_lo
                                        ; implicit-def: $sgpr23
	v_and_b32_e32 v149, 0xff, v88
	s_delay_alu instid0(VALU_DEP_1)
	v_cmpx_lt_i16_e64 0x7f, v149
	s_xor_b32 s24, exec_lo, s24
	s_cbranch_execnz .LBB6_6990
; %bb.5745:                             ;   in Loop: Header=BB6_4903 Depth=2
	s_or_saveexec_b32 s24, s24
	v_mov_b32_e32 v145, s23
	s_xor_b32 exec_lo, exec_lo, s24
	s_cbranch_execnz .LBB6_6993
.LBB6_5746:                             ;   in Loop: Header=BB6_4903 Depth=2
	s_or_b32 exec_lo, exec_lo, s24
	s_and_saveexec_b32 s23, s7
	s_cbranch_execz .LBB6_5748
.LBB6_5747:                             ;   in Loop: Header=BB6_4903 Depth=2
	v_and_b32_e32 v145, 7, v88
	v_bfe_u32 v90, v88, 3, 4
	v_lshlrev_b32_e32 v91, 24, v88
	s_delay_alu instid0(VALU_DEP_3) | instskip(NEXT) | instid1(VALU_DEP_3)
	v_clz_i32_u32_e32 v149, v145
	v_cmp_eq_u32_e32 vcc_lo, 0, v90
	s_delay_alu instid0(VALU_DEP_2) | instskip(NEXT) | instid1(VALU_DEP_1)
	v_min_u32_e32 v149, 32, v149
	v_subrev_nc_u32_e32 v89, 28, v149
	v_sub_nc_u32_e32 v149, 29, v149
	s_delay_alu instid0(VALU_DEP_2) | instskip(NEXT) | instid1(VALU_DEP_2)
	v_lshlrev_b32_e32 v89, v89, v88
	v_cndmask_b32_e32 v149, v90, v149, vcc_lo
	s_delay_alu instid0(VALU_DEP_2) | instskip(NEXT) | instid1(VALU_DEP_2)
	v_and_b32_e32 v89, 7, v89
	v_lshl_add_u32 v149, v149, 23, 0x3b800000
	s_delay_alu instid0(VALU_DEP_2) | instskip(SKIP_1) | instid1(VALU_DEP_2)
	v_cndmask_b32_e32 v145, v145, v89, vcc_lo
	v_and_b32_e32 v89, 0x80000000, v91
	v_lshlrev_b32_e32 v145, 20, v145
	s_delay_alu instid0(VALU_DEP_1)
	v_or3_b32 v145, v89, v149, v145
.LBB6_5748:                             ;   in Loop: Header=BB6_4903 Depth=2
	s_or_b32 exec_lo, exec_lo, s23
	v_and_b32_e32 v89, 0xff, v23
	s_mov_b32 s7, 0
	s_mov_b32 s24, exec_lo
                                        ; implicit-def: $sgpr23
	s_delay_alu instid0(VALU_DEP_1)
	v_cmpx_lt_i16_e32 0x7f, v89
	s_xor_b32 s24, exec_lo, s24
	s_cbranch_execnz .LBB6_6994
; %bb.5749:                             ;   in Loop: Header=BB6_4903 Depth=2
	s_or_saveexec_b32 s24, s24
	v_mov_b32_e32 v149, s23
	s_xor_b32 exec_lo, exec_lo, s24
	s_cbranch_execnz .LBB6_6997
.LBB6_5750:                             ;   in Loop: Header=BB6_4903 Depth=2
	s_or_b32 exec_lo, exec_lo, s24
	s_and_saveexec_b32 s23, s7
	s_cbranch_execz .LBB6_5752
.LBB6_5751:                             ;   in Loop: Header=BB6_4903 Depth=2
	v_and_b32_e32 v149, 7, v23
	v_bfe_u32 v91, v23, 3, 4
	s_delay_alu instid0(VALU_DEP_2) | instskip(NEXT) | instid1(VALU_DEP_2)
	v_clz_i32_u32_e32 v89, v149
	v_cmp_eq_u32_e32 vcc_lo, 0, v91
	s_delay_alu instid0(VALU_DEP_2) | instskip(NEXT) | instid1(VALU_DEP_1)
	v_min_u32_e32 v89, 32, v89
	v_subrev_nc_u32_e32 v90, 28, v89
	v_sub_nc_u32_e32 v89, 29, v89
	s_delay_alu instid0(VALU_DEP_1) | instskip(NEXT) | instid1(VALU_DEP_1)
	v_dual_cndmask_b32 v89, v91, v89 :: v_dual_lshlrev_b32 v90, v90, v23
	v_and_b32_e32 v90, 7, v90
	v_lshlrev_b32_e32 v92, 24, v23
	s_delay_alu instid0(VALU_DEP_3) | instskip(NEXT) | instid1(VALU_DEP_2)
	v_lshl_add_u32 v89, v89, 23, 0x3b800000
	v_dual_cndmask_b32 v149, v149, v90 :: v_dual_and_b32 v90, 0x80000000, v92
	s_delay_alu instid0(VALU_DEP_1) | instskip(NEXT) | instid1(VALU_DEP_1)
	v_lshlrev_b32_e32 v149, 20, v149
	v_or3_b32 v149, v90, v89, v149
.LBB6_5752:                             ;   in Loop: Header=BB6_4903 Depth=2
	s_or_b32 exec_lo, exec_lo, s23
	s_delay_alu instid0(VALU_DEP_1) | instskip(NEXT) | instid1(VALU_DEP_1)
	v_add_f32_e32 v149, v145, v149
	v_and_b32_e32 v145, 0x7f800000, v149
	s_delay_alu instid0(VALU_DEP_1)
	v_cmp_ne_u32_e32 vcc_lo, 0x7f800000, v145
	v_mov_b32_e32 v145, 0x80
	s_and_saveexec_b32 s23, vcc_lo
	s_cbranch_execz .LBB6_5760
; %bb.5753:                             ;   in Loop: Header=BB6_4903 Depth=2
	v_mov_b32_e32 v145, 0
	s_mov_b32 s24, exec_lo
	v_cmpx_ne_u32_e32 0, v149
	s_cbranch_execz .LBB6_5759
; %bb.5754:                             ;   in Loop: Header=BB6_4903 Depth=2
	v_bfe_u32 v145, v149, 23, 8
	s_delay_alu instid0(VALU_DEP_1) | instskip(SKIP_1) | instid1(VALU_DEP_2)
	v_sub_nc_u32_e32 v90, 0x78, v145
	v_cmp_gt_u32_e32 vcc_lo, 0x79, v145
	v_dual_cndmask_b32 v90, 0, v90 :: v_dual_and_b32 v89, 0x7fffff, v149
	s_delay_alu instid0(VALU_DEP_1) | instskip(SKIP_2) | instid1(VALU_DEP_4)
	v_or_b32_e32 v91, 0x800000, v89
	v_cmp_eq_u32_e32 vcc_lo, 0, v145
	v_add_nc_u32_e32 v145, 0xffffff89, v145
	v_cndmask_b32_e64 v90, v90, 0x77, vcc_lo
	s_delay_alu instid0(VALU_DEP_4) | instskip(NEXT) | instid1(VALU_DEP_3)
	v_cndmask_b32_e32 v89, v91, v89, vcc_lo
	v_cndmask_b32_e64 v145, v145, 0xffffff8a, vcc_lo
	s_delay_alu instid0(VALU_DEP_3) | instskip(NEXT) | instid1(VALU_DEP_3)
	v_lshl_add_u32 v91, 0x100000, v90, -1
	v_lshrrev_b32_e32 v92, v90, v89
	v_lshlrev_b32_e64 v94, v90, 0x80000
	s_delay_alu instid0(VALU_DEP_4) | instskip(NEXT) | instid1(VALU_DEP_4)
	v_add_nc_u32_e32 v90, v90, v145
	v_and_b32_e32 v89, v91, v89
	s_delay_alu instid0(VALU_DEP_4) | instskip(NEXT) | instid1(VALU_DEP_2)
	v_bfe_u32 v93, v92, 20, 1
	v_cmp_eq_u32_e64 s7, v89, v94
	s_delay_alu instid0(VALU_DEP_2) | instskip(NEXT) | instid1(VALU_DEP_1)
	v_add_nc_u32_e32 v91, -1, v93
	v_cndmask_b32_e64 v89, 0, v91, s7
	v_lshrrev_b32_e32 v91, 23, v92
	s_mov_b32 s7, exec_lo
	s_delay_alu instid0(VALU_DEP_2) | instskip(NEXT) | instid1(VALU_DEP_2)
	v_add_nc_u32_e32 v89, v89, v92
	v_xor_b32_e32 v91, 1, v91
	s_delay_alu instid0(VALU_DEP_2) | instskip(NEXT) | instid1(VALU_DEP_1)
	v_and_b32_e32 v145, 0xfffff, v89
	v_add_nc_u32_e32 v89, v145, v92
                                        ; implicit-def: $vgpr145
	s_delay_alu instid0(VALU_DEP_3)
	v_cmpx_ne_u32_e64 v90, v91
	s_xor_b32 s7, exec_lo, s7
; %bb.5755:                             ;   in Loop: Header=BB6_4903 Depth=2
	s_delay_alu instid0(VALU_DEP_2) | instskip(SKIP_2) | instid1(VALU_DEP_2)
	v_cmp_lt_u32_e32 vcc_lo, 0xffffff, v89
	v_sub_nc_u32_e32 v145, v90, v91
	v_cndmask_b32_e64 v90, 0, 1, vcc_lo
	v_add_co_ci_u32_e32 v145, vcc_lo, 0, v145, vcc_lo
	s_delay_alu instid0(VALU_DEP_2)
	v_lshrrev_b32_e32 v89, v90, v89
; %bb.5756:                             ;   in Loop: Header=BB6_4903 Depth=2
	s_and_not1_saveexec_b32 s7, s7
; %bb.5757:                             ;   in Loop: Header=BB6_4903 Depth=2
	s_delay_alu instid0(VALU_DEP_1)
	v_bfe_u32 v145, v89, 23, 1
; %bb.5758:                             ;   in Loop: Header=BB6_4903 Depth=2
	s_or_b32 exec_lo, exec_lo, s7
	v_lshrrev_b32_e32 v89, 20, v89
	s_delay_alu instid0(VALU_DEP_2) | instskip(SKIP_2) | instid1(VALU_DEP_4)
	v_cmp_gt_i32_e32 vcc_lo, 16, v145
	v_lshrrev_b32_e32 v149, 24, v149
	v_min_i32_e32 v90, 15, v145
	v_cndmask_b32_e32 v89, 7, v89, vcc_lo
	s_delay_alu instid0(VALU_DEP_3) | instskip(NEXT) | instid1(VALU_DEP_3)
	v_and_b32_e32 v149, 0x80, v149
	v_lshlrev_b32_e32 v90, 3, v90
	s_delay_alu instid0(VALU_DEP_3) | instskip(SKIP_1) | instid1(VALU_DEP_2)
	v_and_b32_e32 v91, 7, v89
	v_or_b32_e32 v145, v145, v89
	v_or3_b32 v149, v90, v149, v91
	s_delay_alu instid0(VALU_DEP_2) | instskip(NEXT) | instid1(VALU_DEP_2)
	v_cmp_ne_u32_e32 vcc_lo, 0, v145
	v_cndmask_b32_e32 v145, 0, v149, vcc_lo
.LBB6_5759:                             ;   in Loop: Header=BB6_4903 Depth=2
	s_or_b32 exec_lo, exec_lo, s24
.LBB6_5760:                             ;   in Loop: Header=BB6_4903 Depth=2
	s_delay_alu instid0(SALU_CYCLE_1) | instskip(SKIP_3) | instid1(VALU_DEP_1)
	s_or_b32 exec_lo, exec_lo, s23
	v_lshrrev_b16 v89, 8, v88
	s_mov_b32 s7, 0
	s_mov_b32 s24, exec_lo
                                        ; implicit-def: $sgpr23
	v_cmpx_lt_i16_e32 0x7f, v89
	s_xor_b32 s24, exec_lo, s24
	s_cbranch_execnz .LBB6_6998
; %bb.5761:                             ;   in Loop: Header=BB6_4903 Depth=2
	s_or_saveexec_b32 s24, s24
	v_mov_b32_e32 v149, s23
	s_xor_b32 exec_lo, exec_lo, s24
	s_cbranch_execnz .LBB6_7001
.LBB6_5762:                             ;   in Loop: Header=BB6_4903 Depth=2
	s_or_b32 exec_lo, exec_lo, s24
	s_and_saveexec_b32 s23, s7
	s_cbranch_execz .LBB6_5764
.LBB6_5763:                             ;   in Loop: Header=BB6_4903 Depth=2
	v_and_b32_e32 v149, 0xffff, v89
	v_lshlrev_b32_e32 v89, 24, v89
	s_delay_alu instid0(VALU_DEP_2) | instskip(NEXT) | instid1(VALU_DEP_2)
	v_and_b32_e32 v90, 7, v149
	v_and_b32_e32 v89, 0x80000000, v89
	s_delay_alu instid0(VALU_DEP_2) | instskip(NEXT) | instid1(VALU_DEP_1)
	v_clz_i32_u32_e32 v91, v90
	v_min_u32_e32 v91, 32, v91
	s_delay_alu instid0(VALU_DEP_1) | instskip(SKIP_1) | instid1(VALU_DEP_2)
	v_subrev_nc_u32_e32 v92, 28, v91
	v_sub_nc_u32_e32 v91, 29, v91
	v_lshlrev_b32_e32 v92, v92, v149
	v_bfe_u32 v149, v149, 3, 4
	s_delay_alu instid0(VALU_DEP_2) | instskip(NEXT) | instid1(VALU_DEP_2)
	v_and_b32_e32 v92, 7, v92
	v_cmp_eq_u32_e32 vcc_lo, 0, v149
	s_delay_alu instid0(VALU_DEP_2) | instskip(NEXT) | instid1(VALU_DEP_1)
	v_dual_cndmask_b32 v149, v149, v91 :: v_dual_cndmask_b32 v90, v90, v92
	v_lshl_add_u32 v149, v149, 23, 0x3b800000
	s_delay_alu instid0(VALU_DEP_2) | instskip(NEXT) | instid1(VALU_DEP_1)
	v_lshlrev_b32_e32 v90, 20, v90
	v_or3_b32 v149, v89, v149, v90
.LBB6_5764:                             ;   in Loop: Header=BB6_4903 Depth=2
	s_or_b32 exec_lo, exec_lo, s23
	v_lshrrev_b16 v89, 8, v23
	s_mov_b32 s7, 0
	s_mov_b32 s24, exec_lo
                                        ; implicit-def: $sgpr23
	s_delay_alu instid0(VALU_DEP_1)
	v_cmpx_lt_i16_e32 0x7f, v89
	s_xor_b32 s24, exec_lo, s24
	s_cbranch_execnz .LBB6_7002
; %bb.5765:                             ;   in Loop: Header=BB6_4903 Depth=2
	s_or_saveexec_b32 s24, s24
	v_mov_b32_e32 v90, s23
	s_xor_b32 exec_lo, exec_lo, s24
	s_cbranch_execnz .LBB6_7005
.LBB6_5766:                             ;   in Loop: Header=BB6_4903 Depth=2
	s_or_b32 exec_lo, exec_lo, s24
	s_and_saveexec_b32 s23, s7
	s_cbranch_execz .LBB6_5768
.LBB6_5767:                             ;   in Loop: Header=BB6_4903 Depth=2
	v_and_b32_e32 v90, 0xffff, v89
	v_lshlrev_b32_e32 v89, 24, v89
	s_delay_alu instid0(VALU_DEP_2) | instskip(NEXT) | instid1(VALU_DEP_2)
	v_and_b32_e32 v91, 7, v90
	v_and_b32_e32 v89, 0x80000000, v89
	s_delay_alu instid0(VALU_DEP_2) | instskip(NEXT) | instid1(VALU_DEP_1)
	v_clz_i32_u32_e32 v92, v91
	v_min_u32_e32 v92, 32, v92
	s_delay_alu instid0(VALU_DEP_1) | instskip(SKIP_1) | instid1(VALU_DEP_2)
	v_subrev_nc_u32_e32 v93, 28, v92
	v_sub_nc_u32_e32 v92, 29, v92
	v_lshlrev_b32_e32 v93, v93, v90
	v_bfe_u32 v90, v90, 3, 4
	s_delay_alu instid0(VALU_DEP_2) | instskip(NEXT) | instid1(VALU_DEP_2)
	v_and_b32_e32 v93, 7, v93
	v_cmp_eq_u32_e32 vcc_lo, 0, v90
	s_delay_alu instid0(VALU_DEP_2) | instskip(NEXT) | instid1(VALU_DEP_1)
	v_dual_cndmask_b32 v90, v90, v92 :: v_dual_cndmask_b32 v91, v91, v93
	v_lshl_add_u32 v90, v90, 23, 0x3b800000
	s_delay_alu instid0(VALU_DEP_2) | instskip(NEXT) | instid1(VALU_DEP_1)
	v_lshlrev_b32_e32 v91, 20, v91
	v_or3_b32 v90, v89, v90, v91
.LBB6_5768:                             ;   in Loop: Header=BB6_4903 Depth=2
	s_or_b32 exec_lo, exec_lo, s23
	s_delay_alu instid0(VALU_DEP_1) | instskip(NEXT) | instid1(VALU_DEP_1)
	v_add_f32_e32 v89, v149, v90
	v_and_b32_e32 v149, 0x7f800000, v89
	s_delay_alu instid0(VALU_DEP_1)
	v_cmp_ne_u32_e32 vcc_lo, 0x7f800000, v149
	v_mov_b32_e32 v149, 0x8000
	s_and_saveexec_b32 s23, vcc_lo
	s_cbranch_execz .LBB6_5776
; %bb.5769:                             ;   in Loop: Header=BB6_4903 Depth=2
	v_mov_b32_e32 v149, 0
	s_mov_b32 s24, exec_lo
	v_cmpx_ne_u32_e32 0, v89
	s_cbranch_execz .LBB6_5775
; %bb.5770:                             ;   in Loop: Header=BB6_4903 Depth=2
	v_bfe_u32 v149, v89, 23, 8
	s_delay_alu instid0(VALU_DEP_1) | instskip(SKIP_1) | instid1(VALU_DEP_2)
	v_sub_nc_u32_e32 v91, 0x78, v149
	v_cmp_gt_u32_e32 vcc_lo, 0x79, v149
	v_dual_cndmask_b32 v91, 0, v91 :: v_dual_and_b32 v90, 0x7fffff, v89
	s_delay_alu instid0(VALU_DEP_1) | instskip(SKIP_2) | instid1(VALU_DEP_4)
	v_or_b32_e32 v92, 0x800000, v90
	v_cmp_eq_u32_e32 vcc_lo, 0, v149
	v_add_nc_u32_e32 v149, 0xffffff89, v149
	v_cndmask_b32_e64 v91, v91, 0x77, vcc_lo
	s_delay_alu instid0(VALU_DEP_4) | instskip(NEXT) | instid1(VALU_DEP_3)
	v_cndmask_b32_e32 v90, v92, v90, vcc_lo
	v_cndmask_b32_e64 v149, v149, 0xffffff8a, vcc_lo
	s_delay_alu instid0(VALU_DEP_3) | instskip(NEXT) | instid1(VALU_DEP_3)
	v_lshl_add_u32 v92, 0x100000, v91, -1
	v_lshrrev_b32_e32 v93, v91, v90
	v_lshlrev_b32_e64 v95, v91, 0x80000
	s_delay_alu instid0(VALU_DEP_4) | instskip(NEXT) | instid1(VALU_DEP_4)
	v_add_nc_u32_e32 v91, v91, v149
	v_and_b32_e32 v90, v92, v90
	s_delay_alu instid0(VALU_DEP_4) | instskip(NEXT) | instid1(VALU_DEP_2)
	v_bfe_u32 v94, v93, 20, 1
	v_cmp_eq_u32_e64 s7, v90, v95
	s_delay_alu instid0(VALU_DEP_2) | instskip(NEXT) | instid1(VALU_DEP_1)
	v_add_nc_u32_e32 v92, -1, v94
	v_cndmask_b32_e64 v90, 0, v92, s7
	v_lshrrev_b32_e32 v92, 23, v93
	s_mov_b32 s7, exec_lo
	s_delay_alu instid0(VALU_DEP_2) | instskip(NEXT) | instid1(VALU_DEP_2)
	v_add_nc_u32_e32 v90, v90, v93
	v_xor_b32_e32 v92, 1, v92
	s_delay_alu instid0(VALU_DEP_2) | instskip(NEXT) | instid1(VALU_DEP_1)
	v_and_b32_e32 v149, 0xfffff, v90
	v_add_nc_u32_e32 v90, v149, v93
                                        ; implicit-def: $vgpr149
	s_delay_alu instid0(VALU_DEP_3)
	v_cmpx_ne_u32_e64 v91, v92
	s_xor_b32 s7, exec_lo, s7
; %bb.5771:                             ;   in Loop: Header=BB6_4903 Depth=2
	s_delay_alu instid0(VALU_DEP_2) | instskip(SKIP_2) | instid1(VALU_DEP_2)
	v_cmp_lt_u32_e32 vcc_lo, 0xffffff, v90
	v_sub_nc_u32_e32 v149, v91, v92
	v_cndmask_b32_e64 v91, 0, 1, vcc_lo
	v_add_co_ci_u32_e32 v149, vcc_lo, 0, v149, vcc_lo
	s_delay_alu instid0(VALU_DEP_2)
	v_lshrrev_b32_e32 v90, v91, v90
; %bb.5772:                             ;   in Loop: Header=BB6_4903 Depth=2
	s_and_not1_saveexec_b32 s7, s7
; %bb.5773:                             ;   in Loop: Header=BB6_4903 Depth=2
	s_delay_alu instid0(VALU_DEP_1)
	v_bfe_u32 v149, v90, 23, 1
; %bb.5774:                             ;   in Loop: Header=BB6_4903 Depth=2
	s_or_b32 exec_lo, exec_lo, s7
	v_lshrrev_b32_e32 v90, 20, v90
	s_delay_alu instid0(VALU_DEP_2) | instskip(SKIP_2) | instid1(VALU_DEP_2)
	v_cmp_gt_i32_e32 vcc_lo, 16, v149
	v_min_i32_e32 v91, 15, v149
	v_lshrrev_b32_e32 v89, 24, v89
	v_dual_cndmask_b32 v90, 7, v90 :: v_dual_lshlrev_b32 v91, 3, v91
	s_delay_alu instid0(VALU_DEP_2) | instskip(NEXT) | instid1(VALU_DEP_2)
	v_and_b32_e32 v89, 0x80, v89
	v_or_b32_e32 v149, v149, v90
	s_delay_alu instid0(VALU_DEP_3) | instskip(NEXT) | instid1(VALU_DEP_2)
	v_and_b32_e32 v91, 0xf8, v91
	v_cmp_ne_u32_e32 vcc_lo, 0, v149
	v_and_b32_e32 v92, 7, v90
	s_delay_alu instid0(VALU_DEP_1) | instskip(NEXT) | instid1(VALU_DEP_1)
	v_or3_b32 v89, v89, v91, v92
	v_lshlrev_b32_e32 v89, 8, v89
	s_delay_alu instid0(VALU_DEP_1)
	v_cndmask_b32_e32 v149, 0, v89, vcc_lo
.LBB6_5775:                             ;   in Loop: Header=BB6_4903 Depth=2
	s_or_b32 exec_lo, exec_lo, s24
.LBB6_5776:                             ;   in Loop: Header=BB6_4903 Depth=2
	s_delay_alu instid0(SALU_CYCLE_1) | instskip(SKIP_3) | instid1(VALU_DEP_1)
	s_or_b32 exec_lo, exec_lo, s23
	v_or_b32_e32 v79, v79, v162
	s_mov_b32 s7, 0
	s_mov_b32 s24, exec_lo
                                        ; implicit-def: $sgpr23
	v_and_b32_e32 v89, 0xff, v79
	s_delay_alu instid0(VALU_DEP_1)
	v_cmpx_lt_i16_e32 0x7f, v89
	s_xor_b32 s24, exec_lo, s24
	s_cbranch_execnz .LBB6_7006
; %bb.5777:                             ;   in Loop: Header=BB6_4903 Depth=2
	s_or_saveexec_b32 s24, s24
	v_mov_b32_e32 v162, s23
	s_xor_b32 exec_lo, exec_lo, s24
	s_cbranch_execnz .LBB6_7009
.LBB6_5778:                             ;   in Loop: Header=BB6_4903 Depth=2
	s_or_b32 exec_lo, exec_lo, s24
	v_lshl_or_b32 v79, v79, 16, v88
	s_and_saveexec_b32 s23, s7
	s_cbranch_execz .LBB6_5780
.LBB6_5779:                             ;   in Loop: Header=BB6_4903 Depth=2
	s_delay_alu instid0(VALU_DEP_1) | instskip(SKIP_1) | instid1(VALU_DEP_2)
	v_bfe_u32 v162, v79, 16, 3
	v_lshrrev_b32_e32 v89, 16, v79
	v_clz_i32_u32_e32 v88, v162
	s_delay_alu instid0(VALU_DEP_1) | instskip(NEXT) | instid1(VALU_DEP_1)
	v_min_u32_e32 v88, 32, v88
	v_subrev_nc_u32_e32 v90, 28, v88
	v_sub_nc_u32_e32 v88, 29, v88
	s_delay_alu instid0(VALU_DEP_2) | instskip(SKIP_1) | instid1(VALU_DEP_1)
	v_lshlrev_b32_e32 v89, v90, v89
	v_bfe_u32 v90, v79, 19, 4
	v_cmp_eq_u32_e32 vcc_lo, 0, v90
	s_delay_alu instid0(VALU_DEP_3) | instskip(NEXT) | instid1(VALU_DEP_1)
	v_dual_cndmask_b32 v88, v90, v88 :: v_dual_and_b32 v89, 7, v89
	v_dual_cndmask_b32 v162, v162, v89 :: v_dual_lshlrev_b32 v91, 8, v79
	s_delay_alu instid0(VALU_DEP_2) | instskip(NEXT) | instid1(VALU_DEP_2)
	v_lshl_add_u32 v88, v88, 23, 0x3b800000
	v_and_b32_e32 v89, 0x80000000, v91
	s_delay_alu instid0(VALU_DEP_3) | instskip(NEXT) | instid1(VALU_DEP_1)
	v_lshlrev_b32_e32 v162, 20, v162
	v_or3_b32 v162, v89, v88, v162
.LBB6_5780:                             ;   in Loop: Header=BB6_4903 Depth=2
	s_or_b32 exec_lo, exec_lo, s23
	v_lshrrev_b32_e32 v88, 16, v23
	s_mov_b32 s7, 0
	s_mov_b32 s24, exec_lo
                                        ; implicit-def: $sgpr23
	s_delay_alu instid0(VALU_DEP_1) | instskip(NEXT) | instid1(VALU_DEP_1)
	v_and_b32_e32 v90, 0xff, v88
	v_cmpx_lt_i16_e32 0x7f, v90
	s_xor_b32 s24, exec_lo, s24
	s_cbranch_execnz .LBB6_7010
; %bb.5781:                             ;   in Loop: Header=BB6_4903 Depth=2
	s_or_saveexec_b32 s24, s24
	v_mov_b32_e32 v89, s23
	s_xor_b32 exec_lo, exec_lo, s24
	s_cbranch_execnz .LBB6_7013
.LBB6_5782:                             ;   in Loop: Header=BB6_4903 Depth=2
	s_or_b32 exec_lo, exec_lo, s24
	s_and_saveexec_b32 s23, s7
	s_cbranch_execz .LBB6_5784
.LBB6_5783:                             ;   in Loop: Header=BB6_4903 Depth=2
	v_bfe_u32 v89, v23, 16, 3
	v_lshlrev_b32_e32 v92, 8, v23
	s_delay_alu instid0(VALU_DEP_2) | instskip(NEXT) | instid1(VALU_DEP_1)
	v_clz_i32_u32_e32 v90, v89
	v_min_u32_e32 v90, 32, v90
	s_delay_alu instid0(VALU_DEP_1) | instskip(SKIP_1) | instid1(VALU_DEP_2)
	v_subrev_nc_u32_e32 v91, 28, v90
	v_sub_nc_u32_e32 v90, 29, v90
	v_lshlrev_b32_e32 v88, v91, v88
	v_bfe_u32 v91, v23, 19, 4
	s_delay_alu instid0(VALU_DEP_2) | instskip(NEXT) | instid1(VALU_DEP_2)
	v_and_b32_e32 v88, 7, v88
	v_cmp_eq_u32_e32 vcc_lo, 0, v91
	v_cndmask_b32_e32 v90, v91, v90, vcc_lo
	s_delay_alu instid0(VALU_DEP_3) | instskip(SKIP_1) | instid1(VALU_DEP_3)
	v_cndmask_b32_e32 v88, v89, v88, vcc_lo
	v_and_b32_e32 v89, 0x80000000, v92
	v_lshl_add_u32 v90, v90, 23, 0x3b800000
	s_delay_alu instid0(VALU_DEP_3) | instskip(NEXT) | instid1(VALU_DEP_1)
	v_lshlrev_b32_e32 v88, 20, v88
	v_or3_b32 v89, v89, v90, v88
.LBB6_5784:                             ;   in Loop: Header=BB6_4903 Depth=2
	s_or_b32 exec_lo, exec_lo, s23
	s_delay_alu instid0(VALU_DEP_1) | instskip(NEXT) | instid1(VALU_DEP_1)
	v_add_f32_e32 v88, v162, v89
	v_and_b32_e32 v162, 0x7f800000, v88
	s_delay_alu instid0(VALU_DEP_1)
	v_cmp_ne_u32_e32 vcc_lo, 0x7f800000, v162
	v_mov_b32_e32 v162, 0x80
	s_and_saveexec_b32 s23, vcc_lo
	s_cbranch_execz .LBB6_5792
; %bb.5785:                             ;   in Loop: Header=BB6_4903 Depth=2
	v_mov_b32_e32 v162, 0
	s_mov_b32 s24, exec_lo
	v_cmpx_ne_u32_e32 0, v88
	s_cbranch_execz .LBB6_5791
; %bb.5786:                             ;   in Loop: Header=BB6_4903 Depth=2
	v_bfe_u32 v162, v88, 23, 8
	s_delay_alu instid0(VALU_DEP_1) | instskip(SKIP_1) | instid1(VALU_DEP_2)
	v_sub_nc_u32_e32 v90, 0x78, v162
	v_cmp_gt_u32_e32 vcc_lo, 0x79, v162
	v_dual_cndmask_b32 v90, 0, v90 :: v_dual_and_b32 v89, 0x7fffff, v88
	s_delay_alu instid0(VALU_DEP_1) | instskip(SKIP_2) | instid1(VALU_DEP_4)
	v_or_b32_e32 v91, 0x800000, v89
	v_cmp_eq_u32_e32 vcc_lo, 0, v162
	v_add_nc_u32_e32 v162, 0xffffff89, v162
	v_cndmask_b32_e64 v90, v90, 0x77, vcc_lo
	s_delay_alu instid0(VALU_DEP_4) | instskip(NEXT) | instid1(VALU_DEP_3)
	v_cndmask_b32_e32 v89, v91, v89, vcc_lo
	v_cndmask_b32_e64 v162, v162, 0xffffff8a, vcc_lo
	s_delay_alu instid0(VALU_DEP_3) | instskip(NEXT) | instid1(VALU_DEP_3)
	v_lshl_add_u32 v91, 0x100000, v90, -1
	v_lshrrev_b32_e32 v92, v90, v89
	v_lshlrev_b32_e64 v94, v90, 0x80000
	s_delay_alu instid0(VALU_DEP_4) | instskip(NEXT) | instid1(VALU_DEP_4)
	v_add_nc_u32_e32 v90, v90, v162
	v_and_b32_e32 v89, v91, v89
	s_delay_alu instid0(VALU_DEP_4) | instskip(NEXT) | instid1(VALU_DEP_2)
	v_bfe_u32 v93, v92, 20, 1
	v_cmp_eq_u32_e64 s7, v89, v94
	s_delay_alu instid0(VALU_DEP_2) | instskip(NEXT) | instid1(VALU_DEP_1)
	v_add_nc_u32_e32 v91, -1, v93
	v_cndmask_b32_e64 v89, 0, v91, s7
	v_lshrrev_b32_e32 v91, 23, v92
	s_mov_b32 s7, exec_lo
	s_delay_alu instid0(VALU_DEP_2) | instskip(NEXT) | instid1(VALU_DEP_2)
	v_add_nc_u32_e32 v89, v89, v92
	v_xor_b32_e32 v91, 1, v91
	s_delay_alu instid0(VALU_DEP_2) | instskip(NEXT) | instid1(VALU_DEP_1)
	v_and_b32_e32 v162, 0xfffff, v89
	v_add_nc_u32_e32 v89, v162, v92
                                        ; implicit-def: $vgpr162
	s_delay_alu instid0(VALU_DEP_3)
	v_cmpx_ne_u32_e64 v90, v91
	s_xor_b32 s7, exec_lo, s7
; %bb.5787:                             ;   in Loop: Header=BB6_4903 Depth=2
	s_delay_alu instid0(VALU_DEP_2) | instskip(SKIP_2) | instid1(VALU_DEP_2)
	v_cmp_lt_u32_e32 vcc_lo, 0xffffff, v89
	v_sub_nc_u32_e32 v162, v90, v91
	v_cndmask_b32_e64 v90, 0, 1, vcc_lo
	v_add_co_ci_u32_e32 v162, vcc_lo, 0, v162, vcc_lo
	s_delay_alu instid0(VALU_DEP_2)
	v_lshrrev_b32_e32 v89, v90, v89
; %bb.5788:                             ;   in Loop: Header=BB6_4903 Depth=2
	s_and_not1_saveexec_b32 s7, s7
; %bb.5789:                             ;   in Loop: Header=BB6_4903 Depth=2
	s_delay_alu instid0(VALU_DEP_1)
	v_bfe_u32 v162, v89, 23, 1
; %bb.5790:                             ;   in Loop: Header=BB6_4903 Depth=2
	s_or_b32 exec_lo, exec_lo, s7
	v_lshrrev_b32_e32 v89, 20, v89
	s_delay_alu instid0(VALU_DEP_2) | instskip(SKIP_2) | instid1(VALU_DEP_2)
	v_cmp_gt_i32_e32 vcc_lo, 16, v162
	v_min_i32_e32 v90, 15, v162
	v_lshrrev_b32_e32 v88, 24, v88
	v_dual_cndmask_b32 v89, 7, v89 :: v_dual_lshlrev_b32 v90, 3, v90
	s_delay_alu instid0(VALU_DEP_2) | instskip(NEXT) | instid1(VALU_DEP_2)
	v_and_b32_e32 v88, 0x80, v88
	v_or_b32_e32 v162, v162, v89
	s_delay_alu instid0(VALU_DEP_3) | instskip(NEXT) | instid1(VALU_DEP_2)
	v_and_b32_e32 v90, 0xf8, v90
	v_cmp_ne_u32_e32 vcc_lo, 0, v162
	v_and_b32_e32 v91, 7, v89
	s_delay_alu instid0(VALU_DEP_1) | instskip(NEXT) | instid1(VALU_DEP_1)
	v_or3_b32 v88, v90, v88, v91
	v_cndmask_b32_e32 v162, 0, v88, vcc_lo
.LBB6_5791:                             ;   in Loop: Header=BB6_4903 Depth=2
	s_or_b32 exec_lo, exec_lo, s24
.LBB6_5792:                             ;   in Loop: Header=BB6_4903 Depth=2
	s_delay_alu instid0(SALU_CYCLE_1) | instskip(SKIP_3) | instid1(VALU_DEP_1)
	s_or_b32 exec_lo, exec_lo, s23
	v_lshrrev_b32_e32 v89, 24, v79
	s_mov_b32 s7, 0
	s_mov_b32 s24, exec_lo
                                        ; implicit-def: $sgpr23
	v_cmpx_lt_i16_e32 0x7f, v89
	s_xor_b32 s24, exec_lo, s24
	s_cbranch_execnz .LBB6_7014
; %bb.5793:                             ;   in Loop: Header=BB6_4903 Depth=2
	s_or_saveexec_b32 s24, s24
	v_mov_b32_e32 v88, s23
	s_xor_b32 exec_lo, exec_lo, s24
	s_cbranch_execnz .LBB6_7017
.LBB6_5794:                             ;   in Loop: Header=BB6_4903 Depth=2
	s_or_b32 exec_lo, exec_lo, s24
	s_and_saveexec_b32 s23, s7
	s_cbranch_execz .LBB6_5796
.LBB6_5795:                             ;   in Loop: Header=BB6_4903 Depth=2
	v_bfe_u32 v88, v79, 24, 3
	s_delay_alu instid0(VALU_DEP_1) | instskip(NEXT) | instid1(VALU_DEP_1)
	v_clz_i32_u32_e32 v90, v88
	v_min_u32_e32 v90, 32, v90
	s_delay_alu instid0(VALU_DEP_1) | instskip(SKIP_1) | instid1(VALU_DEP_2)
	v_subrev_nc_u32_e32 v91, 28, v90
	v_sub_nc_u32_e32 v90, 29, v90
	v_lshlrev_b32_e32 v89, v91, v89
	v_bfe_u32 v91, v79, 27, 4
	v_and_b32_e32 v79, 0x80000000, v79
	s_delay_alu instid0(VALU_DEP_2) | instskip(NEXT) | instid1(VALU_DEP_4)
	v_cmp_eq_u32_e32 vcc_lo, 0, v91
	v_dual_cndmask_b32 v90, v91, v90 :: v_dual_and_b32 v89, 7, v89
	s_delay_alu instid0(VALU_DEP_1) | instskip(NEXT) | instid1(VALU_DEP_2)
	v_cndmask_b32_e32 v88, v88, v89, vcc_lo
	v_lshl_add_u32 v89, v90, 23, 0x3b800000
	s_delay_alu instid0(VALU_DEP_2) | instskip(NEXT) | instid1(VALU_DEP_1)
	v_lshlrev_b32_e32 v88, 20, v88
	v_or3_b32 v88, v79, v89, v88
.LBB6_5796:                             ;   in Loop: Header=BB6_4903 Depth=2
	s_or_b32 exec_lo, exec_lo, s23
	v_lshrrev_b32_e32 v79, 24, v23
	s_mov_b32 s7, 0
	s_mov_b32 s24, exec_lo
                                        ; implicit-def: $sgpr23
	s_delay_alu instid0(VALU_DEP_1)
	v_cmpx_lt_i16_e32 0x7f, v79
	s_xor_b32 s24, exec_lo, s24
	s_cbranch_execnz .LBB6_7018
; %bb.5797:                             ;   in Loop: Header=BB6_4903 Depth=2
	s_or_saveexec_b32 s24, s24
	v_mov_b32_e32 v89, s23
	s_xor_b32 exec_lo, exec_lo, s24
	s_cbranch_execnz .LBB6_7021
.LBB6_5798:                             ;   in Loop: Header=BB6_4903 Depth=2
	s_or_b32 exec_lo, exec_lo, s24
	s_and_saveexec_b32 s23, s7
	s_cbranch_execz .LBB6_5800
.LBB6_5799:                             ;   in Loop: Header=BB6_4903 Depth=2
	v_bfe_u32 v89, v23, 24, 3
	s_delay_alu instid0(VALU_DEP_1) | instskip(NEXT) | instid1(VALU_DEP_1)
	v_clz_i32_u32_e32 v90, v89
	v_min_u32_e32 v90, 32, v90
	s_delay_alu instid0(VALU_DEP_1) | instskip(SKIP_1) | instid1(VALU_DEP_2)
	v_subrev_nc_u32_e32 v91, 28, v90
	v_sub_nc_u32_e32 v90, 29, v90
	v_lshlrev_b32_e32 v79, v91, v79
	v_bfe_u32 v91, v23, 27, 4
	v_and_b32_e32 v23, 0x80000000, v23
	s_delay_alu instid0(VALU_DEP_2) | instskip(NEXT) | instid1(VALU_DEP_4)
	v_cmp_eq_u32_e32 vcc_lo, 0, v91
	v_dual_cndmask_b32 v90, v91, v90 :: v_dual_and_b32 v79, 7, v79
	s_delay_alu instid0(VALU_DEP_1) | instskip(NEXT) | instid1(VALU_DEP_2)
	v_cndmask_b32_e32 v79, v89, v79, vcc_lo
	v_lshl_add_u32 v89, v90, 23, 0x3b800000
	s_delay_alu instid0(VALU_DEP_2) | instskip(NEXT) | instid1(VALU_DEP_1)
	v_lshlrev_b32_e32 v79, 20, v79
	v_or3_b32 v89, v23, v89, v79
.LBB6_5800:                             ;   in Loop: Header=BB6_4903 Depth=2
	s_or_b32 exec_lo, exec_lo, s23
	s_delay_alu instid0(VALU_DEP_1) | instskip(NEXT) | instid1(VALU_DEP_1)
	v_add_f32_e32 v79, v88, v89
	v_and_b32_e32 v23, 0x7f800000, v79
	s_delay_alu instid0(VALU_DEP_1)
	v_cmp_ne_u32_e32 vcc_lo, 0x7f800000, v23
	v_mov_b32_e32 v23, 0x8000
	s_and_saveexec_b32 s23, vcc_lo
	s_cbranch_execz .LBB6_5808
; %bb.5801:                             ;   in Loop: Header=BB6_4903 Depth=2
	v_mov_b32_e32 v23, 0
	s_mov_b32 s24, exec_lo
	v_cmpx_ne_u32_e32 0, v79
	s_cbranch_execz .LBB6_5807
; %bb.5802:                             ;   in Loop: Header=BB6_4903 Depth=2
	v_bfe_u32 v23, v79, 23, 8
	s_delay_alu instid0(VALU_DEP_1) | instskip(SKIP_1) | instid1(VALU_DEP_2)
	v_sub_nc_u32_e32 v89, 0x78, v23
	v_cmp_gt_u32_e32 vcc_lo, 0x79, v23
	v_dual_cndmask_b32 v89, 0, v89 :: v_dual_and_b32 v88, 0x7fffff, v79
	s_delay_alu instid0(VALU_DEP_1) | instskip(SKIP_2) | instid1(VALU_DEP_4)
	v_or_b32_e32 v90, 0x800000, v88
	v_cmp_eq_u32_e32 vcc_lo, 0, v23
	v_add_nc_u32_e32 v23, 0xffffff89, v23
	v_cndmask_b32_e64 v89, v89, 0x77, vcc_lo
	s_delay_alu instid0(VALU_DEP_4) | instskip(NEXT) | instid1(VALU_DEP_3)
	v_cndmask_b32_e32 v88, v90, v88, vcc_lo
	v_cndmask_b32_e64 v23, v23, 0xffffff8a, vcc_lo
	s_delay_alu instid0(VALU_DEP_3) | instskip(NEXT) | instid1(VALU_DEP_3)
	v_lshl_add_u32 v90, 0x100000, v89, -1
	v_lshrrev_b32_e32 v91, v89, v88
	v_lshlrev_b32_e64 v93, v89, 0x80000
	s_delay_alu instid0(VALU_DEP_4) | instskip(NEXT) | instid1(VALU_DEP_4)
	v_add_nc_u32_e32 v89, v89, v23
	v_and_b32_e32 v88, v90, v88
	s_delay_alu instid0(VALU_DEP_4) | instskip(NEXT) | instid1(VALU_DEP_2)
	v_bfe_u32 v92, v91, 20, 1
	v_cmp_eq_u32_e64 s7, v88, v93
	s_delay_alu instid0(VALU_DEP_2) | instskip(NEXT) | instid1(VALU_DEP_1)
	v_add_nc_u32_e32 v90, -1, v92
	v_cndmask_b32_e64 v88, 0, v90, s7
	v_lshrrev_b32_e32 v90, 23, v91
	s_mov_b32 s7, exec_lo
	s_delay_alu instid0(VALU_DEP_2) | instskip(NEXT) | instid1(VALU_DEP_2)
	v_add_nc_u32_e32 v88, v88, v91
	v_xor_b32_e32 v90, 1, v90
	s_delay_alu instid0(VALU_DEP_2) | instskip(NEXT) | instid1(VALU_DEP_1)
	v_and_b32_e32 v23, 0xfffff, v88
	v_add_nc_u32_e32 v88, v23, v91
                                        ; implicit-def: $vgpr23
	s_delay_alu instid0(VALU_DEP_3)
	v_cmpx_ne_u32_e64 v89, v90
	s_xor_b32 s7, exec_lo, s7
; %bb.5803:                             ;   in Loop: Header=BB6_4903 Depth=2
	s_delay_alu instid0(VALU_DEP_2) | instskip(SKIP_2) | instid1(VALU_DEP_2)
	v_cmp_lt_u32_e32 vcc_lo, 0xffffff, v88
	v_sub_nc_u32_e32 v23, v89, v90
	v_cndmask_b32_e64 v89, 0, 1, vcc_lo
	v_add_co_ci_u32_e32 v23, vcc_lo, 0, v23, vcc_lo
	s_delay_alu instid0(VALU_DEP_2)
	v_lshrrev_b32_e32 v88, v89, v88
; %bb.5804:                             ;   in Loop: Header=BB6_4903 Depth=2
	s_and_not1_saveexec_b32 s7, s7
; %bb.5805:                             ;   in Loop: Header=BB6_4903 Depth=2
	s_delay_alu instid0(VALU_DEP_1)
	v_bfe_u32 v23, v88, 23, 1
; %bb.5806:                             ;   in Loop: Header=BB6_4903 Depth=2
	s_or_b32 exec_lo, exec_lo, s7
	v_lshrrev_b32_e32 v88, 20, v88
	s_delay_alu instid0(VALU_DEP_2) | instskip(SKIP_2) | instid1(VALU_DEP_2)
	v_cmp_gt_i32_e32 vcc_lo, 16, v23
	v_min_i32_e32 v89, 15, v23
	v_lshrrev_b32_e32 v79, 24, v79
	v_dual_cndmask_b32 v88, 7, v88 :: v_dual_lshlrev_b32 v89, 3, v89
	s_delay_alu instid0(VALU_DEP_2) | instskip(NEXT) | instid1(VALU_DEP_2)
	v_and_b32_e32 v79, 0x80, v79
	v_or_b32_e32 v23, v23, v88
	s_delay_alu instid0(VALU_DEP_3) | instskip(NEXT) | instid1(VALU_DEP_2)
	v_and_b32_e32 v89, 0xf8, v89
	v_cmp_ne_u32_e32 vcc_lo, 0, v23
	v_and_b32_e32 v90, 7, v88
	s_delay_alu instid0(VALU_DEP_1) | instskip(NEXT) | instid1(VALU_DEP_1)
	v_or3_b32 v79, v79, v89, v90
	v_lshlrev_b32_e32 v79, 8, v79
	s_delay_alu instid0(VALU_DEP_1)
	v_cndmask_b32_e32 v23, 0, v79, vcc_lo
.LBB6_5807:                             ;   in Loop: Header=BB6_4903 Depth=2
	s_or_b32 exec_lo, exec_lo, s24
.LBB6_5808:                             ;   in Loop: Header=BB6_4903 Depth=2
	s_delay_alu instid0(SALU_CYCLE_1) | instskip(SKIP_3) | instid1(VALU_DEP_1)
	s_or_b32 exec_lo, exec_lo, s23
	v_and_b32_e32 v88, 0xff, v176
	s_mov_b32 s7, 0
	s_mov_b32 s24, exec_lo
                                        ; implicit-def: $sgpr23
	v_cmpx_lt_i16_e32 0x7f, v88
	s_xor_b32 s24, exec_lo, s24
	s_cbranch_execnz .LBB6_7022
; %bb.5809:                             ;   in Loop: Header=BB6_4903 Depth=2
	s_or_saveexec_b32 s24, s24
	v_mov_b32_e32 v79, s23
	s_xor_b32 exec_lo, exec_lo, s24
	s_cbranch_execnz .LBB6_7025
.LBB6_5810:                             ;   in Loop: Header=BB6_4903 Depth=2
	s_or_b32 exec_lo, exec_lo, s24
	s_and_saveexec_b32 s23, s7
	s_cbranch_execz .LBB6_5812
.LBB6_5811:                             ;   in Loop: Header=BB6_4903 Depth=2
	v_and_b32_e32 v79, 7, v176
	v_bfe_u32 v90, v176, 3, 4
	s_delay_alu instid0(VALU_DEP_2) | instskip(NEXT) | instid1(VALU_DEP_2)
	v_clz_i32_u32_e32 v88, v79
	v_cmp_eq_u32_e32 vcc_lo, 0, v90
	s_delay_alu instid0(VALU_DEP_2) | instskip(NEXT) | instid1(VALU_DEP_1)
	v_min_u32_e32 v88, 32, v88
	v_subrev_nc_u32_e32 v89, 28, v88
	v_sub_nc_u32_e32 v88, 29, v88
	s_delay_alu instid0(VALU_DEP_2) | instskip(NEXT) | instid1(VALU_DEP_1)
	v_lshlrev_b32_e32 v89, v89, v176
	v_dual_cndmask_b32 v88, v90, v88 :: v_dual_and_b32 v89, 7, v89
	v_lshlrev_b32_e32 v176, 24, v176
	s_delay_alu instid0(VALU_DEP_2) | instskip(NEXT) | instid1(VALU_DEP_2)
	v_lshl_add_u32 v88, v88, 23, 0x3b800000
	v_dual_cndmask_b32 v79, v79, v89 :: v_dual_and_b32 v176, 0x80000000, v176
	s_delay_alu instid0(VALU_DEP_1) | instskip(NEXT) | instid1(VALU_DEP_1)
	v_lshlrev_b32_e32 v79, 20, v79
	v_or3_b32 v79, v176, v88, v79
.LBB6_5812:                             ;   in Loop: Header=BB6_4903 Depth=2
	s_or_b32 exec_lo, exec_lo, s23
	v_and_b32_e32 v88, 0xff, v24
	s_mov_b32 s7, 0
	s_mov_b32 s24, exec_lo
                                        ; implicit-def: $sgpr23
	s_delay_alu instid0(VALU_DEP_1)
	v_cmpx_lt_i16_e32 0x7f, v88
	s_xor_b32 s24, exec_lo, s24
	s_cbranch_execnz .LBB6_7026
; %bb.5813:                             ;   in Loop: Header=BB6_4903 Depth=2
	s_or_saveexec_b32 s24, s24
	v_mov_b32_e32 v176, s23
	s_xor_b32 exec_lo, exec_lo, s24
	s_cbranch_execnz .LBB6_7029
.LBB6_5814:                             ;   in Loop: Header=BB6_4903 Depth=2
	s_or_b32 exec_lo, exec_lo, s24
	s_and_saveexec_b32 s23, s7
	s_cbranch_execz .LBB6_5816
.LBB6_5815:                             ;   in Loop: Header=BB6_4903 Depth=2
	v_and_b32_e32 v176, 7, v24
	v_bfe_u32 v90, v24, 3, 4
	s_delay_alu instid0(VALU_DEP_2) | instskip(NEXT) | instid1(VALU_DEP_2)
	v_clz_i32_u32_e32 v88, v176
	v_cmp_eq_u32_e32 vcc_lo, 0, v90
	s_delay_alu instid0(VALU_DEP_2) | instskip(NEXT) | instid1(VALU_DEP_1)
	v_min_u32_e32 v88, 32, v88
	v_subrev_nc_u32_e32 v89, 28, v88
	v_sub_nc_u32_e32 v88, 29, v88
	s_delay_alu instid0(VALU_DEP_2) | instskip(NEXT) | instid1(VALU_DEP_1)
	v_lshlrev_b32_e32 v89, v89, v24
	v_dual_cndmask_b32 v88, v90, v88 :: v_dual_and_b32 v89, 7, v89
	v_lshlrev_b32_e32 v91, 24, v24
	s_delay_alu instid0(VALU_DEP_2) | instskip(NEXT) | instid1(VALU_DEP_2)
	v_lshl_add_u32 v88, v88, 23, 0x3b800000
	v_dual_cndmask_b32 v176, v176, v89 :: v_dual_and_b32 v89, 0x80000000, v91
	s_delay_alu instid0(VALU_DEP_1) | instskip(NEXT) | instid1(VALU_DEP_1)
	v_lshlrev_b32_e32 v176, 20, v176
	v_or3_b32 v176, v89, v88, v176
.LBB6_5816:                             ;   in Loop: Header=BB6_4903 Depth=2
	s_or_b32 exec_lo, exec_lo, s23
	s_delay_alu instid0(VALU_DEP_1) | instskip(NEXT) | instid1(VALU_DEP_1)
	v_add_f32_e32 v79, v79, v176
	v_and_b32_e32 v176, 0x7f800000, v79
	s_delay_alu instid0(VALU_DEP_1)
	v_cmp_ne_u32_e32 vcc_lo, 0x7f800000, v176
	v_mov_b32_e32 v176, 0x80
	s_and_saveexec_b32 s23, vcc_lo
	s_cbranch_execz .LBB6_5824
; %bb.5817:                             ;   in Loop: Header=BB6_4903 Depth=2
	v_mov_b32_e32 v176, 0
	s_mov_b32 s24, exec_lo
	v_cmpx_ne_u32_e32 0, v79
	s_cbranch_execz .LBB6_5823
; %bb.5818:                             ;   in Loop: Header=BB6_4903 Depth=2
	v_bfe_u32 v176, v79, 23, 8
	s_delay_alu instid0(VALU_DEP_1) | instskip(SKIP_1) | instid1(VALU_DEP_2)
	v_sub_nc_u32_e32 v89, 0x78, v176
	v_cmp_gt_u32_e32 vcc_lo, 0x79, v176
	v_dual_cndmask_b32 v89, 0, v89 :: v_dual_and_b32 v88, 0x7fffff, v79
	s_delay_alu instid0(VALU_DEP_1) | instskip(SKIP_2) | instid1(VALU_DEP_4)
	v_or_b32_e32 v90, 0x800000, v88
	v_cmp_eq_u32_e32 vcc_lo, 0, v176
	v_add_nc_u32_e32 v176, 0xffffff89, v176
	v_cndmask_b32_e64 v89, v89, 0x77, vcc_lo
	s_delay_alu instid0(VALU_DEP_4) | instskip(NEXT) | instid1(VALU_DEP_3)
	v_cndmask_b32_e32 v88, v90, v88, vcc_lo
	v_cndmask_b32_e64 v176, v176, 0xffffff8a, vcc_lo
	s_delay_alu instid0(VALU_DEP_3) | instskip(NEXT) | instid1(VALU_DEP_3)
	v_lshl_add_u32 v90, 0x100000, v89, -1
	v_lshrrev_b32_e32 v91, v89, v88
	v_lshlrev_b32_e64 v93, v89, 0x80000
	s_delay_alu instid0(VALU_DEP_4) | instskip(NEXT) | instid1(VALU_DEP_4)
	v_add_nc_u32_e32 v89, v89, v176
	v_and_b32_e32 v88, v90, v88
	s_delay_alu instid0(VALU_DEP_4) | instskip(NEXT) | instid1(VALU_DEP_2)
	v_bfe_u32 v92, v91, 20, 1
	v_cmp_eq_u32_e64 s7, v88, v93
	s_delay_alu instid0(VALU_DEP_2) | instskip(NEXT) | instid1(VALU_DEP_1)
	v_add_nc_u32_e32 v90, -1, v92
	v_cndmask_b32_e64 v88, 0, v90, s7
	v_lshrrev_b32_e32 v90, 23, v91
	s_mov_b32 s7, exec_lo
	s_delay_alu instid0(VALU_DEP_2) | instskip(NEXT) | instid1(VALU_DEP_2)
	v_add_nc_u32_e32 v88, v88, v91
	v_xor_b32_e32 v90, 1, v90
	s_delay_alu instid0(VALU_DEP_2) | instskip(NEXT) | instid1(VALU_DEP_1)
	v_and_b32_e32 v176, 0xfffff, v88
	v_add_nc_u32_e32 v88, v176, v91
                                        ; implicit-def: $vgpr176
	s_delay_alu instid0(VALU_DEP_3)
	v_cmpx_ne_u32_e64 v89, v90
	s_xor_b32 s7, exec_lo, s7
; %bb.5819:                             ;   in Loop: Header=BB6_4903 Depth=2
	s_delay_alu instid0(VALU_DEP_2) | instskip(SKIP_2) | instid1(VALU_DEP_2)
	v_cmp_lt_u32_e32 vcc_lo, 0xffffff, v88
	v_sub_nc_u32_e32 v176, v89, v90
	v_cndmask_b32_e64 v89, 0, 1, vcc_lo
	v_add_co_ci_u32_e32 v176, vcc_lo, 0, v176, vcc_lo
	s_delay_alu instid0(VALU_DEP_2)
	v_lshrrev_b32_e32 v88, v89, v88
; %bb.5820:                             ;   in Loop: Header=BB6_4903 Depth=2
	s_and_not1_saveexec_b32 s7, s7
; %bb.5821:                             ;   in Loop: Header=BB6_4903 Depth=2
	s_delay_alu instid0(VALU_DEP_1)
	v_bfe_u32 v176, v88, 23, 1
; %bb.5822:                             ;   in Loop: Header=BB6_4903 Depth=2
	s_or_b32 exec_lo, exec_lo, s7
	v_lshrrev_b32_e32 v88, 20, v88
	s_delay_alu instid0(VALU_DEP_2) | instskip(SKIP_2) | instid1(VALU_DEP_2)
	v_cmp_gt_i32_e32 vcc_lo, 16, v176
	v_lshrrev_b32_e32 v79, 24, v79
	v_min_i32_e32 v89, 15, v176
	v_dual_cndmask_b32 v88, 7, v88 :: v_dual_and_b32 v79, 0x80, v79
	s_delay_alu instid0(VALU_DEP_1) | instskip(SKIP_1) | instid1(VALU_DEP_2)
	v_or_b32_e32 v176, v176, v88
	v_and_b32_e32 v90, 7, v88
	v_cmp_ne_u32_e32 vcc_lo, 0, v176
	v_lshlrev_b32_e32 v89, 3, v89
	s_delay_alu instid0(VALU_DEP_1) | instskip(NEXT) | instid1(VALU_DEP_1)
	v_or3_b32 v79, v89, v79, v90
	v_cndmask_b32_e32 v176, 0, v79, vcc_lo
.LBB6_5823:                             ;   in Loop: Header=BB6_4903 Depth=2
	s_or_b32 exec_lo, exec_lo, s24
.LBB6_5824:                             ;   in Loop: Header=BB6_4903 Depth=2
	s_delay_alu instid0(SALU_CYCLE_1) | instskip(SKIP_3) | instid1(VALU_DEP_1)
	s_or_b32 exec_lo, exec_lo, s23
	v_and_b32_e32 v88, 0xff, v181
	s_mov_b32 s7, 0
	s_mov_b32 s24, exec_lo
                                        ; implicit-def: $sgpr23
	v_cmpx_lt_i16_e32 0x7f, v88
	s_xor_b32 s24, exec_lo, s24
	s_cbranch_execnz .LBB6_7030
; %bb.5825:                             ;   in Loop: Header=BB6_4903 Depth=2
	s_or_saveexec_b32 s24, s24
	v_mov_b32_e32 v79, s23
	s_xor_b32 exec_lo, exec_lo, s24
	s_cbranch_execnz .LBB6_7033
.LBB6_5826:                             ;   in Loop: Header=BB6_4903 Depth=2
	s_or_b32 exec_lo, exec_lo, s24
	s_and_saveexec_b32 s23, s7
	s_cbranch_execz .LBB6_5828
.LBB6_5827:                             ;   in Loop: Header=BB6_4903 Depth=2
	v_bfe_u32 v90, v181, 3, 4
	s_delay_alu instid0(VALU_DEP_1) | instskip(SKIP_1) | instid1(VALU_DEP_1)
	v_cmp_eq_u32_e32 vcc_lo, 0, v90
	v_and_b32_e32 v79, 7, v181
	v_clz_i32_u32_e32 v88, v79
	s_delay_alu instid0(VALU_DEP_1) | instskip(NEXT) | instid1(VALU_DEP_1)
	v_min_u32_e32 v88, 32, v88
	v_subrev_nc_u32_e32 v89, 28, v88
	v_sub_nc_u32_e32 v88, 29, v88
	s_delay_alu instid0(VALU_DEP_1) | instskip(SKIP_1) | instid1(VALU_DEP_2)
	v_dual_cndmask_b32 v88, v90, v88 :: v_dual_lshlrev_b32 v89, v89, v181
	v_lshlrev_b32_e32 v181, 24, v181
	v_and_b32_e32 v89, 7, v89
	s_delay_alu instid0(VALU_DEP_3) | instskip(NEXT) | instid1(VALU_DEP_3)
	v_lshl_add_u32 v88, v88, 23, 0x3b800000
	v_and_b32_e32 v181, 0x80000000, v181
	s_delay_alu instid0(VALU_DEP_3) | instskip(NEXT) | instid1(VALU_DEP_1)
	v_cndmask_b32_e32 v79, v79, v89, vcc_lo
	v_lshlrev_b32_e32 v79, 20, v79
	s_delay_alu instid0(VALU_DEP_1)
	v_or3_b32 v79, v181, v88, v79
.LBB6_5828:                             ;   in Loop: Header=BB6_4903 Depth=2
	s_or_b32 exec_lo, exec_lo, s23
	v_lshrrev_b16 v181, 8, v24
	s_mov_b32 s7, 0
	s_mov_b32 s24, exec_lo
                                        ; implicit-def: $sgpr23
	s_delay_alu instid0(VALU_DEP_1)
	v_cmpx_lt_i16_e64 0x7f, v181
	s_xor_b32 s24, exec_lo, s24
	s_cbranch_execnz .LBB6_7034
; %bb.5829:                             ;   in Loop: Header=BB6_4903 Depth=2
	s_or_saveexec_b32 s24, s24
	v_mov_b32_e32 v88, s23
	s_xor_b32 exec_lo, exec_lo, s24
	s_cbranch_execnz .LBB6_7037
.LBB6_5830:                             ;   in Loop: Header=BB6_4903 Depth=2
	s_or_b32 exec_lo, exec_lo, s24
	s_and_saveexec_b32 s23, s7
	s_cbranch_execz .LBB6_5832
.LBB6_5831:                             ;   in Loop: Header=BB6_4903 Depth=2
	v_and_b32_e32 v88, 0xffff, v181
	v_lshlrev_b32_e32 v181, 24, v181
	s_delay_alu instid0(VALU_DEP_2) | instskip(NEXT) | instid1(VALU_DEP_2)
	v_and_b32_e32 v89, 7, v88
	v_and_b32_e32 v181, 0x80000000, v181
	s_delay_alu instid0(VALU_DEP_2) | instskip(NEXT) | instid1(VALU_DEP_1)
	v_clz_i32_u32_e32 v90, v89
	v_min_u32_e32 v90, 32, v90
	s_delay_alu instid0(VALU_DEP_1) | instskip(SKIP_1) | instid1(VALU_DEP_2)
	v_subrev_nc_u32_e32 v91, 28, v90
	v_sub_nc_u32_e32 v90, 29, v90
	v_lshlrev_b32_e32 v91, v91, v88
	v_bfe_u32 v88, v88, 3, 4
	s_delay_alu instid0(VALU_DEP_2) | instskip(NEXT) | instid1(VALU_DEP_2)
	v_and_b32_e32 v91, 7, v91
	v_cmp_eq_u32_e32 vcc_lo, 0, v88
	s_delay_alu instid0(VALU_DEP_2) | instskip(NEXT) | instid1(VALU_DEP_1)
	v_dual_cndmask_b32 v88, v88, v90 :: v_dual_cndmask_b32 v89, v89, v91
	v_lshl_add_u32 v88, v88, 23, 0x3b800000
	s_delay_alu instid0(VALU_DEP_2) | instskip(NEXT) | instid1(VALU_DEP_1)
	v_lshlrev_b32_e32 v89, 20, v89
	v_or3_b32 v88, v181, v88, v89
.LBB6_5832:                             ;   in Loop: Header=BB6_4903 Depth=2
	s_or_b32 exec_lo, exec_lo, s23
	s_delay_alu instid0(VALU_DEP_1) | instskip(NEXT) | instid1(VALU_DEP_1)
	v_add_f32_e32 v79, v79, v88
	v_and_b32_e32 v181, 0x7f800000, v79
	s_delay_alu instid0(VALU_DEP_1)
	v_cmp_ne_u32_e32 vcc_lo, 0x7f800000, v181
	v_mov_b32_e32 v181, 0x80
	s_and_saveexec_b32 s23, vcc_lo
	s_cbranch_execz .LBB6_5840
; %bb.5833:                             ;   in Loop: Header=BB6_4903 Depth=2
	v_mov_b32_e32 v181, 0
	s_mov_b32 s24, exec_lo
	v_cmpx_ne_u32_e32 0, v79
	s_cbranch_execz .LBB6_5839
; %bb.5834:                             ;   in Loop: Header=BB6_4903 Depth=2
	v_bfe_u32 v181, v79, 23, 8
	s_delay_alu instid0(VALU_DEP_1) | instskip(SKIP_1) | instid1(VALU_DEP_2)
	v_sub_nc_u32_e32 v89, 0x78, v181
	v_cmp_gt_u32_e32 vcc_lo, 0x79, v181
	v_dual_cndmask_b32 v89, 0, v89 :: v_dual_and_b32 v88, 0x7fffff, v79
	s_delay_alu instid0(VALU_DEP_1) | instskip(SKIP_2) | instid1(VALU_DEP_4)
	v_or_b32_e32 v90, 0x800000, v88
	v_cmp_eq_u32_e32 vcc_lo, 0, v181
	v_add_nc_u32_e32 v181, 0xffffff89, v181
	v_cndmask_b32_e64 v89, v89, 0x77, vcc_lo
	s_delay_alu instid0(VALU_DEP_4) | instskip(NEXT) | instid1(VALU_DEP_3)
	v_cndmask_b32_e32 v88, v90, v88, vcc_lo
	v_cndmask_b32_e64 v181, v181, 0xffffff8a, vcc_lo
	s_delay_alu instid0(VALU_DEP_3) | instskip(NEXT) | instid1(VALU_DEP_3)
	v_lshl_add_u32 v90, 0x100000, v89, -1
	v_lshrrev_b32_e32 v91, v89, v88
	v_lshlrev_b32_e64 v93, v89, 0x80000
	s_delay_alu instid0(VALU_DEP_4) | instskip(NEXT) | instid1(VALU_DEP_4)
	v_add_nc_u32_e32 v89, v89, v181
	v_and_b32_e32 v88, v90, v88
	s_delay_alu instid0(VALU_DEP_4) | instskip(NEXT) | instid1(VALU_DEP_2)
	v_bfe_u32 v92, v91, 20, 1
	v_cmp_eq_u32_e64 s7, v88, v93
	s_delay_alu instid0(VALU_DEP_2) | instskip(NEXT) | instid1(VALU_DEP_1)
	v_add_nc_u32_e32 v90, -1, v92
	v_cndmask_b32_e64 v88, 0, v90, s7
	v_lshrrev_b32_e32 v90, 23, v91
	s_mov_b32 s7, exec_lo
	s_delay_alu instid0(VALU_DEP_2) | instskip(NEXT) | instid1(VALU_DEP_2)
	v_add_nc_u32_e32 v88, v88, v91
	v_xor_b32_e32 v90, 1, v90
	s_delay_alu instid0(VALU_DEP_2) | instskip(NEXT) | instid1(VALU_DEP_1)
	v_and_b32_e32 v181, 0xfffff, v88
	v_add_nc_u32_e32 v88, v181, v91
                                        ; implicit-def: $vgpr181
	s_delay_alu instid0(VALU_DEP_3)
	v_cmpx_ne_u32_e64 v89, v90
	s_xor_b32 s7, exec_lo, s7
; %bb.5835:                             ;   in Loop: Header=BB6_4903 Depth=2
	s_delay_alu instid0(VALU_DEP_2) | instskip(SKIP_2) | instid1(VALU_DEP_2)
	v_cmp_lt_u32_e32 vcc_lo, 0xffffff, v88
	v_sub_nc_u32_e32 v181, v89, v90
	v_cndmask_b32_e64 v89, 0, 1, vcc_lo
	v_add_co_ci_u32_e32 v181, vcc_lo, 0, v181, vcc_lo
	s_delay_alu instid0(VALU_DEP_2)
	v_lshrrev_b32_e32 v88, v89, v88
; %bb.5836:                             ;   in Loop: Header=BB6_4903 Depth=2
	s_and_not1_saveexec_b32 s7, s7
; %bb.5837:                             ;   in Loop: Header=BB6_4903 Depth=2
	s_delay_alu instid0(VALU_DEP_1)
	v_bfe_u32 v181, v88, 23, 1
; %bb.5838:                             ;   in Loop: Header=BB6_4903 Depth=2
	s_or_b32 exec_lo, exec_lo, s7
	v_lshrrev_b32_e32 v88, 20, v88
	s_delay_alu instid0(VALU_DEP_2) | instskip(SKIP_2) | instid1(VALU_DEP_2)
	v_cmp_gt_i32_e32 vcc_lo, 16, v181
	v_lshrrev_b32_e32 v79, 24, v79
	v_min_i32_e32 v89, 15, v181
	v_dual_cndmask_b32 v88, 7, v88 :: v_dual_and_b32 v79, 0x80, v79
	s_delay_alu instid0(VALU_DEP_2) | instskip(NEXT) | instid1(VALU_DEP_2)
	v_lshlrev_b32_e32 v89, 3, v89
	v_or_b32_e32 v181, v181, v88
	s_delay_alu instid0(VALU_DEP_1) | instskip(SKIP_1) | instid1(VALU_DEP_1)
	v_cmp_ne_u32_e32 vcc_lo, 0, v181
	v_and_b32_e32 v90, 7, v88
	v_or3_b32 v79, v89, v79, v90
	s_delay_alu instid0(VALU_DEP_1)
	v_cndmask_b32_e32 v181, 0, v79, vcc_lo
.LBB6_5839:                             ;   in Loop: Header=BB6_4903 Depth=2
	s_or_b32 exec_lo, exec_lo, s24
.LBB6_5840:                             ;   in Loop: Header=BB6_4903 Depth=2
	s_delay_alu instid0(SALU_CYCLE_1) | instskip(SKIP_3) | instid1(VALU_DEP_1)
	s_or_b32 exec_lo, exec_lo, s23
	v_and_b32_e32 v88, 0xff, v41
	s_mov_b32 s7, 0
	s_mov_b32 s24, exec_lo
                                        ; implicit-def: $sgpr23
	v_cmpx_lt_i16_e32 0x7f, v88
	s_xor_b32 s24, exec_lo, s24
	s_cbranch_execnz .LBB6_7038
; %bb.5841:                             ;   in Loop: Header=BB6_4903 Depth=2
	s_or_saveexec_b32 s24, s24
	v_mov_b32_e32 v79, s23
	s_xor_b32 exec_lo, exec_lo, s24
	s_cbranch_execnz .LBB6_7041
.LBB6_5842:                             ;   in Loop: Header=BB6_4903 Depth=2
	s_or_b32 exec_lo, exec_lo, s24
	s_and_saveexec_b32 s23, s7
	s_cbranch_execz .LBB6_5844
.LBB6_5843:                             ;   in Loop: Header=BB6_4903 Depth=2
	v_bfe_u32 v90, v41, 3, 4
	s_delay_alu instid0(VALU_DEP_1) | instskip(SKIP_1) | instid1(VALU_DEP_1)
	v_cmp_eq_u32_e32 vcc_lo, 0, v90
	v_and_b32_e32 v79, 7, v41
	v_clz_i32_u32_e32 v88, v79
	s_delay_alu instid0(VALU_DEP_1) | instskip(NEXT) | instid1(VALU_DEP_1)
	v_min_u32_e32 v88, 32, v88
	v_subrev_nc_u32_e32 v89, 28, v88
	v_sub_nc_u32_e32 v88, 29, v88
	s_delay_alu instid0(VALU_DEP_1) | instskip(SKIP_1) | instid1(VALU_DEP_2)
	v_dual_cndmask_b32 v88, v90, v88 :: v_dual_lshlrev_b32 v89, v89, v41
	v_lshlrev_b32_e32 v41, 24, v41
	v_and_b32_e32 v89, 7, v89
	s_delay_alu instid0(VALU_DEP_3) | instskip(NEXT) | instid1(VALU_DEP_3)
	v_lshl_add_u32 v88, v88, 23, 0x3b800000
	v_and_b32_e32 v41, 0x80000000, v41
	s_delay_alu instid0(VALU_DEP_3) | instskip(NEXT) | instid1(VALU_DEP_1)
	v_cndmask_b32_e32 v79, v79, v89, vcc_lo
	v_lshlrev_b32_e32 v79, 20, v79
	s_delay_alu instid0(VALU_DEP_1)
	v_or3_b32 v79, v41, v88, v79
.LBB6_5844:                             ;   in Loop: Header=BB6_4903 Depth=2
	s_or_b32 exec_lo, exec_lo, s23
	v_lshrrev_b32_e32 v41, 16, v24
	s_mov_b32 s7, 0
	s_mov_b32 s24, exec_lo
                                        ; implicit-def: $sgpr23
	s_delay_alu instid0(VALU_DEP_1) | instskip(NEXT) | instid1(VALU_DEP_1)
	v_and_b32_e32 v89, 0xff, v41
	v_cmpx_lt_i16_e32 0x7f, v89
	s_xor_b32 s24, exec_lo, s24
	s_cbranch_execnz .LBB6_7042
; %bb.5845:                             ;   in Loop: Header=BB6_4903 Depth=2
	s_or_saveexec_b32 s24, s24
	v_mov_b32_e32 v88, s23
	s_xor_b32 exec_lo, exec_lo, s24
	s_cbranch_execnz .LBB6_7045
.LBB6_5846:                             ;   in Loop: Header=BB6_4903 Depth=2
	s_or_b32 exec_lo, exec_lo, s24
	s_and_saveexec_b32 s23, s7
	s_cbranch_execz .LBB6_5848
.LBB6_5847:                             ;   in Loop: Header=BB6_4903 Depth=2
	v_bfe_u32 v88, v24, 16, 3
	v_lshlrev_b32_e32 v91, 8, v24
	s_delay_alu instid0(VALU_DEP_2) | instskip(NEXT) | instid1(VALU_DEP_1)
	v_clz_i32_u32_e32 v89, v88
	v_min_u32_e32 v89, 32, v89
	s_delay_alu instid0(VALU_DEP_1) | instskip(SKIP_1) | instid1(VALU_DEP_2)
	v_subrev_nc_u32_e32 v90, 28, v89
	v_sub_nc_u32_e32 v89, 29, v89
	v_lshlrev_b32_e32 v41, v90, v41
	v_bfe_u32 v90, v24, 19, 4
	s_delay_alu instid0(VALU_DEP_2) | instskip(NEXT) | instid1(VALU_DEP_2)
	v_and_b32_e32 v41, 7, v41
	v_cmp_eq_u32_e32 vcc_lo, 0, v90
	v_cndmask_b32_e32 v89, v90, v89, vcc_lo
	s_delay_alu instid0(VALU_DEP_3) | instskip(NEXT) | instid1(VALU_DEP_2)
	v_dual_cndmask_b32 v41, v88, v41 :: v_dual_and_b32 v88, 0x80000000, v91
	v_lshl_add_u32 v89, v89, 23, 0x3b800000
	s_delay_alu instid0(VALU_DEP_2) | instskip(NEXT) | instid1(VALU_DEP_1)
	v_lshlrev_b32_e32 v41, 20, v41
	v_or3_b32 v88, v88, v89, v41
.LBB6_5848:                             ;   in Loop: Header=BB6_4903 Depth=2
	s_or_b32 exec_lo, exec_lo, s23
	s_delay_alu instid0(VALU_DEP_1) | instskip(NEXT) | instid1(VALU_DEP_1)
	v_add_f32_e32 v79, v79, v88
	v_and_b32_e32 v41, 0x7f800000, v79
	s_delay_alu instid0(VALU_DEP_1)
	v_cmp_ne_u32_e32 vcc_lo, 0x7f800000, v41
	v_mov_b32_e32 v41, 0x80
	s_and_saveexec_b32 s23, vcc_lo
	s_cbranch_execz .LBB6_5856
; %bb.5849:                             ;   in Loop: Header=BB6_4903 Depth=2
	v_mov_b32_e32 v41, 0
	s_mov_b32 s24, exec_lo
	v_cmpx_ne_u32_e32 0, v79
	s_cbranch_execz .LBB6_5855
; %bb.5850:                             ;   in Loop: Header=BB6_4903 Depth=2
	v_bfe_u32 v41, v79, 23, 8
	s_delay_alu instid0(VALU_DEP_1) | instskip(SKIP_1) | instid1(VALU_DEP_2)
	v_sub_nc_u32_e32 v89, 0x78, v41
	v_cmp_gt_u32_e32 vcc_lo, 0x79, v41
	v_dual_cndmask_b32 v89, 0, v89 :: v_dual_and_b32 v88, 0x7fffff, v79
	s_delay_alu instid0(VALU_DEP_1) | instskip(SKIP_2) | instid1(VALU_DEP_4)
	v_or_b32_e32 v90, 0x800000, v88
	v_cmp_eq_u32_e32 vcc_lo, 0, v41
	v_add_nc_u32_e32 v41, 0xffffff89, v41
	v_cndmask_b32_e64 v89, v89, 0x77, vcc_lo
	s_delay_alu instid0(VALU_DEP_4) | instskip(NEXT) | instid1(VALU_DEP_3)
	v_cndmask_b32_e32 v88, v90, v88, vcc_lo
	v_cndmask_b32_e64 v41, v41, 0xffffff8a, vcc_lo
	s_delay_alu instid0(VALU_DEP_3) | instskip(NEXT) | instid1(VALU_DEP_3)
	v_lshl_add_u32 v90, 0x100000, v89, -1
	v_lshrrev_b32_e32 v91, v89, v88
	v_lshlrev_b32_e64 v93, v89, 0x80000
	s_delay_alu instid0(VALU_DEP_4) | instskip(NEXT) | instid1(VALU_DEP_4)
	v_add_nc_u32_e32 v89, v89, v41
	v_and_b32_e32 v88, v90, v88
	s_delay_alu instid0(VALU_DEP_4) | instskip(NEXT) | instid1(VALU_DEP_2)
	v_bfe_u32 v92, v91, 20, 1
	v_cmp_eq_u32_e64 s7, v88, v93
	s_delay_alu instid0(VALU_DEP_2) | instskip(NEXT) | instid1(VALU_DEP_1)
	v_add_nc_u32_e32 v90, -1, v92
	v_cndmask_b32_e64 v88, 0, v90, s7
	v_lshrrev_b32_e32 v90, 23, v91
	s_mov_b32 s7, exec_lo
	s_delay_alu instid0(VALU_DEP_2) | instskip(NEXT) | instid1(VALU_DEP_2)
	v_add_nc_u32_e32 v88, v88, v91
	v_xor_b32_e32 v90, 1, v90
	s_delay_alu instid0(VALU_DEP_2) | instskip(NEXT) | instid1(VALU_DEP_1)
	v_and_b32_e32 v41, 0xfffff, v88
	v_add_nc_u32_e32 v88, v41, v91
                                        ; implicit-def: $vgpr41
	s_delay_alu instid0(VALU_DEP_3)
	v_cmpx_ne_u32_e64 v89, v90
	s_xor_b32 s7, exec_lo, s7
; %bb.5851:                             ;   in Loop: Header=BB6_4903 Depth=2
	s_delay_alu instid0(VALU_DEP_2) | instskip(SKIP_2) | instid1(VALU_DEP_2)
	v_cmp_lt_u32_e32 vcc_lo, 0xffffff, v88
	v_sub_nc_u32_e32 v41, v89, v90
	v_cndmask_b32_e64 v89, 0, 1, vcc_lo
	v_add_co_ci_u32_e32 v41, vcc_lo, 0, v41, vcc_lo
	s_delay_alu instid0(VALU_DEP_2)
	v_lshrrev_b32_e32 v88, v89, v88
; %bb.5852:                             ;   in Loop: Header=BB6_4903 Depth=2
	s_and_not1_saveexec_b32 s7, s7
; %bb.5853:                             ;   in Loop: Header=BB6_4903 Depth=2
	s_delay_alu instid0(VALU_DEP_1)
	v_bfe_u32 v41, v88, 23, 1
; %bb.5854:                             ;   in Loop: Header=BB6_4903 Depth=2
	s_or_b32 exec_lo, exec_lo, s7
	v_lshrrev_b32_e32 v88, 20, v88
	s_delay_alu instid0(VALU_DEP_2) | instskip(SKIP_2) | instid1(VALU_DEP_2)
	v_cmp_gt_i32_e32 vcc_lo, 16, v41
	v_lshrrev_b32_e32 v79, 24, v79
	v_min_i32_e32 v89, 15, v41
	v_dual_cndmask_b32 v88, 7, v88 :: v_dual_and_b32 v79, 0x80, v79
	s_delay_alu instid0(VALU_DEP_2) | instskip(NEXT) | instid1(VALU_DEP_2)
	v_lshlrev_b32_e32 v89, 3, v89
	v_or_b32_e32 v41, v41, v88
	s_delay_alu instid0(VALU_DEP_1) | instskip(SKIP_1) | instid1(VALU_DEP_1)
	v_cmp_ne_u32_e32 vcc_lo, 0, v41
	v_and_b32_e32 v90, 7, v88
	v_or3_b32 v79, v89, v79, v90
	s_delay_alu instid0(VALU_DEP_1)
	v_cndmask_b32_e32 v41, 0, v79, vcc_lo
.LBB6_5855:                             ;   in Loop: Header=BB6_4903 Depth=2
	s_or_b32 exec_lo, exec_lo, s24
.LBB6_5856:                             ;   in Loop: Header=BB6_4903 Depth=2
	s_delay_alu instid0(SALU_CYCLE_1) | instskip(SKIP_3) | instid1(VALU_DEP_1)
	s_or_b32 exec_lo, exec_lo, s23
	v_and_b32_e32 v88, 0xff, v60
	s_mov_b32 s7, 0
	s_mov_b32 s24, exec_lo
                                        ; implicit-def: $sgpr23
	v_cmpx_lt_i16_e32 0x7f, v88
	s_xor_b32 s24, exec_lo, s24
	s_cbranch_execnz .LBB6_7046
; %bb.5857:                             ;   in Loop: Header=BB6_4903 Depth=2
	s_or_saveexec_b32 s24, s24
	v_mov_b32_e32 v79, s23
	s_xor_b32 exec_lo, exec_lo, s24
	s_cbranch_execnz .LBB6_7049
.LBB6_5858:                             ;   in Loop: Header=BB6_4903 Depth=2
	s_or_b32 exec_lo, exec_lo, s24
	s_and_saveexec_b32 s23, s7
	s_cbranch_execz .LBB6_5860
.LBB6_5859:                             ;   in Loop: Header=BB6_4903 Depth=2
	v_lshlrev_b32_e32 v60, 8, v60
	s_delay_alu instid0(VALU_DEP_1) | instskip(SKIP_1) | instid1(VALU_DEP_2)
	v_and_b32_e32 v79, 0xff00, v60
	v_bfe_u32 v60, v60, 11, 4
	v_bfe_u32 v89, v79, 8, 3
	s_delay_alu instid0(VALU_DEP_2) | instskip(NEXT) | instid1(VALU_DEP_2)
	v_cmp_eq_u32_e32 vcc_lo, 0, v60
	v_clz_i32_u32_e32 v90, v89
	s_delay_alu instid0(VALU_DEP_1) | instskip(NEXT) | instid1(VALU_DEP_1)
	v_min_u32_e32 v90, 32, v90
	v_subrev_nc_u32_e32 v91, 28, v90
	v_sub_nc_u32_e32 v90, 29, v90
	s_delay_alu instid0(VALU_DEP_2) | instskip(NEXT) | instid1(VALU_DEP_2)
	v_lshlrev_b32_e32 v88, v91, v88
	v_cndmask_b32_e32 v60, v60, v90, vcc_lo
	s_delay_alu instid0(VALU_DEP_2) | instskip(SKIP_1) | instid1(VALU_DEP_3)
	v_and_b32_e32 v88, 7, v88
	v_lshlrev_b32_e32 v79, 16, v79
	v_lshl_add_u32 v60, v60, 23, 0x3b800000
	s_delay_alu instid0(VALU_DEP_2) | instskip(NEXT) | instid1(VALU_DEP_1)
	v_dual_cndmask_b32 v88, v89, v88 :: v_dual_and_b32 v79, 0x80000000, v79
	v_lshlrev_b32_e32 v88, 20, v88
	s_delay_alu instid0(VALU_DEP_1)
	v_or3_b32 v79, v79, v60, v88
.LBB6_5860:                             ;   in Loop: Header=BB6_4903 Depth=2
	s_or_b32 exec_lo, exec_lo, s23
	v_lshrrev_b32_e32 v60, 24, v24
	s_mov_b32 s7, 0
	s_mov_b32 s24, exec_lo
                                        ; implicit-def: $sgpr23
	s_delay_alu instid0(VALU_DEP_1)
	v_cmpx_lt_i16_e32 0x7f, v60
	s_xor_b32 s24, exec_lo, s24
	s_cbranch_execnz .LBB6_7050
; %bb.5861:                             ;   in Loop: Header=BB6_4903 Depth=2
	s_or_saveexec_b32 s24, s24
	v_mov_b32_e32 v88, s23
	s_xor_b32 exec_lo, exec_lo, s24
	s_cbranch_execnz .LBB6_7053
.LBB6_5862:                             ;   in Loop: Header=BB6_4903 Depth=2
	s_or_b32 exec_lo, exec_lo, s24
	s_and_saveexec_b32 s23, s7
	s_cbranch_execz .LBB6_5864
.LBB6_5863:                             ;   in Loop: Header=BB6_4903 Depth=2
	v_bfe_u32 v88, v24, 24, 3
	s_delay_alu instid0(VALU_DEP_1) | instskip(NEXT) | instid1(VALU_DEP_1)
	v_clz_i32_u32_e32 v89, v88
	v_min_u32_e32 v89, 32, v89
	s_delay_alu instid0(VALU_DEP_1) | instskip(SKIP_1) | instid1(VALU_DEP_2)
	v_subrev_nc_u32_e32 v90, 28, v89
	v_sub_nc_u32_e32 v89, 29, v89
	v_lshlrev_b32_e32 v60, v90, v60
	v_bfe_u32 v90, v24, 27, 4
	v_and_b32_e32 v24, 0x80000000, v24
	s_delay_alu instid0(VALU_DEP_2) | instskip(NEXT) | instid1(VALU_DEP_4)
	v_cmp_eq_u32_e32 vcc_lo, 0, v90
	v_dual_cndmask_b32 v89, v90, v89 :: v_dual_and_b32 v60, 7, v60
	s_delay_alu instid0(VALU_DEP_1) | instskip(NEXT) | instid1(VALU_DEP_2)
	v_cndmask_b32_e32 v60, v88, v60, vcc_lo
	v_lshl_add_u32 v88, v89, 23, 0x3b800000
	s_delay_alu instid0(VALU_DEP_2) | instskip(NEXT) | instid1(VALU_DEP_1)
	v_lshlrev_b32_e32 v60, 20, v60
	v_or3_b32 v88, v24, v88, v60
.LBB6_5864:                             ;   in Loop: Header=BB6_4903 Depth=2
	s_or_b32 exec_lo, exec_lo, s23
	s_delay_alu instid0(VALU_DEP_1) | instskip(NEXT) | instid1(VALU_DEP_1)
	v_add_f32_e32 v60, v79, v88
	v_and_b32_e32 v24, 0x7f800000, v60
	s_delay_alu instid0(VALU_DEP_1)
	v_cmp_ne_u32_e32 vcc_lo, 0x7f800000, v24
	v_mov_b32_e32 v24, 0x80
	s_and_saveexec_b32 s23, vcc_lo
	s_cbranch_execz .LBB6_5872
; %bb.5865:                             ;   in Loop: Header=BB6_4903 Depth=2
	v_mov_b32_e32 v24, 0
	s_mov_b32 s24, exec_lo
	v_cmpx_ne_u32_e32 0, v60
	s_cbranch_execz .LBB6_5871
; %bb.5866:                             ;   in Loop: Header=BB6_4903 Depth=2
	v_bfe_u32 v24, v60, 23, 8
	v_and_b32_e32 v79, 0x7fffff, v60
	s_delay_alu instid0(VALU_DEP_2) | instskip(SKIP_1) | instid1(VALU_DEP_3)
	v_sub_nc_u32_e32 v88, 0x78, v24
	v_cmp_gt_u32_e32 vcc_lo, 0x79, v24
	v_or_b32_e32 v89, 0x800000, v79
	s_delay_alu instid0(VALU_DEP_3) | instskip(SKIP_1) | instid1(VALU_DEP_3)
	v_cndmask_b32_e32 v88, 0, v88, vcc_lo
	v_cmp_eq_u32_e32 vcc_lo, 0, v24
	v_dual_cndmask_b32 v79, v89, v79 :: v_dual_add_nc_u32 v24, 0xffffff89, v24
	s_delay_alu instid0(VALU_DEP_3) | instskip(NEXT) | instid1(VALU_DEP_2)
	v_cndmask_b32_e64 v88, v88, 0x77, vcc_lo
	v_cndmask_b32_e64 v24, v24, 0xffffff8a, vcc_lo
	s_delay_alu instid0(VALU_DEP_2) | instskip(SKIP_2) | instid1(VALU_DEP_4)
	v_lshrrev_b32_e32 v90, v88, v79
	v_lshl_add_u32 v89, 0x100000, v88, -1
	v_lshlrev_b32_e64 v92, v88, 0x80000
	v_add_nc_u32_e32 v88, v88, v24
	s_delay_alu instid0(VALU_DEP_4) | instskip(NEXT) | instid1(VALU_DEP_4)
	v_bfe_u32 v91, v90, 20, 1
	v_and_b32_e32 v79, v89, v79
	s_delay_alu instid0(VALU_DEP_2) | instskip(NEXT) | instid1(VALU_DEP_2)
	v_add_nc_u32_e32 v89, -1, v91
	v_cmp_eq_u32_e64 s7, v79, v92
	s_delay_alu instid0(VALU_DEP_1) | instskip(SKIP_2) | instid1(VALU_DEP_2)
	v_cndmask_b32_e64 v79, 0, v89, s7
	v_lshrrev_b32_e32 v89, 23, v90
	s_mov_b32 s7, exec_lo
	v_add_nc_u32_e32 v79, v79, v90
	s_delay_alu instid0(VALU_DEP_2) | instskip(NEXT) | instid1(VALU_DEP_2)
	v_xor_b32_e32 v89, 1, v89
	v_and_b32_e32 v24, 0xfffff, v79
	s_delay_alu instid0(VALU_DEP_1) | instskip(NEXT) | instid1(VALU_DEP_3)
	v_add_nc_u32_e32 v79, v24, v90
                                        ; implicit-def: $vgpr24
	v_cmpx_ne_u32_e64 v88, v89
	s_xor_b32 s7, exec_lo, s7
; %bb.5867:                             ;   in Loop: Header=BB6_4903 Depth=2
	s_delay_alu instid0(VALU_DEP_2) | instskip(SKIP_2) | instid1(VALU_DEP_2)
	v_cmp_lt_u32_e32 vcc_lo, 0xffffff, v79
	v_sub_nc_u32_e32 v24, v88, v89
	v_cndmask_b32_e64 v88, 0, 1, vcc_lo
	v_add_co_ci_u32_e32 v24, vcc_lo, 0, v24, vcc_lo
	s_delay_alu instid0(VALU_DEP_2)
	v_lshrrev_b32_e32 v79, v88, v79
; %bb.5868:                             ;   in Loop: Header=BB6_4903 Depth=2
	s_and_not1_saveexec_b32 s7, s7
; %bb.5869:                             ;   in Loop: Header=BB6_4903 Depth=2
	s_delay_alu instid0(VALU_DEP_1)
	v_bfe_u32 v24, v79, 23, 1
; %bb.5870:                             ;   in Loop: Header=BB6_4903 Depth=2
	s_or_b32 exec_lo, exec_lo, s7
	v_lshrrev_b32_e32 v79, 20, v79
	s_delay_alu instid0(VALU_DEP_2) | instskip(SKIP_2) | instid1(VALU_DEP_2)
	v_cmp_gt_i32_e32 vcc_lo, 16, v24
	v_lshrrev_b32_e32 v60, 24, v60
	v_min_i32_e32 v88, 15, v24
	v_dual_cndmask_b32 v79, 7, v79 :: v_dual_and_b32 v60, 0x80, v60
	s_delay_alu instid0(VALU_DEP_2) | instskip(NEXT) | instid1(VALU_DEP_2)
	v_lshlrev_b32_e32 v88, 3, v88
	v_or_b32_e32 v24, v24, v79
	s_delay_alu instid0(VALU_DEP_1) | instskip(SKIP_1) | instid1(VALU_DEP_1)
	v_cmp_ne_u32_e32 vcc_lo, 0, v24
	v_and_b32_e32 v89, 7, v79
	v_or3_b32 v60, v88, v60, v89
	s_delay_alu instid0(VALU_DEP_1)
	v_cndmask_b32_e32 v24, 0, v60, vcc_lo
.LBB6_5871:                             ;   in Loop: Header=BB6_4903 Depth=2
	s_or_b32 exec_lo, exec_lo, s24
.LBB6_5872:                             ;   in Loop: Header=BB6_4903 Depth=2
	s_delay_alu instid0(SALU_CYCLE_1) | instskip(SKIP_3) | instid1(VALU_DEP_1)
	s_or_b32 exec_lo, exec_lo, s23
	v_or_b32_e32 v78, v78, v58
	s_mov_b32 s7, 0
	s_mov_b32 s24, exec_lo
                                        ; implicit-def: $sgpr23
	v_and_b32_e32 v60, 0xff, v78
	s_delay_alu instid0(VALU_DEP_1)
	v_cmpx_lt_i16_e32 0x7f, v60
	s_xor_b32 s24, exec_lo, s24
	s_cbranch_execnz .LBB6_7054
; %bb.5873:                             ;   in Loop: Header=BB6_4903 Depth=2
	s_or_saveexec_b32 s24, s24
	v_mov_b32_e32 v58, s23
	s_xor_b32 exec_lo, exec_lo, s24
	s_cbranch_execnz .LBB6_7057
.LBB6_5874:                             ;   in Loop: Header=BB6_4903 Depth=2
	s_or_b32 exec_lo, exec_lo, s24
	s_and_saveexec_b32 s23, s7
	s_cbranch_execz .LBB6_5876
.LBB6_5875:                             ;   in Loop: Header=BB6_4903 Depth=2
	v_and_b32_e32 v58, 7, v78
	v_bfe_u32 v88, v78, 3, 4
	s_delay_alu instid0(VALU_DEP_2) | instskip(NEXT) | instid1(VALU_DEP_2)
	v_clz_i32_u32_e32 v60, v58
	v_cmp_eq_u32_e32 vcc_lo, 0, v88
	s_delay_alu instid0(VALU_DEP_2) | instskip(NEXT) | instid1(VALU_DEP_1)
	v_min_u32_e32 v60, 32, v60
	v_subrev_nc_u32_e32 v79, 28, v60
	v_sub_nc_u32_e32 v60, 29, v60
	s_delay_alu instid0(VALU_DEP_1) | instskip(NEXT) | instid1(VALU_DEP_1)
	v_dual_cndmask_b32 v60, v88, v60 :: v_dual_lshlrev_b32 v79, v79, v78
	v_and_b32_e32 v79, 7, v79
	v_lshlrev_b32_e32 v89, 24, v78
	s_delay_alu instid0(VALU_DEP_3) | instskip(NEXT) | instid1(VALU_DEP_2)
	v_lshl_add_u32 v60, v60, 23, 0x3b800000
	v_dual_cndmask_b32 v58, v58, v79 :: v_dual_and_b32 v79, 0x80000000, v89
	s_delay_alu instid0(VALU_DEP_1) | instskip(NEXT) | instid1(VALU_DEP_1)
	v_lshlrev_b32_e32 v58, 20, v58
	v_or3_b32 v58, v79, v60, v58
.LBB6_5876:                             ;   in Loop: Header=BB6_4903 Depth=2
	s_or_b32 exec_lo, exec_lo, s23
	v_and_b32_e32 v79, 0xff, v25
	s_mov_b32 s7, 0
	s_mov_b32 s24, exec_lo
                                        ; implicit-def: $sgpr23
	s_delay_alu instid0(VALU_DEP_1)
	v_cmpx_lt_i16_e32 0x7f, v79
	s_xor_b32 s24, exec_lo, s24
	s_cbranch_execnz .LBB6_7058
; %bb.5877:                             ;   in Loop: Header=BB6_4903 Depth=2
	s_or_saveexec_b32 s24, s24
	v_mov_b32_e32 v60, s23
	s_xor_b32 exec_lo, exec_lo, s24
	s_cbranch_execnz .LBB6_7061
.LBB6_5878:                             ;   in Loop: Header=BB6_4903 Depth=2
	s_or_b32 exec_lo, exec_lo, s24
	s_and_saveexec_b32 s23, s7
	s_cbranch_execz .LBB6_5880
.LBB6_5879:                             ;   in Loop: Header=BB6_4903 Depth=2
	v_bfe_u32 v89, v25, 3, 4
	v_lshlrev_b32_e32 v90, 24, v25
	s_delay_alu instid0(VALU_DEP_2) | instskip(SKIP_1) | instid1(VALU_DEP_1)
	v_cmp_eq_u32_e32 vcc_lo, 0, v89
	v_and_b32_e32 v60, 7, v25
	v_clz_i32_u32_e32 v79, v60
	s_delay_alu instid0(VALU_DEP_1) | instskip(NEXT) | instid1(VALU_DEP_1)
	v_min_u32_e32 v79, 32, v79
	v_subrev_nc_u32_e32 v88, 28, v79
	v_sub_nc_u32_e32 v79, 29, v79
	s_delay_alu instid0(VALU_DEP_1) | instskip(NEXT) | instid1(VALU_DEP_1)
	v_dual_cndmask_b32 v79, v89, v79 :: v_dual_lshlrev_b32 v88, v88, v25
	v_and_b32_e32 v88, 7, v88
	s_delay_alu instid0(VALU_DEP_2) | instskip(NEXT) | instid1(VALU_DEP_2)
	v_lshl_add_u32 v79, v79, 23, 0x3b800000
	v_cndmask_b32_e32 v60, v60, v88, vcc_lo
	v_and_b32_e32 v88, 0x80000000, v90
	s_delay_alu instid0(VALU_DEP_2) | instskip(NEXT) | instid1(VALU_DEP_1)
	v_lshlrev_b32_e32 v60, 20, v60
	v_or3_b32 v60, v88, v79, v60
.LBB6_5880:                             ;   in Loop: Header=BB6_4903 Depth=2
	s_or_b32 exec_lo, exec_lo, s23
	s_delay_alu instid0(VALU_DEP_1) | instskip(NEXT) | instid1(VALU_DEP_1)
	v_add_f32_e32 v60, v58, v60
	v_and_b32_e32 v58, 0x7f800000, v60
	s_delay_alu instid0(VALU_DEP_1)
	v_cmp_ne_u32_e32 vcc_lo, 0x7f800000, v58
	v_mov_b32_e32 v58, 0x80
	s_and_saveexec_b32 s23, vcc_lo
	s_cbranch_execz .LBB6_5888
; %bb.5881:                             ;   in Loop: Header=BB6_4903 Depth=2
	v_mov_b32_e32 v58, 0
	s_mov_b32 s24, exec_lo
	v_cmpx_ne_u32_e32 0, v60
	s_cbranch_execz .LBB6_5887
; %bb.5882:                             ;   in Loop: Header=BB6_4903 Depth=2
	v_bfe_u32 v58, v60, 23, 8
	v_and_b32_e32 v79, 0x7fffff, v60
	s_delay_alu instid0(VALU_DEP_2) | instskip(SKIP_1) | instid1(VALU_DEP_3)
	v_sub_nc_u32_e32 v88, 0x78, v58
	v_cmp_gt_u32_e32 vcc_lo, 0x79, v58
	v_or_b32_e32 v89, 0x800000, v79
	s_delay_alu instid0(VALU_DEP_3) | instskip(SKIP_1) | instid1(VALU_DEP_3)
	v_cndmask_b32_e32 v88, 0, v88, vcc_lo
	v_cmp_eq_u32_e32 vcc_lo, 0, v58
	v_dual_cndmask_b32 v79, v89, v79 :: v_dual_add_nc_u32 v58, 0xffffff89, v58
	s_delay_alu instid0(VALU_DEP_3) | instskip(NEXT) | instid1(VALU_DEP_2)
	v_cndmask_b32_e64 v88, v88, 0x77, vcc_lo
	v_cndmask_b32_e64 v58, v58, 0xffffff8a, vcc_lo
	s_delay_alu instid0(VALU_DEP_2) | instskip(SKIP_2) | instid1(VALU_DEP_4)
	v_lshrrev_b32_e32 v90, v88, v79
	v_lshl_add_u32 v89, 0x100000, v88, -1
	v_lshlrev_b32_e64 v92, v88, 0x80000
	v_add_nc_u32_e32 v88, v88, v58
	s_delay_alu instid0(VALU_DEP_4) | instskip(NEXT) | instid1(VALU_DEP_4)
	v_bfe_u32 v91, v90, 20, 1
	v_and_b32_e32 v79, v89, v79
	s_delay_alu instid0(VALU_DEP_2) | instskip(NEXT) | instid1(VALU_DEP_2)
	v_add_nc_u32_e32 v89, -1, v91
	v_cmp_eq_u32_e64 s7, v79, v92
	s_delay_alu instid0(VALU_DEP_1) | instskip(SKIP_2) | instid1(VALU_DEP_2)
	v_cndmask_b32_e64 v79, 0, v89, s7
	v_lshrrev_b32_e32 v89, 23, v90
	s_mov_b32 s7, exec_lo
	v_add_nc_u32_e32 v79, v79, v90
	s_delay_alu instid0(VALU_DEP_2) | instskip(NEXT) | instid1(VALU_DEP_2)
	v_xor_b32_e32 v89, 1, v89
	v_and_b32_e32 v58, 0xfffff, v79
	s_delay_alu instid0(VALU_DEP_1) | instskip(NEXT) | instid1(VALU_DEP_3)
	v_add_nc_u32_e32 v79, v58, v90
                                        ; implicit-def: $vgpr58
	v_cmpx_ne_u32_e64 v88, v89
	s_xor_b32 s7, exec_lo, s7
; %bb.5883:                             ;   in Loop: Header=BB6_4903 Depth=2
	s_delay_alu instid0(VALU_DEP_2) | instskip(SKIP_2) | instid1(VALU_DEP_2)
	v_cmp_lt_u32_e32 vcc_lo, 0xffffff, v79
	v_sub_nc_u32_e32 v58, v88, v89
	v_cndmask_b32_e64 v88, 0, 1, vcc_lo
	v_add_co_ci_u32_e32 v58, vcc_lo, 0, v58, vcc_lo
	s_delay_alu instid0(VALU_DEP_2)
	v_lshrrev_b32_e32 v79, v88, v79
; %bb.5884:                             ;   in Loop: Header=BB6_4903 Depth=2
	s_and_not1_saveexec_b32 s7, s7
; %bb.5885:                             ;   in Loop: Header=BB6_4903 Depth=2
	s_delay_alu instid0(VALU_DEP_1)
	v_bfe_u32 v58, v79, 23, 1
; %bb.5886:                             ;   in Loop: Header=BB6_4903 Depth=2
	s_or_b32 exec_lo, exec_lo, s7
	v_lshrrev_b32_e32 v79, 20, v79
	s_delay_alu instid0(VALU_DEP_2) | instskip(SKIP_2) | instid1(VALU_DEP_2)
	v_cmp_gt_i32_e32 vcc_lo, 16, v58
	v_lshrrev_b32_e32 v60, 24, v60
	v_min_i32_e32 v88, 15, v58
	v_dual_cndmask_b32 v79, 7, v79 :: v_dual_and_b32 v60, 0x80, v60
	s_delay_alu instid0(VALU_DEP_2) | instskip(NEXT) | instid1(VALU_DEP_2)
	v_lshlrev_b32_e32 v88, 3, v88
	v_or_b32_e32 v58, v58, v79
	s_delay_alu instid0(VALU_DEP_1) | instskip(SKIP_1) | instid1(VALU_DEP_1)
	v_cmp_ne_u32_e32 vcc_lo, 0, v58
	v_and_b32_e32 v89, 7, v79
	v_or3_b32 v60, v88, v60, v89
	s_delay_alu instid0(VALU_DEP_1)
	v_cndmask_b32_e32 v58, 0, v60, vcc_lo
.LBB6_5887:                             ;   in Loop: Header=BB6_4903 Depth=2
	s_or_b32 exec_lo, exec_lo, s24
.LBB6_5888:                             ;   in Loop: Header=BB6_4903 Depth=2
	s_delay_alu instid0(SALU_CYCLE_1) | instskip(SKIP_3) | instid1(VALU_DEP_1)
	s_or_b32 exec_lo, exec_lo, s23
	v_lshrrev_b16 v79, 8, v78
	s_mov_b32 s7, 0
	s_mov_b32 s24, exec_lo
                                        ; implicit-def: $sgpr23
	v_cmpx_lt_i16_e32 0x7f, v79
	s_xor_b32 s24, exec_lo, s24
	s_cbranch_execnz .LBB6_7062
; %bb.5889:                             ;   in Loop: Header=BB6_4903 Depth=2
	s_or_saveexec_b32 s24, s24
	v_mov_b32_e32 v60, s23
	s_xor_b32 exec_lo, exec_lo, s24
	s_cbranch_execnz .LBB6_7065
.LBB6_5890:                             ;   in Loop: Header=BB6_4903 Depth=2
	s_or_b32 exec_lo, exec_lo, s24
	s_and_saveexec_b32 s23, s7
	s_cbranch_execz .LBB6_5892
.LBB6_5891:                             ;   in Loop: Header=BB6_4903 Depth=2
	v_and_b32_e32 v60, 0xffff, v79
	s_delay_alu instid0(VALU_DEP_1) | instskip(NEXT) | instid1(VALU_DEP_1)
	v_and_b32_e32 v88, 7, v60
	v_clz_i32_u32_e32 v89, v88
	s_delay_alu instid0(VALU_DEP_1) | instskip(NEXT) | instid1(VALU_DEP_1)
	v_min_u32_e32 v89, 32, v89
	v_subrev_nc_u32_e32 v90, 28, v89
	v_sub_nc_u32_e32 v89, 29, v89
	s_delay_alu instid0(VALU_DEP_2) | instskip(SKIP_1) | instid1(VALU_DEP_2)
	v_lshlrev_b32_e32 v90, v90, v60
	v_bfe_u32 v60, v60, 3, 4
	v_and_b32_e32 v90, 7, v90
	s_delay_alu instid0(VALU_DEP_2) | instskip(SKIP_1) | instid1(VALU_DEP_1)
	v_cmp_eq_u32_e32 vcc_lo, 0, v60
	v_dual_cndmask_b32 v60, v60, v89 :: v_dual_lshlrev_b32 v79, 24, v79
	v_dual_cndmask_b32 v88, v88, v90 :: v_dual_and_b32 v79, 0x80000000, v79
	s_delay_alu instid0(VALU_DEP_2) | instskip(NEXT) | instid1(VALU_DEP_2)
	v_lshl_add_u32 v60, v60, 23, 0x3b800000
	v_lshlrev_b32_e32 v88, 20, v88
	s_delay_alu instid0(VALU_DEP_1)
	v_or3_b32 v60, v79, v60, v88
.LBB6_5892:                             ;   in Loop: Header=BB6_4903 Depth=2
	s_or_b32 exec_lo, exec_lo, s23
	v_lshrrev_b16 v79, 8, v25
	s_mov_b32 s7, 0
	s_mov_b32 s24, exec_lo
                                        ; implicit-def: $sgpr23
	s_delay_alu instid0(VALU_DEP_1)
	v_cmpx_lt_i16_e32 0x7f, v79
	s_xor_b32 s24, exec_lo, s24
	s_cbranch_execnz .LBB6_7066
; %bb.5893:                             ;   in Loop: Header=BB6_4903 Depth=2
	s_or_saveexec_b32 s24, s24
	v_mov_b32_e32 v88, s23
	s_xor_b32 exec_lo, exec_lo, s24
	s_cbranch_execnz .LBB6_7069
.LBB6_5894:                             ;   in Loop: Header=BB6_4903 Depth=2
	s_or_b32 exec_lo, exec_lo, s24
	s_and_saveexec_b32 s23, s7
	s_cbranch_execz .LBB6_5896
.LBB6_5895:                             ;   in Loop: Header=BB6_4903 Depth=2
	v_and_b32_e32 v88, 0xffff, v79
	v_lshlrev_b32_e32 v79, 24, v79
	s_delay_alu instid0(VALU_DEP_2) | instskip(NEXT) | instid1(VALU_DEP_2)
	v_and_b32_e32 v89, 7, v88
	v_and_b32_e32 v79, 0x80000000, v79
	s_delay_alu instid0(VALU_DEP_2) | instskip(NEXT) | instid1(VALU_DEP_1)
	v_clz_i32_u32_e32 v90, v89
	v_min_u32_e32 v90, 32, v90
	s_delay_alu instid0(VALU_DEP_1) | instskip(SKIP_1) | instid1(VALU_DEP_2)
	v_subrev_nc_u32_e32 v91, 28, v90
	v_sub_nc_u32_e32 v90, 29, v90
	v_lshlrev_b32_e32 v91, v91, v88
	v_bfe_u32 v88, v88, 3, 4
	s_delay_alu instid0(VALU_DEP_2) | instskip(NEXT) | instid1(VALU_DEP_2)
	v_and_b32_e32 v91, 7, v91
	v_cmp_eq_u32_e32 vcc_lo, 0, v88
	s_delay_alu instid0(VALU_DEP_2) | instskip(NEXT) | instid1(VALU_DEP_1)
	v_dual_cndmask_b32 v88, v88, v90 :: v_dual_cndmask_b32 v89, v89, v91
	v_lshl_add_u32 v88, v88, 23, 0x3b800000
	s_delay_alu instid0(VALU_DEP_2) | instskip(NEXT) | instid1(VALU_DEP_1)
	v_lshlrev_b32_e32 v89, 20, v89
	v_or3_b32 v88, v79, v88, v89
.LBB6_5896:                             ;   in Loop: Header=BB6_4903 Depth=2
	s_or_b32 exec_lo, exec_lo, s23
	s_delay_alu instid0(VALU_DEP_1) | instskip(NEXT) | instid1(VALU_DEP_1)
	v_add_f32_e32 v79, v60, v88
	v_and_b32_e32 v60, 0x7f800000, v79
	s_delay_alu instid0(VALU_DEP_1)
	v_cmp_ne_u32_e32 vcc_lo, 0x7f800000, v60
	v_mov_b32_e32 v60, 0x8000
	s_and_saveexec_b32 s23, vcc_lo
	s_cbranch_execz .LBB6_5904
; %bb.5897:                             ;   in Loop: Header=BB6_4903 Depth=2
	v_mov_b32_e32 v60, 0
	s_mov_b32 s24, exec_lo
	v_cmpx_ne_u32_e32 0, v79
	s_cbranch_execz .LBB6_5903
; %bb.5898:                             ;   in Loop: Header=BB6_4903 Depth=2
	v_bfe_u32 v60, v79, 23, 8
	s_delay_alu instid0(VALU_DEP_1) | instskip(SKIP_1) | instid1(VALU_DEP_2)
	v_sub_nc_u32_e32 v89, 0x78, v60
	v_cmp_gt_u32_e32 vcc_lo, 0x79, v60
	v_dual_cndmask_b32 v89, 0, v89 :: v_dual_and_b32 v88, 0x7fffff, v79
	s_delay_alu instid0(VALU_DEP_1) | instskip(SKIP_2) | instid1(VALU_DEP_4)
	v_or_b32_e32 v90, 0x800000, v88
	v_cmp_eq_u32_e32 vcc_lo, 0, v60
	v_add_nc_u32_e32 v60, 0xffffff89, v60
	v_cndmask_b32_e64 v89, v89, 0x77, vcc_lo
	s_delay_alu instid0(VALU_DEP_4) | instskip(NEXT) | instid1(VALU_DEP_3)
	v_cndmask_b32_e32 v88, v90, v88, vcc_lo
	v_cndmask_b32_e64 v60, v60, 0xffffff8a, vcc_lo
	s_delay_alu instid0(VALU_DEP_3) | instskip(NEXT) | instid1(VALU_DEP_3)
	v_lshl_add_u32 v90, 0x100000, v89, -1
	v_lshrrev_b32_e32 v91, v89, v88
	v_lshlrev_b32_e64 v93, v89, 0x80000
	s_delay_alu instid0(VALU_DEP_4) | instskip(NEXT) | instid1(VALU_DEP_4)
	v_add_nc_u32_e32 v89, v89, v60
	v_and_b32_e32 v88, v90, v88
	s_delay_alu instid0(VALU_DEP_4) | instskip(NEXT) | instid1(VALU_DEP_2)
	v_bfe_u32 v92, v91, 20, 1
	v_cmp_eq_u32_e64 s7, v88, v93
	s_delay_alu instid0(VALU_DEP_2) | instskip(NEXT) | instid1(VALU_DEP_1)
	v_add_nc_u32_e32 v90, -1, v92
	v_cndmask_b32_e64 v88, 0, v90, s7
	v_lshrrev_b32_e32 v90, 23, v91
	s_mov_b32 s7, exec_lo
	s_delay_alu instid0(VALU_DEP_2) | instskip(NEXT) | instid1(VALU_DEP_2)
	v_add_nc_u32_e32 v88, v88, v91
	v_xor_b32_e32 v90, 1, v90
	s_delay_alu instid0(VALU_DEP_2) | instskip(NEXT) | instid1(VALU_DEP_1)
	v_and_b32_e32 v60, 0xfffff, v88
	v_add_nc_u32_e32 v88, v60, v91
                                        ; implicit-def: $vgpr60
	s_delay_alu instid0(VALU_DEP_3)
	v_cmpx_ne_u32_e64 v89, v90
	s_xor_b32 s7, exec_lo, s7
; %bb.5899:                             ;   in Loop: Header=BB6_4903 Depth=2
	s_delay_alu instid0(VALU_DEP_2) | instskip(SKIP_2) | instid1(VALU_DEP_2)
	v_cmp_lt_u32_e32 vcc_lo, 0xffffff, v88
	v_sub_nc_u32_e32 v60, v89, v90
	v_cndmask_b32_e64 v89, 0, 1, vcc_lo
	v_add_co_ci_u32_e32 v60, vcc_lo, 0, v60, vcc_lo
	s_delay_alu instid0(VALU_DEP_2)
	v_lshrrev_b32_e32 v88, v89, v88
; %bb.5900:                             ;   in Loop: Header=BB6_4903 Depth=2
	s_and_not1_saveexec_b32 s7, s7
; %bb.5901:                             ;   in Loop: Header=BB6_4903 Depth=2
	s_delay_alu instid0(VALU_DEP_1)
	v_bfe_u32 v60, v88, 23, 1
; %bb.5902:                             ;   in Loop: Header=BB6_4903 Depth=2
	s_or_b32 exec_lo, exec_lo, s7
	v_lshrrev_b32_e32 v88, 20, v88
	s_delay_alu instid0(VALU_DEP_2) | instskip(SKIP_2) | instid1(VALU_DEP_2)
	v_cmp_gt_i32_e32 vcc_lo, 16, v60
	v_min_i32_e32 v89, 15, v60
	v_lshrrev_b32_e32 v79, 24, v79
	v_dual_cndmask_b32 v88, 7, v88 :: v_dual_lshlrev_b32 v89, 3, v89
	s_delay_alu instid0(VALU_DEP_2) | instskip(NEXT) | instid1(VALU_DEP_2)
	v_and_b32_e32 v79, 0x80, v79
	v_or_b32_e32 v60, v60, v88
	v_and_b32_e32 v90, 7, v88
	s_delay_alu instid0(VALU_DEP_2) | instskip(SKIP_1) | instid1(VALU_DEP_1)
	v_cmp_ne_u32_e32 vcc_lo, 0, v60
	v_and_b32_e32 v89, 0xf8, v89
	v_or3_b32 v79, v79, v89, v90
	s_delay_alu instid0(VALU_DEP_1) | instskip(NEXT) | instid1(VALU_DEP_1)
	v_lshlrev_b32_e32 v79, 8, v79
	v_cndmask_b32_e32 v60, 0, v79, vcc_lo
.LBB6_5903:                             ;   in Loop: Header=BB6_4903 Depth=2
	s_or_b32 exec_lo, exec_lo, s24
.LBB6_5904:                             ;   in Loop: Header=BB6_4903 Depth=2
	s_delay_alu instid0(SALU_CYCLE_1) | instskip(SKIP_3) | instid1(VALU_DEP_1)
	s_or_b32 exec_lo, exec_lo, s23
	v_or_b32_e32 v77, v77, v75
	s_mov_b32 s7, 0
	s_mov_b32 s24, exec_lo
                                        ; implicit-def: $sgpr23
	v_and_b32_e32 v79, 0xff, v77
	s_delay_alu instid0(VALU_DEP_1)
	v_cmpx_lt_i16_e32 0x7f, v79
	s_xor_b32 s24, exec_lo, s24
	s_cbranch_execnz .LBB6_7070
; %bb.5905:                             ;   in Loop: Header=BB6_4903 Depth=2
	s_or_saveexec_b32 s24, s24
	v_mov_b32_e32 v75, s23
	s_xor_b32 exec_lo, exec_lo, s24
	s_cbranch_execnz .LBB6_7073
.LBB6_5906:                             ;   in Loop: Header=BB6_4903 Depth=2
	s_or_b32 exec_lo, exec_lo, s24
	v_lshl_or_b32 v77, v77, 16, v78
	s_and_saveexec_b32 s23, s7
	s_cbranch_execz .LBB6_5908
.LBB6_5907:                             ;   in Loop: Header=BB6_4903 Depth=2
	s_delay_alu instid0(VALU_DEP_1) | instskip(SKIP_2) | instid1(VALU_DEP_3)
	v_bfe_u32 v75, v77, 16, 3
	v_lshrrev_b32_e32 v79, 16, v77
	v_lshlrev_b32_e32 v89, 8, v77
	v_clz_i32_u32_e32 v78, v75
	s_delay_alu instid0(VALU_DEP_1) | instskip(NEXT) | instid1(VALU_DEP_1)
	v_min_u32_e32 v78, 32, v78
	v_subrev_nc_u32_e32 v88, 28, v78
	v_sub_nc_u32_e32 v78, 29, v78
	s_delay_alu instid0(VALU_DEP_2) | instskip(SKIP_1) | instid1(VALU_DEP_1)
	v_lshlrev_b32_e32 v79, v88, v79
	v_bfe_u32 v88, v77, 19, 4
	v_cmp_eq_u32_e32 vcc_lo, 0, v88
	s_delay_alu instid0(VALU_DEP_3) | instskip(NEXT) | instid1(VALU_DEP_1)
	v_dual_cndmask_b32 v78, v88, v78 :: v_dual_and_b32 v79, 7, v79
	v_cndmask_b32_e32 v75, v75, v79, vcc_lo
	v_and_b32_e32 v79, 0x80000000, v89
	s_delay_alu instid0(VALU_DEP_3) | instskip(NEXT) | instid1(VALU_DEP_3)
	v_lshl_add_u32 v78, v78, 23, 0x3b800000
	v_lshlrev_b32_e32 v75, 20, v75
	s_delay_alu instid0(VALU_DEP_1)
	v_or3_b32 v75, v79, v78, v75
.LBB6_5908:                             ;   in Loop: Header=BB6_4903 Depth=2
	s_or_b32 exec_lo, exec_lo, s23
	v_lshrrev_b32_e32 v78, 16, v25
	s_mov_b32 s7, 0
	s_mov_b32 s24, exec_lo
                                        ; implicit-def: $sgpr23
	s_delay_alu instid0(VALU_DEP_1) | instskip(NEXT) | instid1(VALU_DEP_1)
	v_and_b32_e32 v88, 0xff, v78
	v_cmpx_lt_i16_e32 0x7f, v88
	s_xor_b32 s24, exec_lo, s24
	s_cbranch_execnz .LBB6_7074
; %bb.5909:                             ;   in Loop: Header=BB6_4903 Depth=2
	s_or_saveexec_b32 s24, s24
	v_mov_b32_e32 v79, s23
	s_xor_b32 exec_lo, exec_lo, s24
	s_cbranch_execnz .LBB6_7077
.LBB6_5910:                             ;   in Loop: Header=BB6_4903 Depth=2
	s_or_b32 exec_lo, exec_lo, s24
	s_and_saveexec_b32 s23, s7
	s_cbranch_execz .LBB6_5912
.LBB6_5911:                             ;   in Loop: Header=BB6_4903 Depth=2
	v_bfe_u32 v79, v25, 16, 3
	v_lshlrev_b32_e32 v90, 8, v25
	s_delay_alu instid0(VALU_DEP_2) | instskip(NEXT) | instid1(VALU_DEP_1)
	v_clz_i32_u32_e32 v88, v79
	v_min_u32_e32 v88, 32, v88
	s_delay_alu instid0(VALU_DEP_1) | instskip(SKIP_1) | instid1(VALU_DEP_2)
	v_subrev_nc_u32_e32 v89, 28, v88
	v_sub_nc_u32_e32 v88, 29, v88
	v_lshlrev_b32_e32 v78, v89, v78
	v_bfe_u32 v89, v25, 19, 4
	s_delay_alu instid0(VALU_DEP_2) | instskip(NEXT) | instid1(VALU_DEP_2)
	v_and_b32_e32 v78, 7, v78
	v_cmp_eq_u32_e32 vcc_lo, 0, v89
	v_cndmask_b32_e32 v88, v89, v88, vcc_lo
	s_delay_alu instid0(VALU_DEP_3) | instskip(SKIP_1) | instid1(VALU_DEP_3)
	v_cndmask_b32_e32 v78, v79, v78, vcc_lo
	v_and_b32_e32 v79, 0x80000000, v90
	v_lshl_add_u32 v88, v88, 23, 0x3b800000
	s_delay_alu instid0(VALU_DEP_3) | instskip(NEXT) | instid1(VALU_DEP_1)
	v_lshlrev_b32_e32 v78, 20, v78
	v_or3_b32 v79, v79, v88, v78
.LBB6_5912:                             ;   in Loop: Header=BB6_4903 Depth=2
	s_or_b32 exec_lo, exec_lo, s23
	s_delay_alu instid0(VALU_DEP_1) | instskip(NEXT) | instid1(VALU_DEP_1)
	v_add_f32_e32 v78, v75, v79
	v_and_b32_e32 v75, 0x7f800000, v78
	s_delay_alu instid0(VALU_DEP_1)
	v_cmp_ne_u32_e32 vcc_lo, 0x7f800000, v75
	v_mov_b32_e32 v75, 0x80
	s_and_saveexec_b32 s23, vcc_lo
	s_cbranch_execz .LBB6_5920
; %bb.5913:                             ;   in Loop: Header=BB6_4903 Depth=2
	v_mov_b32_e32 v75, 0
	s_mov_b32 s24, exec_lo
	v_cmpx_ne_u32_e32 0, v78
	s_cbranch_execz .LBB6_5919
; %bb.5914:                             ;   in Loop: Header=BB6_4903 Depth=2
	v_bfe_u32 v75, v78, 23, 8
	s_delay_alu instid0(VALU_DEP_1) | instskip(SKIP_1) | instid1(VALU_DEP_2)
	v_sub_nc_u32_e32 v88, 0x78, v75
	v_cmp_gt_u32_e32 vcc_lo, 0x79, v75
	v_dual_cndmask_b32 v88, 0, v88 :: v_dual_and_b32 v79, 0x7fffff, v78
	s_delay_alu instid0(VALU_DEP_1) | instskip(SKIP_2) | instid1(VALU_DEP_4)
	v_or_b32_e32 v89, 0x800000, v79
	v_cmp_eq_u32_e32 vcc_lo, 0, v75
	v_add_nc_u32_e32 v75, 0xffffff89, v75
	v_cndmask_b32_e64 v88, v88, 0x77, vcc_lo
	s_delay_alu instid0(VALU_DEP_4) | instskip(NEXT) | instid1(VALU_DEP_3)
	v_cndmask_b32_e32 v79, v89, v79, vcc_lo
	v_cndmask_b32_e64 v75, v75, 0xffffff8a, vcc_lo
	s_delay_alu instid0(VALU_DEP_3) | instskip(NEXT) | instid1(VALU_DEP_3)
	v_lshl_add_u32 v89, 0x100000, v88, -1
	v_lshrrev_b32_e32 v90, v88, v79
	v_lshlrev_b32_e64 v92, v88, 0x80000
	s_delay_alu instid0(VALU_DEP_4) | instskip(NEXT) | instid1(VALU_DEP_4)
	v_add_nc_u32_e32 v88, v88, v75
	v_and_b32_e32 v79, v89, v79
	s_delay_alu instid0(VALU_DEP_4) | instskip(NEXT) | instid1(VALU_DEP_2)
	v_bfe_u32 v91, v90, 20, 1
	v_cmp_eq_u32_e64 s7, v79, v92
	s_delay_alu instid0(VALU_DEP_2) | instskip(NEXT) | instid1(VALU_DEP_1)
	v_add_nc_u32_e32 v89, -1, v91
	v_cndmask_b32_e64 v79, 0, v89, s7
	v_lshrrev_b32_e32 v89, 23, v90
	s_mov_b32 s7, exec_lo
	s_delay_alu instid0(VALU_DEP_2) | instskip(NEXT) | instid1(VALU_DEP_2)
	v_add_nc_u32_e32 v79, v79, v90
	v_xor_b32_e32 v89, 1, v89
	s_delay_alu instid0(VALU_DEP_2) | instskip(NEXT) | instid1(VALU_DEP_1)
	v_and_b32_e32 v75, 0xfffff, v79
	v_add_nc_u32_e32 v79, v75, v90
                                        ; implicit-def: $vgpr75
	s_delay_alu instid0(VALU_DEP_3)
	v_cmpx_ne_u32_e64 v88, v89
	s_xor_b32 s7, exec_lo, s7
; %bb.5915:                             ;   in Loop: Header=BB6_4903 Depth=2
	s_delay_alu instid0(VALU_DEP_2) | instskip(SKIP_2) | instid1(VALU_DEP_2)
	v_cmp_lt_u32_e32 vcc_lo, 0xffffff, v79
	v_sub_nc_u32_e32 v75, v88, v89
	v_cndmask_b32_e64 v88, 0, 1, vcc_lo
	v_add_co_ci_u32_e32 v75, vcc_lo, 0, v75, vcc_lo
	s_delay_alu instid0(VALU_DEP_2)
	v_lshrrev_b32_e32 v79, v88, v79
; %bb.5916:                             ;   in Loop: Header=BB6_4903 Depth=2
	s_and_not1_saveexec_b32 s7, s7
; %bb.5917:                             ;   in Loop: Header=BB6_4903 Depth=2
	s_delay_alu instid0(VALU_DEP_1)
	v_bfe_u32 v75, v79, 23, 1
; %bb.5918:                             ;   in Loop: Header=BB6_4903 Depth=2
	s_or_b32 exec_lo, exec_lo, s7
	v_lshrrev_b32_e32 v79, 20, v79
	s_delay_alu instid0(VALU_DEP_2) | instskip(SKIP_2) | instid1(VALU_DEP_2)
	v_cmp_gt_i32_e32 vcc_lo, 16, v75
	v_min_i32_e32 v88, 15, v75
	v_lshrrev_b32_e32 v78, 24, v78
	v_dual_cndmask_b32 v79, 7, v79 :: v_dual_lshlrev_b32 v88, 3, v88
	s_delay_alu instid0(VALU_DEP_2) | instskip(NEXT) | instid1(VALU_DEP_2)
	v_and_b32_e32 v78, 0x80, v78
	v_or_b32_e32 v75, v75, v79
	v_and_b32_e32 v89, 7, v79
	s_delay_alu instid0(VALU_DEP_2) | instskip(SKIP_1) | instid1(VALU_DEP_1)
	v_cmp_ne_u32_e32 vcc_lo, 0, v75
	v_and_b32_e32 v88, 0xf8, v88
	v_or3_b32 v78, v88, v78, v89
	s_delay_alu instid0(VALU_DEP_1)
	v_cndmask_b32_e32 v75, 0, v78, vcc_lo
.LBB6_5919:                             ;   in Loop: Header=BB6_4903 Depth=2
	s_or_b32 exec_lo, exec_lo, s24
.LBB6_5920:                             ;   in Loop: Header=BB6_4903 Depth=2
	s_delay_alu instid0(SALU_CYCLE_1) | instskip(SKIP_3) | instid1(VALU_DEP_1)
	s_or_b32 exec_lo, exec_lo, s23
	v_lshrrev_b32_e32 v79, 24, v77
	s_mov_b32 s7, 0
	s_mov_b32 s24, exec_lo
                                        ; implicit-def: $sgpr23
	v_cmpx_lt_i16_e32 0x7f, v79
	s_xor_b32 s24, exec_lo, s24
	s_cbranch_execnz .LBB6_7078
; %bb.5921:                             ;   in Loop: Header=BB6_4903 Depth=2
	s_or_saveexec_b32 s24, s24
	v_mov_b32_e32 v78, s23
	s_xor_b32 exec_lo, exec_lo, s24
	s_cbranch_execnz .LBB6_7081
.LBB6_5922:                             ;   in Loop: Header=BB6_4903 Depth=2
	s_or_b32 exec_lo, exec_lo, s24
	s_and_saveexec_b32 s23, s7
	s_cbranch_execz .LBB6_5924
.LBB6_5923:                             ;   in Loop: Header=BB6_4903 Depth=2
	v_bfe_u32 v78, v77, 24, 3
	s_delay_alu instid0(VALU_DEP_1) | instskip(NEXT) | instid1(VALU_DEP_1)
	v_clz_i32_u32_e32 v88, v78
	v_min_u32_e32 v88, 32, v88
	s_delay_alu instid0(VALU_DEP_1) | instskip(SKIP_1) | instid1(VALU_DEP_2)
	v_subrev_nc_u32_e32 v89, 28, v88
	v_sub_nc_u32_e32 v88, 29, v88
	v_lshlrev_b32_e32 v79, v89, v79
	v_bfe_u32 v89, v77, 27, 4
	v_and_b32_e32 v77, 0x80000000, v77
	s_delay_alu instid0(VALU_DEP_2) | instskip(NEXT) | instid1(VALU_DEP_4)
	v_cmp_eq_u32_e32 vcc_lo, 0, v89
	v_dual_cndmask_b32 v88, v89, v88 :: v_dual_and_b32 v79, 7, v79
	s_delay_alu instid0(VALU_DEP_1) | instskip(NEXT) | instid1(VALU_DEP_2)
	v_cndmask_b32_e32 v78, v78, v79, vcc_lo
	v_lshl_add_u32 v79, v88, 23, 0x3b800000
	s_delay_alu instid0(VALU_DEP_2) | instskip(NEXT) | instid1(VALU_DEP_1)
	v_lshlrev_b32_e32 v78, 20, v78
	v_or3_b32 v78, v77, v79, v78
.LBB6_5924:                             ;   in Loop: Header=BB6_4903 Depth=2
	s_or_b32 exec_lo, exec_lo, s23
	v_lshrrev_b32_e32 v77, 24, v25
	s_mov_b32 s7, 0
	s_mov_b32 s24, exec_lo
                                        ; implicit-def: $sgpr23
	s_delay_alu instid0(VALU_DEP_1)
	v_cmpx_lt_i16_e32 0x7f, v77
	s_xor_b32 s24, exec_lo, s24
	s_cbranch_execnz .LBB6_7082
; %bb.5925:                             ;   in Loop: Header=BB6_4903 Depth=2
	s_or_saveexec_b32 s24, s24
	v_mov_b32_e32 v79, s23
	s_xor_b32 exec_lo, exec_lo, s24
	s_cbranch_execnz .LBB6_7085
.LBB6_5926:                             ;   in Loop: Header=BB6_4903 Depth=2
	s_or_b32 exec_lo, exec_lo, s24
	s_and_saveexec_b32 s23, s7
	s_cbranch_execz .LBB6_5928
.LBB6_5927:                             ;   in Loop: Header=BB6_4903 Depth=2
	v_bfe_u32 v79, v25, 24, 3
	s_delay_alu instid0(VALU_DEP_1) | instskip(NEXT) | instid1(VALU_DEP_1)
	v_clz_i32_u32_e32 v88, v79
	v_min_u32_e32 v88, 32, v88
	s_delay_alu instid0(VALU_DEP_1) | instskip(SKIP_1) | instid1(VALU_DEP_2)
	v_subrev_nc_u32_e32 v89, 28, v88
	v_sub_nc_u32_e32 v88, 29, v88
	v_lshlrev_b32_e32 v77, v89, v77
	v_bfe_u32 v89, v25, 27, 4
	v_and_b32_e32 v25, 0x80000000, v25
	s_delay_alu instid0(VALU_DEP_2) | instskip(NEXT) | instid1(VALU_DEP_4)
	v_cmp_eq_u32_e32 vcc_lo, 0, v89
	v_dual_cndmask_b32 v88, v89, v88 :: v_dual_and_b32 v77, 7, v77
	s_delay_alu instid0(VALU_DEP_1) | instskip(NEXT) | instid1(VALU_DEP_2)
	v_cndmask_b32_e32 v77, v79, v77, vcc_lo
	v_lshl_add_u32 v79, v88, 23, 0x3b800000
	s_delay_alu instid0(VALU_DEP_2) | instskip(NEXT) | instid1(VALU_DEP_1)
	v_lshlrev_b32_e32 v77, 20, v77
	v_or3_b32 v79, v25, v79, v77
.LBB6_5928:                             ;   in Loop: Header=BB6_4903 Depth=2
	s_or_b32 exec_lo, exec_lo, s23
	s_delay_alu instid0(VALU_DEP_1) | instskip(NEXT) | instid1(VALU_DEP_1)
	v_add_f32_e32 v77, v78, v79
	v_and_b32_e32 v25, 0x7f800000, v77
	s_delay_alu instid0(VALU_DEP_1)
	v_cmp_ne_u32_e32 vcc_lo, 0x7f800000, v25
	v_mov_b32_e32 v25, 0x8000
	s_and_saveexec_b32 s23, vcc_lo
	s_cbranch_execz .LBB6_5936
; %bb.5929:                             ;   in Loop: Header=BB6_4903 Depth=2
	v_mov_b32_e32 v25, 0
	s_mov_b32 s24, exec_lo
	v_cmpx_ne_u32_e32 0, v77
	s_cbranch_execz .LBB6_5935
; %bb.5930:                             ;   in Loop: Header=BB6_4903 Depth=2
	v_bfe_u32 v25, v77, 23, 8
	s_delay_alu instid0(VALU_DEP_1) | instskip(SKIP_1) | instid1(VALU_DEP_2)
	v_sub_nc_u32_e32 v79, 0x78, v25
	v_cmp_gt_u32_e32 vcc_lo, 0x79, v25
	v_dual_cndmask_b32 v79, 0, v79 :: v_dual_and_b32 v78, 0x7fffff, v77
	s_delay_alu instid0(VALU_DEP_1) | instskip(SKIP_2) | instid1(VALU_DEP_4)
	v_or_b32_e32 v88, 0x800000, v78
	v_cmp_eq_u32_e32 vcc_lo, 0, v25
	v_add_nc_u32_e32 v25, 0xffffff89, v25
	v_cndmask_b32_e64 v79, v79, 0x77, vcc_lo
	s_delay_alu instid0(VALU_DEP_4) | instskip(NEXT) | instid1(VALU_DEP_3)
	v_cndmask_b32_e32 v78, v88, v78, vcc_lo
	v_cndmask_b32_e64 v25, v25, 0xffffff8a, vcc_lo
	s_delay_alu instid0(VALU_DEP_3) | instskip(NEXT) | instid1(VALU_DEP_3)
	v_lshl_add_u32 v88, 0x100000, v79, -1
	v_lshrrev_b32_e32 v89, v79, v78
	v_lshlrev_b32_e64 v91, v79, 0x80000
	s_delay_alu instid0(VALU_DEP_4) | instskip(NEXT) | instid1(VALU_DEP_4)
	v_add_nc_u32_e32 v79, v79, v25
	v_and_b32_e32 v78, v88, v78
	s_delay_alu instid0(VALU_DEP_4) | instskip(NEXT) | instid1(VALU_DEP_2)
	v_bfe_u32 v90, v89, 20, 1
	v_cmp_eq_u32_e64 s7, v78, v91
	s_delay_alu instid0(VALU_DEP_2) | instskip(NEXT) | instid1(VALU_DEP_1)
	v_add_nc_u32_e32 v88, -1, v90
	v_cndmask_b32_e64 v78, 0, v88, s7
	v_lshrrev_b32_e32 v88, 23, v89
	s_mov_b32 s7, exec_lo
	s_delay_alu instid0(VALU_DEP_2) | instskip(NEXT) | instid1(VALU_DEP_2)
	v_add_nc_u32_e32 v78, v78, v89
	v_xor_b32_e32 v88, 1, v88
	s_delay_alu instid0(VALU_DEP_2) | instskip(NEXT) | instid1(VALU_DEP_1)
	v_and_b32_e32 v25, 0xfffff, v78
	v_add_nc_u32_e32 v78, v25, v89
                                        ; implicit-def: $vgpr25
	s_delay_alu instid0(VALU_DEP_3)
	v_cmpx_ne_u32_e64 v79, v88
	s_xor_b32 s7, exec_lo, s7
; %bb.5931:                             ;   in Loop: Header=BB6_4903 Depth=2
	s_delay_alu instid0(VALU_DEP_2) | instskip(SKIP_2) | instid1(VALU_DEP_2)
	v_cmp_lt_u32_e32 vcc_lo, 0xffffff, v78
	v_sub_nc_u32_e32 v25, v79, v88
	v_cndmask_b32_e64 v79, 0, 1, vcc_lo
	v_add_co_ci_u32_e32 v25, vcc_lo, 0, v25, vcc_lo
	s_delay_alu instid0(VALU_DEP_2)
	v_lshrrev_b32_e32 v78, v79, v78
; %bb.5932:                             ;   in Loop: Header=BB6_4903 Depth=2
	s_and_not1_saveexec_b32 s7, s7
; %bb.5933:                             ;   in Loop: Header=BB6_4903 Depth=2
	s_delay_alu instid0(VALU_DEP_1)
	v_bfe_u32 v25, v78, 23, 1
; %bb.5934:                             ;   in Loop: Header=BB6_4903 Depth=2
	s_or_b32 exec_lo, exec_lo, s7
	v_lshrrev_b32_e32 v78, 20, v78
	s_delay_alu instid0(VALU_DEP_2) | instskip(SKIP_2) | instid1(VALU_DEP_2)
	v_cmp_gt_i32_e32 vcc_lo, 16, v25
	v_min_i32_e32 v79, 15, v25
	v_lshrrev_b32_e32 v77, 24, v77
	v_dual_cndmask_b32 v78, 7, v78 :: v_dual_lshlrev_b32 v79, 3, v79
	s_delay_alu instid0(VALU_DEP_2) | instskip(NEXT) | instid1(VALU_DEP_2)
	v_and_b32_e32 v77, 0x80, v77
	v_or_b32_e32 v25, v25, v78
	s_delay_alu instid0(VALU_DEP_3) | instskip(NEXT) | instid1(VALU_DEP_2)
	v_and_b32_e32 v79, 0xf8, v79
	v_cmp_ne_u32_e32 vcc_lo, 0, v25
	v_and_b32_e32 v88, 7, v78
	s_delay_alu instid0(VALU_DEP_1) | instskip(NEXT) | instid1(VALU_DEP_1)
	v_or3_b32 v77, v77, v79, v88
	v_lshlrev_b32_e32 v77, 8, v77
	s_delay_alu instid0(VALU_DEP_1)
	v_cndmask_b32_e32 v25, 0, v77, vcc_lo
.LBB6_5935:                             ;   in Loop: Header=BB6_4903 Depth=2
	s_or_b32 exec_lo, exec_lo, s24
.LBB6_5936:                             ;   in Loop: Header=BB6_4903 Depth=2
	s_delay_alu instid0(SALU_CYCLE_1) | instskip(SKIP_3) | instid1(VALU_DEP_1)
	s_or_b32 exec_lo, exec_lo, s23
	v_and_b32_e32 v78, 0xff, v76
	s_mov_b32 s7, 0
	s_mov_b32 s24, exec_lo
                                        ; implicit-def: $sgpr23
	v_cmpx_lt_i16_e32 0x7f, v78
	s_xor_b32 s24, exec_lo, s24
	s_cbranch_execnz .LBB6_7086
; %bb.5937:                             ;   in Loop: Header=BB6_4903 Depth=2
	s_or_saveexec_b32 s24, s24
	v_mov_b32_e32 v77, s23
	s_xor_b32 exec_lo, exec_lo, s24
	s_cbranch_execnz .LBB6_7089
.LBB6_5938:                             ;   in Loop: Header=BB6_4903 Depth=2
	s_or_b32 exec_lo, exec_lo, s24
	s_and_saveexec_b32 s23, s7
	s_cbranch_execz .LBB6_5940
.LBB6_5939:                             ;   in Loop: Header=BB6_4903 Depth=2
	v_bfe_u32 v88, v76, 3, 4
	s_delay_alu instid0(VALU_DEP_1) | instskip(SKIP_1) | instid1(VALU_DEP_1)
	v_cmp_eq_u32_e32 vcc_lo, 0, v88
	v_and_b32_e32 v77, 7, v76
	v_clz_i32_u32_e32 v78, v77
	s_delay_alu instid0(VALU_DEP_1) | instskip(NEXT) | instid1(VALU_DEP_1)
	v_min_u32_e32 v78, 32, v78
	v_subrev_nc_u32_e32 v79, 28, v78
	v_sub_nc_u32_e32 v78, 29, v78
	s_delay_alu instid0(VALU_DEP_1) | instskip(NEXT) | instid1(VALU_DEP_1)
	v_dual_cndmask_b32 v78, v88, v78 :: v_dual_lshlrev_b32 v79, v79, v76
	v_and_b32_e32 v79, 7, v79
	v_lshlrev_b32_e32 v76, 24, v76
	s_delay_alu instid0(VALU_DEP_3) | instskip(NEXT) | instid1(VALU_DEP_2)
	v_lshl_add_u32 v78, v78, 23, 0x3b800000
	v_dual_cndmask_b32 v77, v77, v79 :: v_dual_and_b32 v76, 0x80000000, v76
	s_delay_alu instid0(VALU_DEP_1) | instskip(NEXT) | instid1(VALU_DEP_1)
	v_lshlrev_b32_e32 v77, 20, v77
	v_or3_b32 v77, v76, v78, v77
.LBB6_5940:                             ;   in Loop: Header=BB6_4903 Depth=2
	s_or_b32 exec_lo, exec_lo, s23
	s_waitcnt vmcnt(2)
	v_and_b32_e32 v78, 0xff, v18
	s_mov_b32 s7, 0
	s_mov_b32 s24, exec_lo
                                        ; implicit-def: $sgpr23
	s_delay_alu instid0(VALU_DEP_1)
	v_cmpx_lt_i16_e32 0x7f, v78
	s_xor_b32 s24, exec_lo, s24
	s_cbranch_execnz .LBB6_7090
; %bb.5941:                             ;   in Loop: Header=BB6_4903 Depth=2
	s_or_saveexec_b32 s24, s24
	v_mov_b32_e32 v76, s23
	s_xor_b32 exec_lo, exec_lo, s24
	s_cbranch_execnz .LBB6_7093
.LBB6_5942:                             ;   in Loop: Header=BB6_4903 Depth=2
	s_or_b32 exec_lo, exec_lo, s24
	s_and_saveexec_b32 s23, s7
	s_cbranch_execz .LBB6_5944
.LBB6_5943:                             ;   in Loop: Header=BB6_4903 Depth=2
	v_and_b32_e32 v76, 7, v18
	v_bfe_u32 v88, v18, 3, 4
	s_delay_alu instid0(VALU_DEP_2) | instskip(NEXT) | instid1(VALU_DEP_2)
	v_clz_i32_u32_e32 v78, v76
	v_cmp_eq_u32_e32 vcc_lo, 0, v88
	s_delay_alu instid0(VALU_DEP_2) | instskip(NEXT) | instid1(VALU_DEP_1)
	v_min_u32_e32 v78, 32, v78
	v_subrev_nc_u32_e32 v79, 28, v78
	v_sub_nc_u32_e32 v78, 29, v78
	s_delay_alu instid0(VALU_DEP_2) | instskip(NEXT) | instid1(VALU_DEP_1)
	v_lshlrev_b32_e32 v79, v79, v18
	v_dual_cndmask_b32 v78, v88, v78 :: v_dual_and_b32 v79, 7, v79
	v_lshlrev_b32_e32 v89, 24, v18
	s_delay_alu instid0(VALU_DEP_2) | instskip(NEXT) | instid1(VALU_DEP_2)
	v_lshl_add_u32 v78, v78, 23, 0x3b800000
	v_dual_cndmask_b32 v76, v76, v79 :: v_dual_and_b32 v79, 0x80000000, v89
	s_delay_alu instid0(VALU_DEP_1) | instskip(NEXT) | instid1(VALU_DEP_1)
	v_lshlrev_b32_e32 v76, 20, v76
	v_or3_b32 v76, v79, v78, v76
.LBB6_5944:                             ;   in Loop: Header=BB6_4903 Depth=2
	s_or_b32 exec_lo, exec_lo, s23
	s_delay_alu instid0(VALU_DEP_1) | instskip(NEXT) | instid1(VALU_DEP_1)
	v_add_f32_e32 v77, v77, v76
	v_and_b32_e32 v76, 0x7f800000, v77
	s_delay_alu instid0(VALU_DEP_1)
	v_cmp_ne_u32_e32 vcc_lo, 0x7f800000, v76
	v_mov_b32_e32 v76, 0x80
	s_and_saveexec_b32 s23, vcc_lo
	s_cbranch_execz .LBB6_5952
; %bb.5945:                             ;   in Loop: Header=BB6_4903 Depth=2
	v_mov_b32_e32 v76, 0
	s_mov_b32 s24, exec_lo
	v_cmpx_ne_u32_e32 0, v77
	s_cbranch_execz .LBB6_5951
; %bb.5946:                             ;   in Loop: Header=BB6_4903 Depth=2
	v_bfe_u32 v76, v77, 23, 8
	s_delay_alu instid0(VALU_DEP_1) | instskip(SKIP_1) | instid1(VALU_DEP_2)
	v_sub_nc_u32_e32 v79, 0x78, v76
	v_cmp_gt_u32_e32 vcc_lo, 0x79, v76
	v_dual_cndmask_b32 v79, 0, v79 :: v_dual_and_b32 v78, 0x7fffff, v77
	s_delay_alu instid0(VALU_DEP_1) | instskip(SKIP_2) | instid1(VALU_DEP_4)
	v_or_b32_e32 v88, 0x800000, v78
	v_cmp_eq_u32_e32 vcc_lo, 0, v76
	v_add_nc_u32_e32 v76, 0xffffff89, v76
	v_cndmask_b32_e64 v79, v79, 0x77, vcc_lo
	s_delay_alu instid0(VALU_DEP_2) | instskip(SKIP_1) | instid1(VALU_DEP_3)
	v_cndmask_b32_e64 v76, v76, 0xffffff8a, vcc_lo
	v_cndmask_b32_e32 v78, v88, v78, vcc_lo
	v_lshl_add_u32 v88, 0x100000, v79, -1
	v_lshlrev_b32_e64 v91, v79, 0x80000
	s_delay_alu instid0(VALU_DEP_3) | instskip(SKIP_1) | instid1(VALU_DEP_4)
	v_lshrrev_b32_e32 v89, v79, v78
	v_add_nc_u32_e32 v79, v79, v76
	v_and_b32_e32 v78, v88, v78
	s_delay_alu instid0(VALU_DEP_3) | instskip(NEXT) | instid1(VALU_DEP_2)
	v_bfe_u32 v90, v89, 20, 1
	v_cmp_eq_u32_e64 s7, v78, v91
	s_delay_alu instid0(VALU_DEP_2) | instskip(NEXT) | instid1(VALU_DEP_1)
	v_add_nc_u32_e32 v88, -1, v90
	v_cndmask_b32_e64 v78, 0, v88, s7
	v_lshrrev_b32_e32 v88, 23, v89
	s_mov_b32 s7, exec_lo
	s_delay_alu instid0(VALU_DEP_2) | instskip(NEXT) | instid1(VALU_DEP_2)
	v_add_nc_u32_e32 v78, v78, v89
	v_xor_b32_e32 v88, 1, v88
	s_delay_alu instid0(VALU_DEP_2) | instskip(NEXT) | instid1(VALU_DEP_1)
	v_and_b32_e32 v76, 0xfffff, v78
	v_add_nc_u32_e32 v78, v76, v89
                                        ; implicit-def: $vgpr76
	s_delay_alu instid0(VALU_DEP_3)
	v_cmpx_ne_u32_e64 v79, v88
	s_xor_b32 s7, exec_lo, s7
; %bb.5947:                             ;   in Loop: Header=BB6_4903 Depth=2
	s_delay_alu instid0(VALU_DEP_2) | instskip(SKIP_2) | instid1(VALU_DEP_2)
	v_cmp_lt_u32_e32 vcc_lo, 0xffffff, v78
	v_sub_nc_u32_e32 v76, v79, v88
	v_cndmask_b32_e64 v79, 0, 1, vcc_lo
	v_add_co_ci_u32_e32 v76, vcc_lo, 0, v76, vcc_lo
	s_delay_alu instid0(VALU_DEP_2)
	v_lshrrev_b32_e32 v78, v79, v78
; %bb.5948:                             ;   in Loop: Header=BB6_4903 Depth=2
	s_and_not1_saveexec_b32 s7, s7
; %bb.5949:                             ;   in Loop: Header=BB6_4903 Depth=2
	s_delay_alu instid0(VALU_DEP_1)
	v_bfe_u32 v76, v78, 23, 1
; %bb.5950:                             ;   in Loop: Header=BB6_4903 Depth=2
	s_or_b32 exec_lo, exec_lo, s7
	v_lshrrev_b32_e32 v78, 20, v78
	s_delay_alu instid0(VALU_DEP_2) | instskip(SKIP_2) | instid1(VALU_DEP_2)
	v_cmp_gt_i32_e32 vcc_lo, 16, v76
	v_lshrrev_b32_e32 v77, 24, v77
	v_min_i32_e32 v79, 15, v76
	v_dual_cndmask_b32 v78, 7, v78 :: v_dual_and_b32 v77, 0x80, v77
	s_delay_alu instid0(VALU_DEP_1) | instskip(SKIP_1) | instid1(VALU_DEP_2)
	v_or_b32_e32 v76, v76, v78
	v_and_b32_e32 v88, 7, v78
	v_cmp_ne_u32_e32 vcc_lo, 0, v76
	v_lshlrev_b32_e32 v79, 3, v79
	s_delay_alu instid0(VALU_DEP_1) | instskip(NEXT) | instid1(VALU_DEP_1)
	v_or3_b32 v77, v79, v77, v88
	v_cndmask_b32_e32 v76, 0, v77, vcc_lo
.LBB6_5951:                             ;   in Loop: Header=BB6_4903 Depth=2
	s_or_b32 exec_lo, exec_lo, s24
.LBB6_5952:                             ;   in Loop: Header=BB6_4903 Depth=2
	s_delay_alu instid0(SALU_CYCLE_1) | instskip(SKIP_3) | instid1(VALU_DEP_1)
	s_or_b32 exec_lo, exec_lo, s23
	v_and_b32_e32 v78, 0xff, v73
	s_mov_b32 s7, 0
	s_mov_b32 s24, exec_lo
                                        ; implicit-def: $sgpr23
	v_cmpx_lt_i16_e32 0x7f, v78
	s_xor_b32 s24, exec_lo, s24
	s_cbranch_execnz .LBB6_7094
; %bb.5953:                             ;   in Loop: Header=BB6_4903 Depth=2
	s_or_saveexec_b32 s24, s24
	v_mov_b32_e32 v77, s23
	s_xor_b32 exec_lo, exec_lo, s24
	s_cbranch_execnz .LBB6_7097
.LBB6_5954:                             ;   in Loop: Header=BB6_4903 Depth=2
	s_or_b32 exec_lo, exec_lo, s24
	s_and_saveexec_b32 s23, s7
	s_cbranch_execz .LBB6_5956
.LBB6_5955:                             ;   in Loop: Header=BB6_4903 Depth=2
	v_bfe_u32 v88, v73, 3, 4
	s_delay_alu instid0(VALU_DEP_1) | instskip(SKIP_1) | instid1(VALU_DEP_1)
	v_cmp_eq_u32_e32 vcc_lo, 0, v88
	v_and_b32_e32 v77, 7, v73
	v_clz_i32_u32_e32 v78, v77
	s_delay_alu instid0(VALU_DEP_1) | instskip(NEXT) | instid1(VALU_DEP_1)
	v_min_u32_e32 v78, 32, v78
	v_subrev_nc_u32_e32 v79, 28, v78
	v_sub_nc_u32_e32 v78, 29, v78
	s_delay_alu instid0(VALU_DEP_1) | instskip(SKIP_1) | instid1(VALU_DEP_2)
	v_dual_cndmask_b32 v78, v88, v78 :: v_dual_lshlrev_b32 v79, v79, v73
	v_lshlrev_b32_e32 v73, 24, v73
	v_and_b32_e32 v79, 7, v79
	s_delay_alu instid0(VALU_DEP_3) | instskip(NEXT) | instid1(VALU_DEP_3)
	v_lshl_add_u32 v78, v78, 23, 0x3b800000
	v_and_b32_e32 v73, 0x80000000, v73
	s_delay_alu instid0(VALU_DEP_3) | instskip(NEXT) | instid1(VALU_DEP_1)
	v_cndmask_b32_e32 v77, v77, v79, vcc_lo
	v_lshlrev_b32_e32 v77, 20, v77
	s_delay_alu instid0(VALU_DEP_1)
	v_or3_b32 v77, v73, v78, v77
.LBB6_5956:                             ;   in Loop: Header=BB6_4903 Depth=2
	s_or_b32 exec_lo, exec_lo, s23
	v_lshrrev_b16 v73, 8, v18
	s_mov_b32 s7, 0
	s_mov_b32 s24, exec_lo
                                        ; implicit-def: $sgpr23
	s_delay_alu instid0(VALU_DEP_1)
	v_cmpx_lt_i16_e32 0x7f, v73
	s_xor_b32 s24, exec_lo, s24
	s_cbranch_execnz .LBB6_7098
; %bb.5957:                             ;   in Loop: Header=BB6_4903 Depth=2
	s_or_saveexec_b32 s24, s24
	v_mov_b32_e32 v78, s23
	s_xor_b32 exec_lo, exec_lo, s24
	s_cbranch_execnz .LBB6_7101
.LBB6_5958:                             ;   in Loop: Header=BB6_4903 Depth=2
	s_or_b32 exec_lo, exec_lo, s24
	s_and_saveexec_b32 s23, s7
	s_cbranch_execz .LBB6_5960
.LBB6_5959:                             ;   in Loop: Header=BB6_4903 Depth=2
	v_and_b32_e32 v78, 0xffff, v73
	v_lshlrev_b32_e32 v73, 24, v73
	s_delay_alu instid0(VALU_DEP_2) | instskip(NEXT) | instid1(VALU_DEP_2)
	v_and_b32_e32 v79, 7, v78
	v_and_b32_e32 v73, 0x80000000, v73
	s_delay_alu instid0(VALU_DEP_2) | instskip(NEXT) | instid1(VALU_DEP_1)
	v_clz_i32_u32_e32 v88, v79
	v_min_u32_e32 v88, 32, v88
	s_delay_alu instid0(VALU_DEP_1) | instskip(SKIP_1) | instid1(VALU_DEP_2)
	v_subrev_nc_u32_e32 v89, 28, v88
	v_sub_nc_u32_e32 v88, 29, v88
	v_lshlrev_b32_e32 v89, v89, v78
	v_bfe_u32 v78, v78, 3, 4
	s_delay_alu instid0(VALU_DEP_2) | instskip(NEXT) | instid1(VALU_DEP_2)
	v_and_b32_e32 v89, 7, v89
	v_cmp_eq_u32_e32 vcc_lo, 0, v78
	s_delay_alu instid0(VALU_DEP_2) | instskip(NEXT) | instid1(VALU_DEP_1)
	v_dual_cndmask_b32 v78, v78, v88 :: v_dual_cndmask_b32 v79, v79, v89
	v_lshl_add_u32 v78, v78, 23, 0x3b800000
	s_delay_alu instid0(VALU_DEP_2) | instskip(NEXT) | instid1(VALU_DEP_1)
	v_lshlrev_b32_e32 v79, 20, v79
	v_or3_b32 v78, v73, v78, v79
.LBB6_5960:                             ;   in Loop: Header=BB6_4903 Depth=2
	s_or_b32 exec_lo, exec_lo, s23
	s_delay_alu instid0(VALU_DEP_1) | instskip(NEXT) | instid1(VALU_DEP_1)
	v_add_f32_e32 v77, v77, v78
	v_and_b32_e32 v73, 0x7f800000, v77
	s_delay_alu instid0(VALU_DEP_1)
	v_cmp_ne_u32_e32 vcc_lo, 0x7f800000, v73
	v_mov_b32_e32 v73, 0x80
	s_and_saveexec_b32 s23, vcc_lo
	s_cbranch_execz .LBB6_5968
; %bb.5961:                             ;   in Loop: Header=BB6_4903 Depth=2
	v_mov_b32_e32 v73, 0
	s_mov_b32 s24, exec_lo
	v_cmpx_ne_u32_e32 0, v77
	s_cbranch_execz .LBB6_5967
; %bb.5962:                             ;   in Loop: Header=BB6_4903 Depth=2
	v_bfe_u32 v73, v77, 23, 8
	s_delay_alu instid0(VALU_DEP_1) | instskip(SKIP_1) | instid1(VALU_DEP_2)
	v_sub_nc_u32_e32 v79, 0x78, v73
	v_cmp_gt_u32_e32 vcc_lo, 0x79, v73
	v_dual_cndmask_b32 v79, 0, v79 :: v_dual_and_b32 v78, 0x7fffff, v77
	s_delay_alu instid0(VALU_DEP_1) | instskip(SKIP_2) | instid1(VALU_DEP_4)
	v_or_b32_e32 v88, 0x800000, v78
	v_cmp_eq_u32_e32 vcc_lo, 0, v73
	v_add_nc_u32_e32 v73, 0xffffff89, v73
	v_cndmask_b32_e64 v79, v79, 0x77, vcc_lo
	s_delay_alu instid0(VALU_DEP_4) | instskip(NEXT) | instid1(VALU_DEP_3)
	v_cndmask_b32_e32 v78, v88, v78, vcc_lo
	v_cndmask_b32_e64 v73, v73, 0xffffff8a, vcc_lo
	s_delay_alu instid0(VALU_DEP_3) | instskip(NEXT) | instid1(VALU_DEP_3)
	v_lshl_add_u32 v88, 0x100000, v79, -1
	v_lshrrev_b32_e32 v89, v79, v78
	v_lshlrev_b32_e64 v91, v79, 0x80000
	s_delay_alu instid0(VALU_DEP_4) | instskip(NEXT) | instid1(VALU_DEP_4)
	v_add_nc_u32_e32 v79, v79, v73
	v_and_b32_e32 v78, v88, v78
	s_delay_alu instid0(VALU_DEP_4) | instskip(NEXT) | instid1(VALU_DEP_2)
	v_bfe_u32 v90, v89, 20, 1
	v_cmp_eq_u32_e64 s7, v78, v91
	s_delay_alu instid0(VALU_DEP_2) | instskip(NEXT) | instid1(VALU_DEP_1)
	v_add_nc_u32_e32 v88, -1, v90
	v_cndmask_b32_e64 v78, 0, v88, s7
	v_lshrrev_b32_e32 v88, 23, v89
	s_mov_b32 s7, exec_lo
	s_delay_alu instid0(VALU_DEP_2) | instskip(NEXT) | instid1(VALU_DEP_2)
	v_add_nc_u32_e32 v78, v78, v89
	v_xor_b32_e32 v88, 1, v88
	s_delay_alu instid0(VALU_DEP_2) | instskip(NEXT) | instid1(VALU_DEP_1)
	v_and_b32_e32 v73, 0xfffff, v78
	v_add_nc_u32_e32 v78, v73, v89
                                        ; implicit-def: $vgpr73
	s_delay_alu instid0(VALU_DEP_3)
	v_cmpx_ne_u32_e64 v79, v88
	s_xor_b32 s7, exec_lo, s7
; %bb.5963:                             ;   in Loop: Header=BB6_4903 Depth=2
	s_delay_alu instid0(VALU_DEP_2) | instskip(SKIP_2) | instid1(VALU_DEP_2)
	v_cmp_lt_u32_e32 vcc_lo, 0xffffff, v78
	v_sub_nc_u32_e32 v73, v79, v88
	v_cndmask_b32_e64 v79, 0, 1, vcc_lo
	v_add_co_ci_u32_e32 v73, vcc_lo, 0, v73, vcc_lo
	s_delay_alu instid0(VALU_DEP_2)
	v_lshrrev_b32_e32 v78, v79, v78
; %bb.5964:                             ;   in Loop: Header=BB6_4903 Depth=2
	s_and_not1_saveexec_b32 s7, s7
; %bb.5965:                             ;   in Loop: Header=BB6_4903 Depth=2
	s_delay_alu instid0(VALU_DEP_1)
	v_bfe_u32 v73, v78, 23, 1
; %bb.5966:                             ;   in Loop: Header=BB6_4903 Depth=2
	s_or_b32 exec_lo, exec_lo, s7
	v_lshrrev_b32_e32 v78, 20, v78
	s_delay_alu instid0(VALU_DEP_2) | instskip(SKIP_2) | instid1(VALU_DEP_2)
	v_cmp_gt_i32_e32 vcc_lo, 16, v73
	v_lshrrev_b32_e32 v77, 24, v77
	v_min_i32_e32 v79, 15, v73
	v_dual_cndmask_b32 v78, 7, v78 :: v_dual_and_b32 v77, 0x80, v77
	s_delay_alu instid0(VALU_DEP_2) | instskip(NEXT) | instid1(VALU_DEP_2)
	v_lshlrev_b32_e32 v79, 3, v79
	v_or_b32_e32 v73, v73, v78
	s_delay_alu instid0(VALU_DEP_1) | instskip(SKIP_1) | instid1(VALU_DEP_1)
	v_cmp_ne_u32_e32 vcc_lo, 0, v73
	v_and_b32_e32 v88, 7, v78
	v_or3_b32 v77, v79, v77, v88
	s_delay_alu instid0(VALU_DEP_1)
	v_cndmask_b32_e32 v73, 0, v77, vcc_lo
.LBB6_5967:                             ;   in Loop: Header=BB6_4903 Depth=2
	s_or_b32 exec_lo, exec_lo, s24
.LBB6_5968:                             ;   in Loop: Header=BB6_4903 Depth=2
	s_delay_alu instid0(SALU_CYCLE_1) | instskip(SKIP_3) | instid1(VALU_DEP_1)
	s_or_b32 exec_lo, exec_lo, s23
	v_and_b32_e32 v78, 0xff, v72
	s_mov_b32 s7, 0
	s_mov_b32 s24, exec_lo
                                        ; implicit-def: $sgpr23
	v_cmpx_lt_i16_e32 0x7f, v78
	s_xor_b32 s24, exec_lo, s24
	s_cbranch_execnz .LBB6_7102
; %bb.5969:                             ;   in Loop: Header=BB6_4903 Depth=2
	s_or_saveexec_b32 s24, s24
	v_mov_b32_e32 v77, s23
	s_xor_b32 exec_lo, exec_lo, s24
	s_cbranch_execnz .LBB6_7105
.LBB6_5970:                             ;   in Loop: Header=BB6_4903 Depth=2
	s_or_b32 exec_lo, exec_lo, s24
	s_and_saveexec_b32 s23, s7
	s_cbranch_execz .LBB6_5972
.LBB6_5971:                             ;   in Loop: Header=BB6_4903 Depth=2
	v_bfe_u32 v88, v72, 3, 4
	s_delay_alu instid0(VALU_DEP_1) | instskip(SKIP_1) | instid1(VALU_DEP_1)
	v_cmp_eq_u32_e32 vcc_lo, 0, v88
	v_and_b32_e32 v77, 7, v72
	v_clz_i32_u32_e32 v78, v77
	s_delay_alu instid0(VALU_DEP_1) | instskip(NEXT) | instid1(VALU_DEP_1)
	v_min_u32_e32 v78, 32, v78
	v_subrev_nc_u32_e32 v79, 28, v78
	v_sub_nc_u32_e32 v78, 29, v78
	s_delay_alu instid0(VALU_DEP_1) | instskip(NEXT) | instid1(VALU_DEP_1)
	v_dual_cndmask_b32 v78, v88, v78 :: v_dual_lshlrev_b32 v79, v79, v72
	v_and_b32_e32 v79, 7, v79
	v_lshlrev_b32_e32 v72, 24, v72
	s_delay_alu instid0(VALU_DEP_3) | instskip(NEXT) | instid1(VALU_DEP_2)
	v_lshl_add_u32 v78, v78, 23, 0x3b800000
	v_dual_cndmask_b32 v77, v77, v79 :: v_dual_and_b32 v72, 0x80000000, v72
	s_delay_alu instid0(VALU_DEP_1) | instskip(NEXT) | instid1(VALU_DEP_1)
	v_lshlrev_b32_e32 v77, 20, v77
	v_or3_b32 v77, v72, v78, v77
.LBB6_5972:                             ;   in Loop: Header=BB6_4903 Depth=2
	s_or_b32 exec_lo, exec_lo, s23
	v_lshrrev_b32_e32 v72, 16, v18
	s_mov_b32 s7, 0
	s_mov_b32 s24, exec_lo
                                        ; implicit-def: $sgpr23
	s_delay_alu instid0(VALU_DEP_1) | instskip(NEXT) | instid1(VALU_DEP_1)
	v_and_b32_e32 v79, 0xff, v72
	v_cmpx_lt_i16_e32 0x7f, v79
	s_xor_b32 s24, exec_lo, s24
	s_cbranch_execnz .LBB6_7106
; %bb.5973:                             ;   in Loop: Header=BB6_4903 Depth=2
	s_or_saveexec_b32 s24, s24
	v_mov_b32_e32 v78, s23
	s_xor_b32 exec_lo, exec_lo, s24
	s_cbranch_execnz .LBB6_7109
.LBB6_5974:                             ;   in Loop: Header=BB6_4903 Depth=2
	s_or_b32 exec_lo, exec_lo, s24
	s_and_saveexec_b32 s23, s7
	s_cbranch_execz .LBB6_5976
.LBB6_5975:                             ;   in Loop: Header=BB6_4903 Depth=2
	v_bfe_u32 v78, v18, 16, 3
	s_delay_alu instid0(VALU_DEP_1) | instskip(NEXT) | instid1(VALU_DEP_1)
	v_clz_i32_u32_e32 v79, v78
	v_min_u32_e32 v79, 32, v79
	s_delay_alu instid0(VALU_DEP_1) | instskip(SKIP_1) | instid1(VALU_DEP_2)
	v_subrev_nc_u32_e32 v88, 28, v79
	v_sub_nc_u32_e32 v79, 29, v79
	v_lshlrev_b32_e32 v72, v88, v72
	v_bfe_u32 v88, v18, 19, 4
	s_delay_alu instid0(VALU_DEP_1) | instskip(NEXT) | instid1(VALU_DEP_3)
	v_cmp_eq_u32_e32 vcc_lo, 0, v88
	v_dual_cndmask_b32 v79, v88, v79 :: v_dual_and_b32 v72, 7, v72
	s_delay_alu instid0(VALU_DEP_1) | instskip(NEXT) | instid1(VALU_DEP_2)
	v_dual_cndmask_b32 v72, v78, v72 :: v_dual_lshlrev_b32 v89, 8, v18
	v_lshl_add_u32 v79, v79, 23, 0x3b800000
	s_delay_alu instid0(VALU_DEP_2) | instskip(NEXT) | instid1(VALU_DEP_3)
	v_and_b32_e32 v78, 0x80000000, v89
	v_lshlrev_b32_e32 v72, 20, v72
	s_delay_alu instid0(VALU_DEP_1)
	v_or3_b32 v78, v78, v79, v72
.LBB6_5976:                             ;   in Loop: Header=BB6_4903 Depth=2
	s_or_b32 exec_lo, exec_lo, s23
	s_delay_alu instid0(VALU_DEP_1) | instskip(NEXT) | instid1(VALU_DEP_1)
	v_add_f32_e32 v77, v77, v78
	v_and_b32_e32 v72, 0x7f800000, v77
	s_delay_alu instid0(VALU_DEP_1)
	v_cmp_ne_u32_e32 vcc_lo, 0x7f800000, v72
	v_mov_b32_e32 v72, 0x80
	s_and_saveexec_b32 s23, vcc_lo
	s_cbranch_execz .LBB6_5984
; %bb.5977:                             ;   in Loop: Header=BB6_4903 Depth=2
	v_mov_b32_e32 v72, 0
	s_mov_b32 s24, exec_lo
	v_cmpx_ne_u32_e32 0, v77
	s_cbranch_execz .LBB6_5983
; %bb.5978:                             ;   in Loop: Header=BB6_4903 Depth=2
	v_bfe_u32 v72, v77, 23, 8
	s_delay_alu instid0(VALU_DEP_1) | instskip(SKIP_1) | instid1(VALU_DEP_2)
	v_sub_nc_u32_e32 v79, 0x78, v72
	v_cmp_gt_u32_e32 vcc_lo, 0x79, v72
	v_dual_cndmask_b32 v79, 0, v79 :: v_dual_and_b32 v78, 0x7fffff, v77
	s_delay_alu instid0(VALU_DEP_1) | instskip(SKIP_2) | instid1(VALU_DEP_4)
	v_or_b32_e32 v88, 0x800000, v78
	v_cmp_eq_u32_e32 vcc_lo, 0, v72
	v_add_nc_u32_e32 v72, 0xffffff89, v72
	v_cndmask_b32_e64 v79, v79, 0x77, vcc_lo
	s_delay_alu instid0(VALU_DEP_2) | instskip(SKIP_1) | instid1(VALU_DEP_3)
	v_cndmask_b32_e64 v72, v72, 0xffffff8a, vcc_lo
	v_cndmask_b32_e32 v78, v88, v78, vcc_lo
	v_lshl_add_u32 v88, 0x100000, v79, -1
	v_lshlrev_b32_e64 v91, v79, 0x80000
	s_delay_alu instid0(VALU_DEP_3) | instskip(SKIP_1) | instid1(VALU_DEP_4)
	v_lshrrev_b32_e32 v89, v79, v78
	v_add_nc_u32_e32 v79, v79, v72
	v_and_b32_e32 v78, v88, v78
	s_delay_alu instid0(VALU_DEP_3) | instskip(NEXT) | instid1(VALU_DEP_2)
	v_bfe_u32 v90, v89, 20, 1
	v_cmp_eq_u32_e64 s7, v78, v91
	s_delay_alu instid0(VALU_DEP_2) | instskip(NEXT) | instid1(VALU_DEP_1)
	v_add_nc_u32_e32 v88, -1, v90
	v_cndmask_b32_e64 v78, 0, v88, s7
	v_lshrrev_b32_e32 v88, 23, v89
	s_mov_b32 s7, exec_lo
	s_delay_alu instid0(VALU_DEP_2) | instskip(NEXT) | instid1(VALU_DEP_2)
	v_add_nc_u32_e32 v78, v78, v89
	v_xor_b32_e32 v88, 1, v88
	s_delay_alu instid0(VALU_DEP_2) | instskip(NEXT) | instid1(VALU_DEP_1)
	v_and_b32_e32 v72, 0xfffff, v78
	v_add_nc_u32_e32 v78, v72, v89
                                        ; implicit-def: $vgpr72
	s_delay_alu instid0(VALU_DEP_3)
	v_cmpx_ne_u32_e64 v79, v88
	s_xor_b32 s7, exec_lo, s7
; %bb.5979:                             ;   in Loop: Header=BB6_4903 Depth=2
	s_delay_alu instid0(VALU_DEP_2) | instskip(SKIP_2) | instid1(VALU_DEP_2)
	v_cmp_lt_u32_e32 vcc_lo, 0xffffff, v78
	v_sub_nc_u32_e32 v72, v79, v88
	v_cndmask_b32_e64 v79, 0, 1, vcc_lo
	v_add_co_ci_u32_e32 v72, vcc_lo, 0, v72, vcc_lo
	s_delay_alu instid0(VALU_DEP_2)
	v_lshrrev_b32_e32 v78, v79, v78
; %bb.5980:                             ;   in Loop: Header=BB6_4903 Depth=2
	s_and_not1_saveexec_b32 s7, s7
; %bb.5981:                             ;   in Loop: Header=BB6_4903 Depth=2
	s_delay_alu instid0(VALU_DEP_1)
	v_bfe_u32 v72, v78, 23, 1
; %bb.5982:                             ;   in Loop: Header=BB6_4903 Depth=2
	s_or_b32 exec_lo, exec_lo, s7
	v_lshrrev_b32_e32 v78, 20, v78
	s_delay_alu instid0(VALU_DEP_2) | instskip(SKIP_2) | instid1(VALU_DEP_2)
	v_cmp_gt_i32_e32 vcc_lo, 16, v72
	v_lshrrev_b32_e32 v77, 24, v77
	v_min_i32_e32 v79, 15, v72
	v_dual_cndmask_b32 v78, 7, v78 :: v_dual_and_b32 v77, 0x80, v77
	s_delay_alu instid0(VALU_DEP_1) | instskip(SKIP_1) | instid1(VALU_DEP_2)
	v_or_b32_e32 v72, v72, v78
	v_and_b32_e32 v88, 7, v78
	v_cmp_ne_u32_e32 vcc_lo, 0, v72
	v_lshlrev_b32_e32 v79, 3, v79
	s_delay_alu instid0(VALU_DEP_1) | instskip(NEXT) | instid1(VALU_DEP_1)
	v_or3_b32 v77, v79, v77, v88
	v_cndmask_b32_e32 v72, 0, v77, vcc_lo
.LBB6_5983:                             ;   in Loop: Header=BB6_4903 Depth=2
	s_or_b32 exec_lo, exec_lo, s24
.LBB6_5984:                             ;   in Loop: Header=BB6_4903 Depth=2
	s_delay_alu instid0(SALU_CYCLE_1) | instskip(SKIP_3) | instid1(VALU_DEP_1)
	s_or_b32 exec_lo, exec_lo, s23
	v_and_b32_e32 v78, 0xff, v62
	s_mov_b32 s7, 0
	s_mov_b32 s24, exec_lo
                                        ; implicit-def: $sgpr23
	v_cmpx_lt_i16_e32 0x7f, v78
	s_xor_b32 s24, exec_lo, s24
	s_cbranch_execnz .LBB6_7110
; %bb.5985:                             ;   in Loop: Header=BB6_4903 Depth=2
	s_or_saveexec_b32 s24, s24
	v_mov_b32_e32 v77, s23
	s_xor_b32 exec_lo, exec_lo, s24
	s_cbranch_execnz .LBB6_7113
.LBB6_5986:                             ;   in Loop: Header=BB6_4903 Depth=2
	s_or_b32 exec_lo, exec_lo, s24
	s_and_saveexec_b32 s23, s7
	s_cbranch_execz .LBB6_5988
.LBB6_5987:                             ;   in Loop: Header=BB6_4903 Depth=2
	v_lshlrev_b32_e32 v62, 8, v62
	s_delay_alu instid0(VALU_DEP_1) | instskip(SKIP_1) | instid1(VALU_DEP_2)
	v_and_b32_e32 v77, 0xff00, v62
	v_bfe_u32 v62, v62, 11, 4
	v_bfe_u32 v79, v77, 8, 3
	s_delay_alu instid0(VALU_DEP_2) | instskip(NEXT) | instid1(VALU_DEP_2)
	v_cmp_eq_u32_e32 vcc_lo, 0, v62
	v_clz_i32_u32_e32 v88, v79
	s_delay_alu instid0(VALU_DEP_1) | instskip(NEXT) | instid1(VALU_DEP_1)
	v_min_u32_e32 v88, 32, v88
	v_subrev_nc_u32_e32 v89, 28, v88
	v_sub_nc_u32_e32 v88, 29, v88
	s_delay_alu instid0(VALU_DEP_2) | instskip(NEXT) | instid1(VALU_DEP_2)
	v_lshlrev_b32_e32 v78, v89, v78
	v_cndmask_b32_e32 v62, v62, v88, vcc_lo
	s_delay_alu instid0(VALU_DEP_2) | instskip(SKIP_1) | instid1(VALU_DEP_3)
	v_and_b32_e32 v78, 7, v78
	v_lshlrev_b32_e32 v77, 16, v77
	v_lshl_add_u32 v62, v62, 23, 0x3b800000
	s_delay_alu instid0(VALU_DEP_2) | instskip(NEXT) | instid1(VALU_DEP_1)
	v_dual_cndmask_b32 v78, v79, v78 :: v_dual_and_b32 v77, 0x80000000, v77
	v_lshlrev_b32_e32 v78, 20, v78
	s_delay_alu instid0(VALU_DEP_1)
	v_or3_b32 v77, v77, v62, v78
.LBB6_5988:                             ;   in Loop: Header=BB6_4903 Depth=2
	s_or_b32 exec_lo, exec_lo, s23
	v_lshrrev_b32_e32 v62, 24, v18
	s_mov_b32 s7, 0
	s_mov_b32 s24, exec_lo
                                        ; implicit-def: $sgpr23
	s_delay_alu instid0(VALU_DEP_1)
	v_cmpx_lt_i16_e32 0x7f, v62
	s_xor_b32 s24, exec_lo, s24
	s_cbranch_execnz .LBB6_7114
; %bb.5989:                             ;   in Loop: Header=BB6_4903 Depth=2
	s_or_saveexec_b32 s24, s24
	v_mov_b32_e32 v78, s23
	s_xor_b32 exec_lo, exec_lo, s24
	s_cbranch_execnz .LBB6_7117
.LBB6_5990:                             ;   in Loop: Header=BB6_4903 Depth=2
	s_or_b32 exec_lo, exec_lo, s24
	s_and_saveexec_b32 s23, s7
	s_cbranch_execz .LBB6_5992
.LBB6_5991:                             ;   in Loop: Header=BB6_4903 Depth=2
	v_bfe_u32 v78, v18, 24, 3
	s_delay_alu instid0(VALU_DEP_1) | instskip(NEXT) | instid1(VALU_DEP_1)
	v_clz_i32_u32_e32 v79, v78
	v_min_u32_e32 v79, 32, v79
	s_delay_alu instid0(VALU_DEP_1) | instskip(SKIP_1) | instid1(VALU_DEP_2)
	v_subrev_nc_u32_e32 v88, 28, v79
	v_sub_nc_u32_e32 v79, 29, v79
	v_lshlrev_b32_e32 v62, v88, v62
	v_bfe_u32 v88, v18, 27, 4
	v_and_b32_e32 v18, 0x80000000, v18
	s_delay_alu instid0(VALU_DEP_2) | instskip(NEXT) | instid1(VALU_DEP_4)
	v_cmp_eq_u32_e32 vcc_lo, 0, v88
	v_dual_cndmask_b32 v79, v88, v79 :: v_dual_and_b32 v62, 7, v62
	s_delay_alu instid0(VALU_DEP_1) | instskip(NEXT) | instid1(VALU_DEP_2)
	v_cndmask_b32_e32 v62, v78, v62, vcc_lo
	v_lshl_add_u32 v78, v79, 23, 0x3b800000
	s_delay_alu instid0(VALU_DEP_2) | instskip(NEXT) | instid1(VALU_DEP_1)
	v_lshlrev_b32_e32 v62, 20, v62
	v_or3_b32 v78, v18, v78, v62
.LBB6_5992:                             ;   in Loop: Header=BB6_4903 Depth=2
	s_or_b32 exec_lo, exec_lo, s23
	s_delay_alu instid0(VALU_DEP_1) | instskip(NEXT) | instid1(VALU_DEP_1)
	v_add_f32_e32 v62, v77, v78
	v_and_b32_e32 v18, 0x7f800000, v62
	s_delay_alu instid0(VALU_DEP_1)
	v_cmp_ne_u32_e32 vcc_lo, 0x7f800000, v18
	v_mov_b32_e32 v18, 0x80
	s_and_saveexec_b32 s23, vcc_lo
	s_cbranch_execz .LBB6_6000
; %bb.5993:                             ;   in Loop: Header=BB6_4903 Depth=2
	v_mov_b32_e32 v18, 0
	s_mov_b32 s24, exec_lo
	v_cmpx_ne_u32_e32 0, v62
	s_cbranch_execz .LBB6_5999
; %bb.5994:                             ;   in Loop: Header=BB6_4903 Depth=2
	v_bfe_u32 v18, v62, 23, 8
	v_and_b32_e32 v77, 0x7fffff, v62
	s_delay_alu instid0(VALU_DEP_2) | instskip(SKIP_1) | instid1(VALU_DEP_3)
	v_sub_nc_u32_e32 v78, 0x78, v18
	v_cmp_gt_u32_e32 vcc_lo, 0x79, v18
	v_or_b32_e32 v79, 0x800000, v77
	s_delay_alu instid0(VALU_DEP_3) | instskip(SKIP_1) | instid1(VALU_DEP_3)
	v_cndmask_b32_e32 v78, 0, v78, vcc_lo
	v_cmp_eq_u32_e32 vcc_lo, 0, v18
	v_dual_cndmask_b32 v77, v79, v77 :: v_dual_add_nc_u32 v18, 0xffffff89, v18
	s_delay_alu instid0(VALU_DEP_3) | instskip(NEXT) | instid1(VALU_DEP_2)
	v_cndmask_b32_e64 v78, v78, 0x77, vcc_lo
	v_cndmask_b32_e64 v18, v18, 0xffffff8a, vcc_lo
	s_delay_alu instid0(VALU_DEP_2) | instskip(SKIP_2) | instid1(VALU_DEP_4)
	v_lshrrev_b32_e32 v88, v78, v77
	v_lshl_add_u32 v79, 0x100000, v78, -1
	v_lshlrev_b32_e64 v90, v78, 0x80000
	v_add_nc_u32_e32 v78, v78, v18
	s_delay_alu instid0(VALU_DEP_4) | instskip(NEXT) | instid1(VALU_DEP_4)
	v_bfe_u32 v89, v88, 20, 1
	v_and_b32_e32 v77, v79, v77
	s_delay_alu instid0(VALU_DEP_2) | instskip(NEXT) | instid1(VALU_DEP_2)
	v_add_nc_u32_e32 v79, -1, v89
	v_cmp_eq_u32_e64 s7, v77, v90
	s_delay_alu instid0(VALU_DEP_1) | instskip(SKIP_2) | instid1(VALU_DEP_2)
	v_cndmask_b32_e64 v77, 0, v79, s7
	v_lshrrev_b32_e32 v79, 23, v88
	s_mov_b32 s7, exec_lo
	v_add_nc_u32_e32 v77, v77, v88
	s_delay_alu instid0(VALU_DEP_2) | instskip(NEXT) | instid1(VALU_DEP_2)
	v_xor_b32_e32 v79, 1, v79
	v_and_b32_e32 v18, 0xfffff, v77
	s_delay_alu instid0(VALU_DEP_1) | instskip(NEXT) | instid1(VALU_DEP_3)
	v_add_nc_u32_e32 v77, v18, v88
                                        ; implicit-def: $vgpr18
	v_cmpx_ne_u32_e64 v78, v79
	s_xor_b32 s7, exec_lo, s7
; %bb.5995:                             ;   in Loop: Header=BB6_4903 Depth=2
	s_delay_alu instid0(VALU_DEP_2) | instskip(SKIP_2) | instid1(VALU_DEP_2)
	v_cmp_lt_u32_e32 vcc_lo, 0xffffff, v77
	v_sub_nc_u32_e32 v18, v78, v79
	v_cndmask_b32_e64 v78, 0, 1, vcc_lo
	v_add_co_ci_u32_e32 v18, vcc_lo, 0, v18, vcc_lo
	s_delay_alu instid0(VALU_DEP_2)
	v_lshrrev_b32_e32 v77, v78, v77
; %bb.5996:                             ;   in Loop: Header=BB6_4903 Depth=2
	s_and_not1_saveexec_b32 s7, s7
; %bb.5997:                             ;   in Loop: Header=BB6_4903 Depth=2
	s_delay_alu instid0(VALU_DEP_1)
	v_bfe_u32 v18, v77, 23, 1
; %bb.5998:                             ;   in Loop: Header=BB6_4903 Depth=2
	s_or_b32 exec_lo, exec_lo, s7
	v_lshrrev_b32_e32 v77, 20, v77
	s_delay_alu instid0(VALU_DEP_2) | instskip(SKIP_2) | instid1(VALU_DEP_2)
	v_cmp_gt_i32_e32 vcc_lo, 16, v18
	v_lshrrev_b32_e32 v62, 24, v62
	v_min_i32_e32 v78, 15, v18
	v_dual_cndmask_b32 v77, 7, v77 :: v_dual_and_b32 v62, 0x80, v62
	s_delay_alu instid0(VALU_DEP_2) | instskip(NEXT) | instid1(VALU_DEP_2)
	v_lshlrev_b32_e32 v78, 3, v78
	v_or_b32_e32 v18, v18, v77
	s_delay_alu instid0(VALU_DEP_1) | instskip(SKIP_1) | instid1(VALU_DEP_1)
	v_cmp_ne_u32_e32 vcc_lo, 0, v18
	v_and_b32_e32 v79, 7, v77
	v_or3_b32 v62, v78, v62, v79
	s_delay_alu instid0(VALU_DEP_1)
	v_cndmask_b32_e32 v18, 0, v62, vcc_lo
.LBB6_5999:                             ;   in Loop: Header=BB6_4903 Depth=2
	s_or_b32 exec_lo, exec_lo, s24
.LBB6_6000:                             ;   in Loop: Header=BB6_4903 Depth=2
	s_delay_alu instid0(SALU_CYCLE_1) | instskip(SKIP_3) | instid1(VALU_DEP_1)
	s_or_b32 exec_lo, exec_lo, s23
	v_or_b32_e32 v74, v74, v61
	s_mov_b32 s7, 0
	s_mov_b32 s24, exec_lo
                                        ; implicit-def: $sgpr23
	v_and_b32_e32 v62, 0xff, v74
	s_delay_alu instid0(VALU_DEP_1)
	v_cmpx_lt_i16_e32 0x7f, v62
	s_xor_b32 s24, exec_lo, s24
	s_cbranch_execnz .LBB6_7118
; %bb.6001:                             ;   in Loop: Header=BB6_4903 Depth=2
	s_or_saveexec_b32 s24, s24
	v_mov_b32_e32 v61, s23
	s_xor_b32 exec_lo, exec_lo, s24
	s_cbranch_execnz .LBB6_7121
.LBB6_6002:                             ;   in Loop: Header=BB6_4903 Depth=2
	s_or_b32 exec_lo, exec_lo, s24
	s_and_saveexec_b32 s23, s7
	s_cbranch_execz .LBB6_6004
.LBB6_6003:                             ;   in Loop: Header=BB6_4903 Depth=2
	v_and_b32_e32 v61, 7, v74
	v_bfe_u32 v78, v74, 3, 4
	v_lshlrev_b32_e32 v79, 24, v74
	s_delay_alu instid0(VALU_DEP_3) | instskip(NEXT) | instid1(VALU_DEP_3)
	v_clz_i32_u32_e32 v62, v61
	v_cmp_eq_u32_e32 vcc_lo, 0, v78
	s_delay_alu instid0(VALU_DEP_2) | instskip(NEXT) | instid1(VALU_DEP_1)
	v_min_u32_e32 v62, 32, v62
	v_subrev_nc_u32_e32 v77, 28, v62
	v_sub_nc_u32_e32 v62, 29, v62
	s_delay_alu instid0(VALU_DEP_2) | instskip(NEXT) | instid1(VALU_DEP_1)
	v_lshlrev_b32_e32 v77, v77, v74
	v_dual_cndmask_b32 v62, v78, v62 :: v_dual_and_b32 v77, 7, v77
	s_delay_alu instid0(VALU_DEP_1) | instskip(NEXT) | instid1(VALU_DEP_2)
	v_lshl_add_u32 v62, v62, 23, 0x3b800000
	v_cndmask_b32_e32 v61, v61, v77, vcc_lo
	v_and_b32_e32 v77, 0x80000000, v79
	s_delay_alu instid0(VALU_DEP_2) | instskip(NEXT) | instid1(VALU_DEP_1)
	v_lshlrev_b32_e32 v61, 20, v61
	v_or3_b32 v61, v77, v62, v61
.LBB6_6004:                             ;   in Loop: Header=BB6_4903 Depth=2
	s_or_b32 exec_lo, exec_lo, s23
	v_and_b32_e32 v77, 0xff, v19
	s_mov_b32 s7, 0
	s_mov_b32 s24, exec_lo
                                        ; implicit-def: $sgpr23
	s_delay_alu instid0(VALU_DEP_1)
	v_cmpx_lt_i16_e32 0x7f, v77
	s_xor_b32 s24, exec_lo, s24
	s_cbranch_execnz .LBB6_7122
; %bb.6005:                             ;   in Loop: Header=BB6_4903 Depth=2
	s_or_saveexec_b32 s24, s24
	v_mov_b32_e32 v62, s23
	s_xor_b32 exec_lo, exec_lo, s24
	s_cbranch_execnz .LBB6_7125
.LBB6_6006:                             ;   in Loop: Header=BB6_4903 Depth=2
	s_or_b32 exec_lo, exec_lo, s24
	s_and_saveexec_b32 s23, s7
	s_cbranch_execz .LBB6_6008
.LBB6_6007:                             ;   in Loop: Header=BB6_4903 Depth=2
	v_bfe_u32 v79, v19, 3, 4
	v_lshlrev_b32_e32 v88, 24, v19
	s_delay_alu instid0(VALU_DEP_2) | instskip(SKIP_1) | instid1(VALU_DEP_1)
	v_cmp_eq_u32_e32 vcc_lo, 0, v79
	v_and_b32_e32 v62, 7, v19
	v_clz_i32_u32_e32 v77, v62
	s_delay_alu instid0(VALU_DEP_1) | instskip(NEXT) | instid1(VALU_DEP_1)
	v_min_u32_e32 v77, 32, v77
	v_subrev_nc_u32_e32 v78, 28, v77
	v_sub_nc_u32_e32 v77, 29, v77
	s_delay_alu instid0(VALU_DEP_1) | instskip(NEXT) | instid1(VALU_DEP_1)
	v_dual_cndmask_b32 v77, v79, v77 :: v_dual_lshlrev_b32 v78, v78, v19
	v_and_b32_e32 v78, 7, v78
	s_delay_alu instid0(VALU_DEP_2) | instskip(NEXT) | instid1(VALU_DEP_2)
	v_lshl_add_u32 v77, v77, 23, 0x3b800000
	v_cndmask_b32_e32 v62, v62, v78, vcc_lo
	v_and_b32_e32 v78, 0x80000000, v88
	s_delay_alu instid0(VALU_DEP_2) | instskip(NEXT) | instid1(VALU_DEP_1)
	v_lshlrev_b32_e32 v62, 20, v62
	v_or3_b32 v62, v78, v77, v62
.LBB6_6008:                             ;   in Loop: Header=BB6_4903 Depth=2
	s_or_b32 exec_lo, exec_lo, s23
	s_delay_alu instid0(VALU_DEP_1) | instskip(NEXT) | instid1(VALU_DEP_1)
	v_add_f32_e32 v62, v61, v62
	v_and_b32_e32 v61, 0x7f800000, v62
	s_delay_alu instid0(VALU_DEP_1)
	v_cmp_ne_u32_e32 vcc_lo, 0x7f800000, v61
	v_mov_b32_e32 v61, 0x80
	s_and_saveexec_b32 s23, vcc_lo
	s_cbranch_execz .LBB6_6016
; %bb.6009:                             ;   in Loop: Header=BB6_4903 Depth=2
	v_mov_b32_e32 v61, 0
	s_mov_b32 s24, exec_lo
	v_cmpx_ne_u32_e32 0, v62
	s_cbranch_execz .LBB6_6015
; %bb.6010:                             ;   in Loop: Header=BB6_4903 Depth=2
	v_bfe_u32 v61, v62, 23, 8
	v_and_b32_e32 v77, 0x7fffff, v62
	s_delay_alu instid0(VALU_DEP_2) | instskip(SKIP_1) | instid1(VALU_DEP_3)
	v_sub_nc_u32_e32 v78, 0x78, v61
	v_cmp_gt_u32_e32 vcc_lo, 0x79, v61
	v_or_b32_e32 v79, 0x800000, v77
	s_delay_alu instid0(VALU_DEP_3) | instskip(SKIP_2) | instid1(VALU_DEP_4)
	v_cndmask_b32_e32 v78, 0, v78, vcc_lo
	v_cmp_eq_u32_e32 vcc_lo, 0, v61
	v_add_nc_u32_e32 v61, 0xffffff89, v61
	v_cndmask_b32_e32 v77, v79, v77, vcc_lo
	s_delay_alu instid0(VALU_DEP_4) | instskip(NEXT) | instid1(VALU_DEP_3)
	v_cndmask_b32_e64 v78, v78, 0x77, vcc_lo
	v_cndmask_b32_e64 v61, v61, 0xffffff8a, vcc_lo
	s_delay_alu instid0(VALU_DEP_2) | instskip(SKIP_2) | instid1(VALU_DEP_4)
	v_lshrrev_b32_e32 v88, v78, v77
	v_lshl_add_u32 v79, 0x100000, v78, -1
	v_lshlrev_b32_e64 v90, v78, 0x80000
	v_add_nc_u32_e32 v78, v78, v61
	s_delay_alu instid0(VALU_DEP_4) | instskip(NEXT) | instid1(VALU_DEP_4)
	v_bfe_u32 v89, v88, 20, 1
	v_and_b32_e32 v77, v79, v77
	s_delay_alu instid0(VALU_DEP_2) | instskip(NEXT) | instid1(VALU_DEP_2)
	v_add_nc_u32_e32 v79, -1, v89
	v_cmp_eq_u32_e64 s7, v77, v90
	s_delay_alu instid0(VALU_DEP_1) | instskip(SKIP_2) | instid1(VALU_DEP_2)
	v_cndmask_b32_e64 v77, 0, v79, s7
	v_lshrrev_b32_e32 v79, 23, v88
	s_mov_b32 s7, exec_lo
	v_add_nc_u32_e32 v77, v77, v88
	s_delay_alu instid0(VALU_DEP_2) | instskip(NEXT) | instid1(VALU_DEP_2)
	v_xor_b32_e32 v79, 1, v79
	v_and_b32_e32 v61, 0xfffff, v77
	s_delay_alu instid0(VALU_DEP_1) | instskip(NEXT) | instid1(VALU_DEP_3)
	v_add_nc_u32_e32 v77, v61, v88
                                        ; implicit-def: $vgpr61
	v_cmpx_ne_u32_e64 v78, v79
	s_xor_b32 s7, exec_lo, s7
; %bb.6011:                             ;   in Loop: Header=BB6_4903 Depth=2
	s_delay_alu instid0(VALU_DEP_2) | instskip(SKIP_2) | instid1(VALU_DEP_2)
	v_cmp_lt_u32_e32 vcc_lo, 0xffffff, v77
	v_sub_nc_u32_e32 v61, v78, v79
	v_cndmask_b32_e64 v78, 0, 1, vcc_lo
	v_add_co_ci_u32_e32 v61, vcc_lo, 0, v61, vcc_lo
	s_delay_alu instid0(VALU_DEP_2)
	v_lshrrev_b32_e32 v77, v78, v77
; %bb.6012:                             ;   in Loop: Header=BB6_4903 Depth=2
	s_and_not1_saveexec_b32 s7, s7
; %bb.6013:                             ;   in Loop: Header=BB6_4903 Depth=2
	s_delay_alu instid0(VALU_DEP_1)
	v_bfe_u32 v61, v77, 23, 1
; %bb.6014:                             ;   in Loop: Header=BB6_4903 Depth=2
	s_or_b32 exec_lo, exec_lo, s7
	v_lshrrev_b32_e32 v77, 20, v77
	s_delay_alu instid0(VALU_DEP_2) | instskip(SKIP_2) | instid1(VALU_DEP_2)
	v_cmp_gt_i32_e32 vcc_lo, 16, v61
	v_lshrrev_b32_e32 v62, 24, v62
	v_min_i32_e32 v78, 15, v61
	v_dual_cndmask_b32 v77, 7, v77 :: v_dual_and_b32 v62, 0x80, v62
	s_delay_alu instid0(VALU_DEP_2) | instskip(NEXT) | instid1(VALU_DEP_2)
	v_lshlrev_b32_e32 v78, 3, v78
	v_and_b32_e32 v79, 7, v77
	v_or_b32_e32 v61, v61, v77
	s_delay_alu instid0(VALU_DEP_2) | instskip(NEXT) | instid1(VALU_DEP_2)
	v_or3_b32 v62, v78, v62, v79
	v_cmp_ne_u32_e32 vcc_lo, 0, v61
	s_delay_alu instid0(VALU_DEP_2)
	v_cndmask_b32_e32 v61, 0, v62, vcc_lo
.LBB6_6015:                             ;   in Loop: Header=BB6_4903 Depth=2
	s_or_b32 exec_lo, exec_lo, s24
.LBB6_6016:                             ;   in Loop: Header=BB6_4903 Depth=2
	s_delay_alu instid0(SALU_CYCLE_1) | instskip(SKIP_3) | instid1(VALU_DEP_1)
	s_or_b32 exec_lo, exec_lo, s23
	v_lshrrev_b16 v77, 8, v74
	s_mov_b32 s7, 0
	s_mov_b32 s24, exec_lo
                                        ; implicit-def: $sgpr23
	v_cmpx_lt_i16_e32 0x7f, v77
	s_xor_b32 s24, exec_lo, s24
	s_cbranch_execnz .LBB6_7126
; %bb.6017:                             ;   in Loop: Header=BB6_4903 Depth=2
	s_or_saveexec_b32 s24, s24
	v_mov_b32_e32 v62, s23
	s_xor_b32 exec_lo, exec_lo, s24
	s_cbranch_execnz .LBB6_7129
.LBB6_6018:                             ;   in Loop: Header=BB6_4903 Depth=2
	s_or_b32 exec_lo, exec_lo, s24
	s_and_saveexec_b32 s23, s7
	s_cbranch_execz .LBB6_6020
.LBB6_6019:                             ;   in Loop: Header=BB6_4903 Depth=2
	v_and_b32_e32 v62, 0xffff, v77
	s_delay_alu instid0(VALU_DEP_1) | instskip(NEXT) | instid1(VALU_DEP_1)
	v_and_b32_e32 v78, 7, v62
	v_clz_i32_u32_e32 v79, v78
	s_delay_alu instid0(VALU_DEP_1) | instskip(NEXT) | instid1(VALU_DEP_1)
	v_min_u32_e32 v79, 32, v79
	v_subrev_nc_u32_e32 v88, 28, v79
	v_sub_nc_u32_e32 v79, 29, v79
	s_delay_alu instid0(VALU_DEP_2) | instskip(SKIP_1) | instid1(VALU_DEP_2)
	v_lshlrev_b32_e32 v88, v88, v62
	v_bfe_u32 v62, v62, 3, 4
	v_and_b32_e32 v88, 7, v88
	s_delay_alu instid0(VALU_DEP_2) | instskip(SKIP_1) | instid1(VALU_DEP_1)
	v_cmp_eq_u32_e32 vcc_lo, 0, v62
	v_dual_cndmask_b32 v62, v62, v79 :: v_dual_lshlrev_b32 v77, 24, v77
	v_dual_cndmask_b32 v78, v78, v88 :: v_dual_and_b32 v77, 0x80000000, v77
	s_delay_alu instid0(VALU_DEP_2) | instskip(NEXT) | instid1(VALU_DEP_2)
	v_lshl_add_u32 v62, v62, 23, 0x3b800000
	v_lshlrev_b32_e32 v78, 20, v78
	s_delay_alu instid0(VALU_DEP_1)
	v_or3_b32 v62, v77, v62, v78
.LBB6_6020:                             ;   in Loop: Header=BB6_4903 Depth=2
	s_or_b32 exec_lo, exec_lo, s23
	v_lshrrev_b16 v77, 8, v19
	s_mov_b32 s7, 0
	s_mov_b32 s24, exec_lo
                                        ; implicit-def: $sgpr23
	s_delay_alu instid0(VALU_DEP_1)
	v_cmpx_lt_i16_e32 0x7f, v77
	s_xor_b32 s24, exec_lo, s24
	s_cbranch_execnz .LBB6_7130
; %bb.6021:                             ;   in Loop: Header=BB6_4903 Depth=2
	s_or_saveexec_b32 s24, s24
	v_mov_b32_e32 v78, s23
	s_xor_b32 exec_lo, exec_lo, s24
	s_cbranch_execnz .LBB6_7133
.LBB6_6022:                             ;   in Loop: Header=BB6_4903 Depth=2
	s_or_b32 exec_lo, exec_lo, s24
	s_and_saveexec_b32 s23, s7
	s_cbranch_execz .LBB6_6024
.LBB6_6023:                             ;   in Loop: Header=BB6_4903 Depth=2
	v_and_b32_e32 v78, 0xffff, v77
	v_lshlrev_b32_e32 v77, 24, v77
	s_delay_alu instid0(VALU_DEP_2) | instskip(NEXT) | instid1(VALU_DEP_2)
	v_and_b32_e32 v79, 7, v78
	v_and_b32_e32 v77, 0x80000000, v77
	s_delay_alu instid0(VALU_DEP_2) | instskip(NEXT) | instid1(VALU_DEP_1)
	v_clz_i32_u32_e32 v88, v79
	v_min_u32_e32 v88, 32, v88
	s_delay_alu instid0(VALU_DEP_1) | instskip(SKIP_1) | instid1(VALU_DEP_2)
	v_subrev_nc_u32_e32 v89, 28, v88
	v_sub_nc_u32_e32 v88, 29, v88
	v_lshlrev_b32_e32 v89, v89, v78
	v_bfe_u32 v78, v78, 3, 4
	s_delay_alu instid0(VALU_DEP_2) | instskip(NEXT) | instid1(VALU_DEP_2)
	v_and_b32_e32 v89, 7, v89
	v_cmp_eq_u32_e32 vcc_lo, 0, v78
	s_delay_alu instid0(VALU_DEP_2) | instskip(NEXT) | instid1(VALU_DEP_1)
	v_dual_cndmask_b32 v78, v78, v88 :: v_dual_cndmask_b32 v79, v79, v89
	v_lshl_add_u32 v78, v78, 23, 0x3b800000
	s_delay_alu instid0(VALU_DEP_2) | instskip(NEXT) | instid1(VALU_DEP_1)
	v_lshlrev_b32_e32 v79, 20, v79
	v_or3_b32 v78, v77, v78, v79
.LBB6_6024:                             ;   in Loop: Header=BB6_4903 Depth=2
	s_or_b32 exec_lo, exec_lo, s23
	s_delay_alu instid0(VALU_DEP_1) | instskip(NEXT) | instid1(VALU_DEP_1)
	v_add_f32_e32 v77, v62, v78
	v_and_b32_e32 v62, 0x7f800000, v77
	s_delay_alu instid0(VALU_DEP_1)
	v_cmp_ne_u32_e32 vcc_lo, 0x7f800000, v62
	v_mov_b32_e32 v62, 0x8000
	s_and_saveexec_b32 s23, vcc_lo
	s_cbranch_execz .LBB6_6032
; %bb.6025:                             ;   in Loop: Header=BB6_4903 Depth=2
	v_mov_b32_e32 v62, 0
	s_mov_b32 s24, exec_lo
	v_cmpx_ne_u32_e32 0, v77
	s_cbranch_execz .LBB6_6031
; %bb.6026:                             ;   in Loop: Header=BB6_4903 Depth=2
	v_bfe_u32 v62, v77, 23, 8
	s_delay_alu instid0(VALU_DEP_1) | instskip(SKIP_1) | instid1(VALU_DEP_2)
	v_sub_nc_u32_e32 v79, 0x78, v62
	v_cmp_gt_u32_e32 vcc_lo, 0x79, v62
	v_dual_cndmask_b32 v79, 0, v79 :: v_dual_and_b32 v78, 0x7fffff, v77
	s_delay_alu instid0(VALU_DEP_1) | instskip(SKIP_2) | instid1(VALU_DEP_4)
	v_or_b32_e32 v88, 0x800000, v78
	v_cmp_eq_u32_e32 vcc_lo, 0, v62
	v_add_nc_u32_e32 v62, 0xffffff89, v62
	v_cndmask_b32_e64 v79, v79, 0x77, vcc_lo
	s_delay_alu instid0(VALU_DEP_4) | instskip(NEXT) | instid1(VALU_DEP_3)
	v_cndmask_b32_e32 v78, v88, v78, vcc_lo
	v_cndmask_b32_e64 v62, v62, 0xffffff8a, vcc_lo
	s_delay_alu instid0(VALU_DEP_3) | instskip(NEXT) | instid1(VALU_DEP_3)
	v_lshl_add_u32 v88, 0x100000, v79, -1
	v_lshrrev_b32_e32 v89, v79, v78
	v_lshlrev_b32_e64 v91, v79, 0x80000
	s_delay_alu instid0(VALU_DEP_4) | instskip(NEXT) | instid1(VALU_DEP_4)
	v_add_nc_u32_e32 v79, v79, v62
	v_and_b32_e32 v78, v88, v78
	s_delay_alu instid0(VALU_DEP_4) | instskip(NEXT) | instid1(VALU_DEP_2)
	v_bfe_u32 v90, v89, 20, 1
	v_cmp_eq_u32_e64 s7, v78, v91
	s_delay_alu instid0(VALU_DEP_2) | instskip(NEXT) | instid1(VALU_DEP_1)
	v_add_nc_u32_e32 v88, -1, v90
	v_cndmask_b32_e64 v78, 0, v88, s7
	v_lshrrev_b32_e32 v88, 23, v89
	s_mov_b32 s7, exec_lo
	s_delay_alu instid0(VALU_DEP_2) | instskip(NEXT) | instid1(VALU_DEP_2)
	v_add_nc_u32_e32 v78, v78, v89
	v_xor_b32_e32 v88, 1, v88
	s_delay_alu instid0(VALU_DEP_2) | instskip(NEXT) | instid1(VALU_DEP_1)
	v_and_b32_e32 v62, 0xfffff, v78
	v_add_nc_u32_e32 v78, v62, v89
                                        ; implicit-def: $vgpr62
	s_delay_alu instid0(VALU_DEP_3)
	v_cmpx_ne_u32_e64 v79, v88
	s_xor_b32 s7, exec_lo, s7
; %bb.6027:                             ;   in Loop: Header=BB6_4903 Depth=2
	s_delay_alu instid0(VALU_DEP_2) | instskip(SKIP_2) | instid1(VALU_DEP_2)
	v_cmp_lt_u32_e32 vcc_lo, 0xffffff, v78
	v_sub_nc_u32_e32 v62, v79, v88
	v_cndmask_b32_e64 v79, 0, 1, vcc_lo
	v_add_co_ci_u32_e32 v62, vcc_lo, 0, v62, vcc_lo
	s_delay_alu instid0(VALU_DEP_2)
	v_lshrrev_b32_e32 v78, v79, v78
; %bb.6028:                             ;   in Loop: Header=BB6_4903 Depth=2
	s_and_not1_saveexec_b32 s7, s7
; %bb.6029:                             ;   in Loop: Header=BB6_4903 Depth=2
	s_delay_alu instid0(VALU_DEP_1)
	v_bfe_u32 v62, v78, 23, 1
; %bb.6030:                             ;   in Loop: Header=BB6_4903 Depth=2
	s_or_b32 exec_lo, exec_lo, s7
	v_lshrrev_b32_e32 v78, 20, v78
	s_delay_alu instid0(VALU_DEP_2) | instskip(SKIP_2) | instid1(VALU_DEP_2)
	v_cmp_gt_i32_e32 vcc_lo, 16, v62
	v_min_i32_e32 v79, 15, v62
	v_lshrrev_b32_e32 v77, 24, v77
	v_dual_cndmask_b32 v78, 7, v78 :: v_dual_lshlrev_b32 v79, 3, v79
	s_delay_alu instid0(VALU_DEP_2) | instskip(NEXT) | instid1(VALU_DEP_2)
	v_and_b32_e32 v77, 0x80, v77
	v_or_b32_e32 v62, v62, v78
	v_and_b32_e32 v88, 7, v78
	s_delay_alu instid0(VALU_DEP_2) | instskip(SKIP_1) | instid1(VALU_DEP_1)
	v_cmp_ne_u32_e32 vcc_lo, 0, v62
	v_and_b32_e32 v79, 0xf8, v79
	v_or3_b32 v77, v77, v79, v88
	s_delay_alu instid0(VALU_DEP_1) | instskip(NEXT) | instid1(VALU_DEP_1)
	v_lshlrev_b32_e32 v77, 8, v77
	v_cndmask_b32_e32 v62, 0, v77, vcc_lo
.LBB6_6031:                             ;   in Loop: Header=BB6_4903 Depth=2
	s_or_b32 exec_lo, exec_lo, s24
.LBB6_6032:                             ;   in Loop: Header=BB6_4903 Depth=2
	s_delay_alu instid0(SALU_CYCLE_1) | instskip(SKIP_3) | instid1(VALU_DEP_1)
	s_or_b32 exec_lo, exec_lo, s23
	v_or_b32_e32 v63, v63, v59
	s_mov_b32 s7, 0
	s_mov_b32 s24, exec_lo
                                        ; implicit-def: $sgpr23
	v_and_b32_e32 v77, 0xff, v63
	s_delay_alu instid0(VALU_DEP_1)
	v_cmpx_lt_i16_e32 0x7f, v77
	s_xor_b32 s24, exec_lo, s24
	s_cbranch_execnz .LBB6_7134
; %bb.6033:                             ;   in Loop: Header=BB6_4903 Depth=2
	s_or_saveexec_b32 s24, s24
	v_mov_b32_e32 v59, s23
	s_xor_b32 exec_lo, exec_lo, s24
	s_cbranch_execnz .LBB6_7137
.LBB6_6034:                             ;   in Loop: Header=BB6_4903 Depth=2
	s_or_b32 exec_lo, exec_lo, s24
	v_lshl_or_b32 v63, v63, 16, v74
	s_and_saveexec_b32 s23, s7
	s_cbranch_execz .LBB6_6036
.LBB6_6035:                             ;   in Loop: Header=BB6_4903 Depth=2
	s_delay_alu instid0(VALU_DEP_1) | instskip(SKIP_2) | instid1(VALU_DEP_3)
	v_bfe_u32 v59, v63, 16, 3
	v_lshrrev_b32_e32 v77, 16, v63
	v_lshlrev_b32_e32 v79, 8, v63
	v_clz_i32_u32_e32 v74, v59
	s_delay_alu instid0(VALU_DEP_1) | instskip(NEXT) | instid1(VALU_DEP_1)
	v_min_u32_e32 v74, 32, v74
	v_subrev_nc_u32_e32 v78, 28, v74
	v_sub_nc_u32_e32 v74, 29, v74
	s_delay_alu instid0(VALU_DEP_2) | instskip(SKIP_1) | instid1(VALU_DEP_1)
	v_lshlrev_b32_e32 v77, v78, v77
	v_bfe_u32 v78, v63, 19, 4
	v_cmp_eq_u32_e32 vcc_lo, 0, v78
	s_delay_alu instid0(VALU_DEP_3) | instskip(NEXT) | instid1(VALU_DEP_1)
	v_dual_cndmask_b32 v74, v78, v74 :: v_dual_and_b32 v77, 7, v77
	v_cndmask_b32_e32 v59, v59, v77, vcc_lo
	v_and_b32_e32 v77, 0x80000000, v79
	s_delay_alu instid0(VALU_DEP_3) | instskip(NEXT) | instid1(VALU_DEP_3)
	v_lshl_add_u32 v74, v74, 23, 0x3b800000
	v_lshlrev_b32_e32 v59, 20, v59
	s_delay_alu instid0(VALU_DEP_1)
	v_or3_b32 v59, v77, v74, v59
.LBB6_6036:                             ;   in Loop: Header=BB6_4903 Depth=2
	s_or_b32 exec_lo, exec_lo, s23
	v_lshrrev_b32_e32 v74, 16, v19
	s_mov_b32 s7, 0
	s_mov_b32 s24, exec_lo
                                        ; implicit-def: $sgpr23
	s_delay_alu instid0(VALU_DEP_1) | instskip(NEXT) | instid1(VALU_DEP_1)
	v_and_b32_e32 v78, 0xff, v74
	v_cmpx_lt_i16_e32 0x7f, v78
	s_xor_b32 s24, exec_lo, s24
	s_cbranch_execnz .LBB6_7138
; %bb.6037:                             ;   in Loop: Header=BB6_4903 Depth=2
	s_or_saveexec_b32 s24, s24
	v_mov_b32_e32 v77, s23
	s_xor_b32 exec_lo, exec_lo, s24
	s_cbranch_execnz .LBB6_7141
.LBB6_6038:                             ;   in Loop: Header=BB6_4903 Depth=2
	s_or_b32 exec_lo, exec_lo, s24
	s_and_saveexec_b32 s23, s7
	s_cbranch_execz .LBB6_6040
.LBB6_6039:                             ;   in Loop: Header=BB6_4903 Depth=2
	v_bfe_u32 v77, v19, 16, 3
	v_lshlrev_b32_e32 v88, 8, v19
	s_delay_alu instid0(VALU_DEP_2) | instskip(NEXT) | instid1(VALU_DEP_1)
	v_clz_i32_u32_e32 v78, v77
	v_min_u32_e32 v78, 32, v78
	s_delay_alu instid0(VALU_DEP_1) | instskip(SKIP_1) | instid1(VALU_DEP_2)
	v_subrev_nc_u32_e32 v79, 28, v78
	v_sub_nc_u32_e32 v78, 29, v78
	v_lshlrev_b32_e32 v74, v79, v74
	v_bfe_u32 v79, v19, 19, 4
	s_delay_alu instid0(VALU_DEP_2) | instskip(NEXT) | instid1(VALU_DEP_2)
	v_and_b32_e32 v74, 7, v74
	v_cmp_eq_u32_e32 vcc_lo, 0, v79
	v_cndmask_b32_e32 v78, v79, v78, vcc_lo
	s_delay_alu instid0(VALU_DEP_3) | instskip(NEXT) | instid1(VALU_DEP_2)
	v_dual_cndmask_b32 v74, v77, v74 :: v_dual_and_b32 v77, 0x80000000, v88
	v_lshl_add_u32 v78, v78, 23, 0x3b800000
	s_delay_alu instid0(VALU_DEP_2) | instskip(NEXT) | instid1(VALU_DEP_1)
	v_lshlrev_b32_e32 v74, 20, v74
	v_or3_b32 v77, v77, v78, v74
.LBB6_6040:                             ;   in Loop: Header=BB6_4903 Depth=2
	s_or_b32 exec_lo, exec_lo, s23
	s_delay_alu instid0(VALU_DEP_1) | instskip(NEXT) | instid1(VALU_DEP_1)
	v_add_f32_e32 v74, v59, v77
	v_and_b32_e32 v59, 0x7f800000, v74
	s_delay_alu instid0(VALU_DEP_1)
	v_cmp_ne_u32_e32 vcc_lo, 0x7f800000, v59
	v_mov_b32_e32 v59, 0x80
	s_and_saveexec_b32 s23, vcc_lo
	s_cbranch_execz .LBB6_6048
; %bb.6041:                             ;   in Loop: Header=BB6_4903 Depth=2
	v_mov_b32_e32 v59, 0
	s_mov_b32 s24, exec_lo
	v_cmpx_ne_u32_e32 0, v74
	s_cbranch_execz .LBB6_6047
; %bb.6042:                             ;   in Loop: Header=BB6_4903 Depth=2
	v_bfe_u32 v59, v74, 23, 8
	v_and_b32_e32 v77, 0x7fffff, v74
	s_delay_alu instid0(VALU_DEP_2) | instskip(SKIP_1) | instid1(VALU_DEP_3)
	v_sub_nc_u32_e32 v78, 0x78, v59
	v_cmp_gt_u32_e32 vcc_lo, 0x79, v59
	v_or_b32_e32 v79, 0x800000, v77
	s_delay_alu instid0(VALU_DEP_3) | instskip(SKIP_2) | instid1(VALU_DEP_4)
	v_cndmask_b32_e32 v78, 0, v78, vcc_lo
	v_cmp_eq_u32_e32 vcc_lo, 0, v59
	v_add_nc_u32_e32 v59, 0xffffff89, v59
	v_cndmask_b32_e32 v77, v79, v77, vcc_lo
	s_delay_alu instid0(VALU_DEP_4) | instskip(NEXT) | instid1(VALU_DEP_3)
	v_cndmask_b32_e64 v78, v78, 0x77, vcc_lo
	v_cndmask_b32_e64 v59, v59, 0xffffff8a, vcc_lo
	s_delay_alu instid0(VALU_DEP_2) | instskip(SKIP_2) | instid1(VALU_DEP_4)
	v_lshrrev_b32_e32 v88, v78, v77
	v_lshl_add_u32 v79, 0x100000, v78, -1
	v_lshlrev_b32_e64 v90, v78, 0x80000
	v_add_nc_u32_e32 v78, v78, v59
	s_delay_alu instid0(VALU_DEP_4) | instskip(NEXT) | instid1(VALU_DEP_4)
	v_bfe_u32 v89, v88, 20, 1
	v_and_b32_e32 v77, v79, v77
	s_delay_alu instid0(VALU_DEP_2) | instskip(NEXT) | instid1(VALU_DEP_2)
	v_add_nc_u32_e32 v79, -1, v89
	v_cmp_eq_u32_e64 s7, v77, v90
	s_delay_alu instid0(VALU_DEP_1) | instskip(SKIP_2) | instid1(VALU_DEP_2)
	v_cndmask_b32_e64 v77, 0, v79, s7
	v_lshrrev_b32_e32 v79, 23, v88
	s_mov_b32 s7, exec_lo
	v_add_nc_u32_e32 v77, v77, v88
	s_delay_alu instid0(VALU_DEP_2) | instskip(NEXT) | instid1(VALU_DEP_2)
	v_xor_b32_e32 v79, 1, v79
	v_and_b32_e32 v59, 0xfffff, v77
	s_delay_alu instid0(VALU_DEP_1) | instskip(NEXT) | instid1(VALU_DEP_3)
	v_add_nc_u32_e32 v77, v59, v88
                                        ; implicit-def: $vgpr59
	v_cmpx_ne_u32_e64 v78, v79
	s_xor_b32 s7, exec_lo, s7
; %bb.6043:                             ;   in Loop: Header=BB6_4903 Depth=2
	s_delay_alu instid0(VALU_DEP_2) | instskip(SKIP_2) | instid1(VALU_DEP_2)
	v_cmp_lt_u32_e32 vcc_lo, 0xffffff, v77
	v_sub_nc_u32_e32 v59, v78, v79
	v_cndmask_b32_e64 v78, 0, 1, vcc_lo
	v_add_co_ci_u32_e32 v59, vcc_lo, 0, v59, vcc_lo
	s_delay_alu instid0(VALU_DEP_2)
	v_lshrrev_b32_e32 v77, v78, v77
; %bb.6044:                             ;   in Loop: Header=BB6_4903 Depth=2
	s_and_not1_saveexec_b32 s7, s7
; %bb.6045:                             ;   in Loop: Header=BB6_4903 Depth=2
	s_delay_alu instid0(VALU_DEP_1)
	v_bfe_u32 v59, v77, 23, 1
; %bb.6046:                             ;   in Loop: Header=BB6_4903 Depth=2
	s_or_b32 exec_lo, exec_lo, s7
	v_lshrrev_b32_e32 v77, 20, v77
	s_delay_alu instid0(VALU_DEP_2) | instskip(SKIP_2) | instid1(VALU_DEP_3)
	v_min_i32_e32 v78, 15, v59
	v_cmp_gt_i32_e32 vcc_lo, 16, v59
	v_lshrrev_b32_e32 v74, 24, v74
	v_dual_cndmask_b32 v77, 7, v77 :: v_dual_lshlrev_b32 v78, 3, v78
	s_delay_alu instid0(VALU_DEP_2) | instskip(NEXT) | instid1(VALU_DEP_2)
	v_and_b32_e32 v74, 0x80, v74
	v_and_b32_e32 v78, 0xf8, v78
	s_delay_alu instid0(VALU_DEP_3) | instskip(SKIP_1) | instid1(VALU_DEP_2)
	v_and_b32_e32 v79, 7, v77
	v_or_b32_e32 v59, v59, v77
	v_or3_b32 v74, v78, v74, v79
	s_delay_alu instid0(VALU_DEP_2) | instskip(NEXT) | instid1(VALU_DEP_2)
	v_cmp_ne_u32_e32 vcc_lo, 0, v59
	v_cndmask_b32_e32 v59, 0, v74, vcc_lo
.LBB6_6047:                             ;   in Loop: Header=BB6_4903 Depth=2
	s_or_b32 exec_lo, exec_lo, s24
.LBB6_6048:                             ;   in Loop: Header=BB6_4903 Depth=2
	s_delay_alu instid0(SALU_CYCLE_1) | instskip(SKIP_3) | instid1(VALU_DEP_1)
	s_or_b32 exec_lo, exec_lo, s23
	v_lshrrev_b32_e32 v77, 24, v63
	s_mov_b32 s7, 0
	s_mov_b32 s24, exec_lo
                                        ; implicit-def: $sgpr23
	v_cmpx_lt_i16_e32 0x7f, v77
	s_xor_b32 s24, exec_lo, s24
	s_cbranch_execnz .LBB6_7142
; %bb.6049:                             ;   in Loop: Header=BB6_4903 Depth=2
	s_or_saveexec_b32 s24, s24
	v_mov_b32_e32 v74, s23
	s_xor_b32 exec_lo, exec_lo, s24
	s_cbranch_execnz .LBB6_7145
.LBB6_6050:                             ;   in Loop: Header=BB6_4903 Depth=2
	s_or_b32 exec_lo, exec_lo, s24
	s_and_saveexec_b32 s23, s7
	s_cbranch_execz .LBB6_6052
.LBB6_6051:                             ;   in Loop: Header=BB6_4903 Depth=2
	v_bfe_u32 v74, v63, 24, 3
	s_delay_alu instid0(VALU_DEP_1) | instskip(NEXT) | instid1(VALU_DEP_1)
	v_clz_i32_u32_e32 v78, v74
	v_min_u32_e32 v78, 32, v78
	s_delay_alu instid0(VALU_DEP_1) | instskip(SKIP_1) | instid1(VALU_DEP_2)
	v_subrev_nc_u32_e32 v79, 28, v78
	v_sub_nc_u32_e32 v78, 29, v78
	v_lshlrev_b32_e32 v77, v79, v77
	v_bfe_u32 v79, v63, 27, 4
	v_and_b32_e32 v63, 0x80000000, v63
	s_delay_alu instid0(VALU_DEP_2) | instskip(NEXT) | instid1(VALU_DEP_4)
	v_cmp_eq_u32_e32 vcc_lo, 0, v79
	v_dual_cndmask_b32 v78, v79, v78 :: v_dual_and_b32 v77, 7, v77
	s_delay_alu instid0(VALU_DEP_1) | instskip(NEXT) | instid1(VALU_DEP_2)
	v_cndmask_b32_e32 v74, v74, v77, vcc_lo
	v_lshl_add_u32 v77, v78, 23, 0x3b800000
	s_delay_alu instid0(VALU_DEP_2) | instskip(NEXT) | instid1(VALU_DEP_1)
	v_lshlrev_b32_e32 v74, 20, v74
	v_or3_b32 v74, v63, v77, v74
.LBB6_6052:                             ;   in Loop: Header=BB6_4903 Depth=2
	s_or_b32 exec_lo, exec_lo, s23
	v_lshrrev_b32_e32 v63, 24, v19
	s_mov_b32 s7, 0
	s_mov_b32 s24, exec_lo
                                        ; implicit-def: $sgpr23
	s_delay_alu instid0(VALU_DEP_1)
	v_cmpx_lt_i16_e32 0x7f, v63
	s_xor_b32 s24, exec_lo, s24
	s_cbranch_execnz .LBB6_7146
; %bb.6053:                             ;   in Loop: Header=BB6_4903 Depth=2
	s_or_saveexec_b32 s24, s24
	v_mov_b32_e32 v77, s23
	s_xor_b32 exec_lo, exec_lo, s24
	s_cbranch_execnz .LBB6_7149
.LBB6_6054:                             ;   in Loop: Header=BB6_4903 Depth=2
	s_or_b32 exec_lo, exec_lo, s24
	s_and_saveexec_b32 s23, s7
	s_cbranch_execz .LBB6_6056
.LBB6_6055:                             ;   in Loop: Header=BB6_4903 Depth=2
	v_bfe_u32 v77, v19, 24, 3
	s_delay_alu instid0(VALU_DEP_1) | instskip(NEXT) | instid1(VALU_DEP_1)
	v_clz_i32_u32_e32 v78, v77
	v_min_u32_e32 v78, 32, v78
	s_delay_alu instid0(VALU_DEP_1) | instskip(SKIP_1) | instid1(VALU_DEP_2)
	v_subrev_nc_u32_e32 v79, 28, v78
	v_sub_nc_u32_e32 v78, 29, v78
	v_lshlrev_b32_e32 v63, v79, v63
	v_bfe_u32 v79, v19, 27, 4
	v_and_b32_e32 v19, 0x80000000, v19
	s_delay_alu instid0(VALU_DEP_2) | instskip(NEXT) | instid1(VALU_DEP_4)
	v_cmp_eq_u32_e32 vcc_lo, 0, v79
	v_dual_cndmask_b32 v78, v79, v78 :: v_dual_and_b32 v63, 7, v63
	s_delay_alu instid0(VALU_DEP_1) | instskip(NEXT) | instid1(VALU_DEP_2)
	v_cndmask_b32_e32 v63, v77, v63, vcc_lo
	v_lshl_add_u32 v77, v78, 23, 0x3b800000
	s_delay_alu instid0(VALU_DEP_2) | instskip(NEXT) | instid1(VALU_DEP_1)
	v_lshlrev_b32_e32 v63, 20, v63
	v_or3_b32 v77, v19, v77, v63
.LBB6_6056:                             ;   in Loop: Header=BB6_4903 Depth=2
	s_or_b32 exec_lo, exec_lo, s23
	s_delay_alu instid0(VALU_DEP_1) | instskip(NEXT) | instid1(VALU_DEP_1)
	v_add_f32_e32 v63, v74, v77
	v_and_b32_e32 v19, 0x7f800000, v63
	s_delay_alu instid0(VALU_DEP_1)
	v_cmp_ne_u32_e32 vcc_lo, 0x7f800000, v19
	v_mov_b32_e32 v19, 0x8000
	s_and_saveexec_b32 s23, vcc_lo
	s_cbranch_execz .LBB6_6064
; %bb.6057:                             ;   in Loop: Header=BB6_4903 Depth=2
	v_mov_b32_e32 v19, 0
	s_mov_b32 s24, exec_lo
	v_cmpx_ne_u32_e32 0, v63
	s_cbranch_execz .LBB6_6063
; %bb.6058:                             ;   in Loop: Header=BB6_4903 Depth=2
	v_bfe_u32 v19, v63, 23, 8
	s_delay_alu instid0(VALU_DEP_1) | instskip(SKIP_1) | instid1(VALU_DEP_2)
	v_sub_nc_u32_e32 v77, 0x78, v19
	v_cmp_gt_u32_e32 vcc_lo, 0x79, v19
	v_dual_cndmask_b32 v77, 0, v77 :: v_dual_and_b32 v74, 0x7fffff, v63
	s_delay_alu instid0(VALU_DEP_1) | instskip(SKIP_2) | instid1(VALU_DEP_4)
	v_or_b32_e32 v78, 0x800000, v74
	v_cmp_eq_u32_e32 vcc_lo, 0, v19
	v_add_nc_u32_e32 v19, 0xffffff89, v19
	v_cndmask_b32_e64 v77, v77, 0x77, vcc_lo
	s_delay_alu instid0(VALU_DEP_4) | instskip(NEXT) | instid1(VALU_DEP_3)
	v_cndmask_b32_e32 v74, v78, v74, vcc_lo
	v_cndmask_b32_e64 v19, v19, 0xffffff8a, vcc_lo
	s_delay_alu instid0(VALU_DEP_3) | instskip(NEXT) | instid1(VALU_DEP_3)
	v_lshl_add_u32 v78, 0x100000, v77, -1
	v_lshrrev_b32_e32 v79, v77, v74
	v_lshlrev_b32_e64 v89, v77, 0x80000
	s_delay_alu instid0(VALU_DEP_4) | instskip(NEXT) | instid1(VALU_DEP_4)
	v_add_nc_u32_e32 v77, v77, v19
	v_and_b32_e32 v74, v78, v74
	s_delay_alu instid0(VALU_DEP_4) | instskip(NEXT) | instid1(VALU_DEP_2)
	v_bfe_u32 v88, v79, 20, 1
	v_cmp_eq_u32_e64 s7, v74, v89
	s_delay_alu instid0(VALU_DEP_2) | instskip(NEXT) | instid1(VALU_DEP_1)
	v_add_nc_u32_e32 v78, -1, v88
	v_cndmask_b32_e64 v74, 0, v78, s7
	v_lshrrev_b32_e32 v78, 23, v79
	s_mov_b32 s7, exec_lo
	s_delay_alu instid0(VALU_DEP_2) | instskip(NEXT) | instid1(VALU_DEP_2)
	v_add_nc_u32_e32 v74, v74, v79
	v_xor_b32_e32 v78, 1, v78
	s_delay_alu instid0(VALU_DEP_2) | instskip(NEXT) | instid1(VALU_DEP_1)
	v_and_b32_e32 v19, 0xfffff, v74
	v_add_nc_u32_e32 v74, v19, v79
                                        ; implicit-def: $vgpr19
	s_delay_alu instid0(VALU_DEP_3)
	v_cmpx_ne_u32_e64 v77, v78
	s_xor_b32 s7, exec_lo, s7
; %bb.6059:                             ;   in Loop: Header=BB6_4903 Depth=2
	s_delay_alu instid0(VALU_DEP_2) | instskip(SKIP_2) | instid1(VALU_DEP_2)
	v_cmp_lt_u32_e32 vcc_lo, 0xffffff, v74
	v_sub_nc_u32_e32 v19, v77, v78
	v_cndmask_b32_e64 v77, 0, 1, vcc_lo
	v_add_co_ci_u32_e32 v19, vcc_lo, 0, v19, vcc_lo
	s_delay_alu instid0(VALU_DEP_2)
	v_lshrrev_b32_e32 v74, v77, v74
; %bb.6060:                             ;   in Loop: Header=BB6_4903 Depth=2
	s_and_not1_saveexec_b32 s7, s7
; %bb.6061:                             ;   in Loop: Header=BB6_4903 Depth=2
	s_delay_alu instid0(VALU_DEP_1)
	v_bfe_u32 v19, v74, 23, 1
; %bb.6062:                             ;   in Loop: Header=BB6_4903 Depth=2
	s_or_b32 exec_lo, exec_lo, s7
	v_lshrrev_b32_e32 v74, 20, v74
	s_delay_alu instid0(VALU_DEP_2) | instskip(SKIP_2) | instid1(VALU_DEP_2)
	v_cmp_gt_i32_e32 vcc_lo, 16, v19
	v_min_i32_e32 v77, 15, v19
	v_lshrrev_b32_e32 v63, 24, v63
	v_dual_cndmask_b32 v74, 7, v74 :: v_dual_lshlrev_b32 v77, 3, v77
	s_delay_alu instid0(VALU_DEP_2) | instskip(NEXT) | instid1(VALU_DEP_2)
	v_and_b32_e32 v63, 0x80, v63
	v_or_b32_e32 v19, v19, v74
	s_delay_alu instid0(VALU_DEP_3) | instskip(NEXT) | instid1(VALU_DEP_2)
	v_and_b32_e32 v77, 0xf8, v77
	v_cmp_ne_u32_e32 vcc_lo, 0, v19
	v_and_b32_e32 v78, 7, v74
	s_delay_alu instid0(VALU_DEP_1) | instskip(NEXT) | instid1(VALU_DEP_1)
	v_or3_b32 v63, v63, v77, v78
	v_lshlrev_b32_e32 v63, 8, v63
	s_delay_alu instid0(VALU_DEP_1)
	v_cndmask_b32_e32 v19, 0, v63, vcc_lo
.LBB6_6063:                             ;   in Loop: Header=BB6_4903 Depth=2
	s_or_b32 exec_lo, exec_lo, s24
.LBB6_6064:                             ;   in Loop: Header=BB6_4903 Depth=2
	s_delay_alu instid0(SALU_CYCLE_1) | instskip(SKIP_3) | instid1(VALU_DEP_1)
	s_or_b32 exec_lo, exec_lo, s23
	v_and_b32_e32 v74, 0xff, v57
	s_mov_b32 s7, 0
	s_mov_b32 s24, exec_lo
                                        ; implicit-def: $sgpr23
	v_cmpx_lt_i16_e32 0x7f, v74
	s_xor_b32 s24, exec_lo, s24
	s_cbranch_execnz .LBB6_7150
; %bb.6065:                             ;   in Loop: Header=BB6_4903 Depth=2
	s_or_saveexec_b32 s24, s24
	v_mov_b32_e32 v63, s23
	s_xor_b32 exec_lo, exec_lo, s24
	s_cbranch_execnz .LBB6_7153
.LBB6_6066:                             ;   in Loop: Header=BB6_4903 Depth=2
	s_or_b32 exec_lo, exec_lo, s24
	s_and_saveexec_b32 s23, s7
	s_cbranch_execz .LBB6_6068
.LBB6_6067:                             ;   in Loop: Header=BB6_4903 Depth=2
	v_bfe_u32 v78, v57, 3, 4
	s_delay_alu instid0(VALU_DEP_1) | instskip(SKIP_1) | instid1(VALU_DEP_1)
	v_cmp_eq_u32_e32 vcc_lo, 0, v78
	v_and_b32_e32 v63, 7, v57
	v_clz_i32_u32_e32 v74, v63
	s_delay_alu instid0(VALU_DEP_1) | instskip(NEXT) | instid1(VALU_DEP_1)
	v_min_u32_e32 v74, 32, v74
	v_subrev_nc_u32_e32 v77, 28, v74
	v_sub_nc_u32_e32 v74, 29, v74
	s_delay_alu instid0(VALU_DEP_1) | instskip(SKIP_1) | instid1(VALU_DEP_2)
	v_dual_cndmask_b32 v74, v78, v74 :: v_dual_lshlrev_b32 v77, v77, v57
	v_lshlrev_b32_e32 v57, 24, v57
	v_and_b32_e32 v77, 7, v77
	s_delay_alu instid0(VALU_DEP_3) | instskip(NEXT) | instid1(VALU_DEP_3)
	v_lshl_add_u32 v74, v74, 23, 0x3b800000
	v_and_b32_e32 v57, 0x80000000, v57
	s_delay_alu instid0(VALU_DEP_3) | instskip(NEXT) | instid1(VALU_DEP_1)
	v_cndmask_b32_e32 v63, v63, v77, vcc_lo
	v_lshlrev_b32_e32 v63, 20, v63
	s_delay_alu instid0(VALU_DEP_1)
	v_or3_b32 v63, v57, v74, v63
.LBB6_6068:                             ;   in Loop: Header=BB6_4903 Depth=2
	s_or_b32 exec_lo, exec_lo, s23
	v_and_b32_e32 v74, 0xff, v20
	s_mov_b32 s7, 0
	s_mov_b32 s24, exec_lo
                                        ; implicit-def: $sgpr23
	s_delay_alu instid0(VALU_DEP_1)
	v_cmpx_lt_i16_e32 0x7f, v74
	s_xor_b32 s24, exec_lo, s24
	s_cbranch_execnz .LBB6_7154
; %bb.6069:                             ;   in Loop: Header=BB6_4903 Depth=2
	s_or_saveexec_b32 s24, s24
	v_mov_b32_e32 v57, s23
	s_xor_b32 exec_lo, exec_lo, s24
	s_cbranch_execnz .LBB6_7157
.LBB6_6070:                             ;   in Loop: Header=BB6_4903 Depth=2
	s_or_b32 exec_lo, exec_lo, s24
	s_and_saveexec_b32 s23, s7
	s_cbranch_execz .LBB6_6072
.LBB6_6071:                             ;   in Loop: Header=BB6_4903 Depth=2
	v_bfe_u32 v78, v20, 3, 4
	v_lshlrev_b32_e32 v79, 24, v20
	s_delay_alu instid0(VALU_DEP_2) | instskip(SKIP_1) | instid1(VALU_DEP_1)
	v_cmp_eq_u32_e32 vcc_lo, 0, v78
	v_and_b32_e32 v57, 7, v20
	v_clz_i32_u32_e32 v74, v57
	s_delay_alu instid0(VALU_DEP_1) | instskip(NEXT) | instid1(VALU_DEP_1)
	v_min_u32_e32 v74, 32, v74
	v_subrev_nc_u32_e32 v77, 28, v74
	v_sub_nc_u32_e32 v74, 29, v74
	s_delay_alu instid0(VALU_DEP_1) | instskip(NEXT) | instid1(VALU_DEP_1)
	v_dual_cndmask_b32 v74, v78, v74 :: v_dual_lshlrev_b32 v77, v77, v20
	v_and_b32_e32 v77, 7, v77
	s_delay_alu instid0(VALU_DEP_2) | instskip(NEXT) | instid1(VALU_DEP_2)
	v_lshl_add_u32 v74, v74, 23, 0x3b800000
	v_cndmask_b32_e32 v57, v57, v77, vcc_lo
	v_and_b32_e32 v77, 0x80000000, v79
	s_delay_alu instid0(VALU_DEP_2) | instskip(NEXT) | instid1(VALU_DEP_1)
	v_lshlrev_b32_e32 v57, 20, v57
	v_or3_b32 v57, v77, v74, v57
.LBB6_6072:                             ;   in Loop: Header=BB6_4903 Depth=2
	s_or_b32 exec_lo, exec_lo, s23
	s_delay_alu instid0(VALU_DEP_1) | instskip(NEXT) | instid1(VALU_DEP_1)
	v_add_f32_e32 v63, v63, v57
	v_and_b32_e32 v57, 0x7f800000, v63
	s_delay_alu instid0(VALU_DEP_1)
	v_cmp_ne_u32_e32 vcc_lo, 0x7f800000, v57
	v_mov_b32_e32 v57, 0x80
	s_and_saveexec_b32 s23, vcc_lo
	s_cbranch_execz .LBB6_6080
; %bb.6073:                             ;   in Loop: Header=BB6_4903 Depth=2
	v_mov_b32_e32 v57, 0
	s_mov_b32 s24, exec_lo
	v_cmpx_ne_u32_e32 0, v63
	s_cbranch_execz .LBB6_6079
; %bb.6074:                             ;   in Loop: Header=BB6_4903 Depth=2
	v_bfe_u32 v57, v63, 23, 8
	s_delay_alu instid0(VALU_DEP_1) | instskip(SKIP_1) | instid1(VALU_DEP_2)
	v_sub_nc_u32_e32 v77, 0x78, v57
	v_cmp_gt_u32_e32 vcc_lo, 0x79, v57
	v_dual_cndmask_b32 v77, 0, v77 :: v_dual_and_b32 v74, 0x7fffff, v63
	s_delay_alu instid0(VALU_DEP_1) | instskip(SKIP_2) | instid1(VALU_DEP_4)
	v_or_b32_e32 v78, 0x800000, v74
	v_cmp_eq_u32_e32 vcc_lo, 0, v57
	v_add_nc_u32_e32 v57, 0xffffff89, v57
	v_cndmask_b32_e64 v77, v77, 0x77, vcc_lo
	s_delay_alu instid0(VALU_DEP_4) | instskip(NEXT) | instid1(VALU_DEP_3)
	v_cndmask_b32_e32 v74, v78, v74, vcc_lo
	v_cndmask_b32_e64 v57, v57, 0xffffff8a, vcc_lo
	s_delay_alu instid0(VALU_DEP_3) | instskip(NEXT) | instid1(VALU_DEP_3)
	v_lshl_add_u32 v78, 0x100000, v77, -1
	v_lshrrev_b32_e32 v79, v77, v74
	v_lshlrev_b32_e64 v89, v77, 0x80000
	s_delay_alu instid0(VALU_DEP_4) | instskip(NEXT) | instid1(VALU_DEP_4)
	v_add_nc_u32_e32 v77, v77, v57
	v_and_b32_e32 v74, v78, v74
	s_delay_alu instid0(VALU_DEP_4) | instskip(NEXT) | instid1(VALU_DEP_2)
	v_bfe_u32 v88, v79, 20, 1
	v_cmp_eq_u32_e64 s7, v74, v89
	s_delay_alu instid0(VALU_DEP_2) | instskip(NEXT) | instid1(VALU_DEP_1)
	v_add_nc_u32_e32 v78, -1, v88
	v_cndmask_b32_e64 v74, 0, v78, s7
	v_lshrrev_b32_e32 v78, 23, v79
	s_mov_b32 s7, exec_lo
	s_delay_alu instid0(VALU_DEP_2) | instskip(NEXT) | instid1(VALU_DEP_2)
	v_add_nc_u32_e32 v74, v74, v79
	v_xor_b32_e32 v78, 1, v78
	s_delay_alu instid0(VALU_DEP_2) | instskip(NEXT) | instid1(VALU_DEP_1)
	v_and_b32_e32 v57, 0xfffff, v74
	v_add_nc_u32_e32 v74, v57, v79
                                        ; implicit-def: $vgpr57
	s_delay_alu instid0(VALU_DEP_3)
	v_cmpx_ne_u32_e64 v77, v78
	s_xor_b32 s7, exec_lo, s7
; %bb.6075:                             ;   in Loop: Header=BB6_4903 Depth=2
	s_delay_alu instid0(VALU_DEP_2) | instskip(SKIP_2) | instid1(VALU_DEP_2)
	v_cmp_lt_u32_e32 vcc_lo, 0xffffff, v74
	v_sub_nc_u32_e32 v57, v77, v78
	v_cndmask_b32_e64 v77, 0, 1, vcc_lo
	v_add_co_ci_u32_e32 v57, vcc_lo, 0, v57, vcc_lo
	s_delay_alu instid0(VALU_DEP_2)
	v_lshrrev_b32_e32 v74, v77, v74
; %bb.6076:                             ;   in Loop: Header=BB6_4903 Depth=2
	s_and_not1_saveexec_b32 s7, s7
; %bb.6077:                             ;   in Loop: Header=BB6_4903 Depth=2
	s_delay_alu instid0(VALU_DEP_1)
	v_bfe_u32 v57, v74, 23, 1
; %bb.6078:                             ;   in Loop: Header=BB6_4903 Depth=2
	s_or_b32 exec_lo, exec_lo, s7
	v_lshrrev_b32_e32 v74, 20, v74
	s_delay_alu instid0(VALU_DEP_2) | instskip(SKIP_2) | instid1(VALU_DEP_2)
	v_cmp_gt_i32_e32 vcc_lo, 16, v57
	v_lshrrev_b32_e32 v63, 24, v63
	v_min_i32_e32 v77, 15, v57
	v_dual_cndmask_b32 v74, 7, v74 :: v_dual_and_b32 v63, 0x80, v63
	s_delay_alu instid0(VALU_DEP_2) | instskip(NEXT) | instid1(VALU_DEP_2)
	v_lshlrev_b32_e32 v77, 3, v77
	v_or_b32_e32 v57, v57, v74
	s_delay_alu instid0(VALU_DEP_1) | instskip(SKIP_1) | instid1(VALU_DEP_1)
	v_cmp_ne_u32_e32 vcc_lo, 0, v57
	v_and_b32_e32 v78, 7, v74
	v_or3_b32 v63, v77, v63, v78
	s_delay_alu instid0(VALU_DEP_1)
	v_cndmask_b32_e32 v57, 0, v63, vcc_lo
.LBB6_6079:                             ;   in Loop: Header=BB6_4903 Depth=2
	s_or_b32 exec_lo, exec_lo, s24
.LBB6_6080:                             ;   in Loop: Header=BB6_4903 Depth=2
	s_delay_alu instid0(SALU_CYCLE_1) | instskip(SKIP_3) | instid1(VALU_DEP_1)
	s_or_b32 exec_lo, exec_lo, s23
	v_and_b32_e32 v74, 0xff, v47
	s_mov_b32 s7, 0
	s_mov_b32 s24, exec_lo
                                        ; implicit-def: $sgpr23
	v_cmpx_lt_i16_e32 0x7f, v74
	s_xor_b32 s24, exec_lo, s24
	s_cbranch_execnz .LBB6_7158
; %bb.6081:                             ;   in Loop: Header=BB6_4903 Depth=2
	s_or_saveexec_b32 s24, s24
	v_mov_b32_e32 v63, s23
	s_xor_b32 exec_lo, exec_lo, s24
	s_cbranch_execnz .LBB6_7161
.LBB6_6082:                             ;   in Loop: Header=BB6_4903 Depth=2
	s_or_b32 exec_lo, exec_lo, s24
	s_and_saveexec_b32 s23, s7
	s_cbranch_execz .LBB6_6084
.LBB6_6083:                             ;   in Loop: Header=BB6_4903 Depth=2
	v_bfe_u32 v78, v47, 3, 4
	s_delay_alu instid0(VALU_DEP_1) | instskip(SKIP_1) | instid1(VALU_DEP_1)
	v_cmp_eq_u32_e32 vcc_lo, 0, v78
	v_and_b32_e32 v63, 7, v47
	v_clz_i32_u32_e32 v74, v63
	s_delay_alu instid0(VALU_DEP_1) | instskip(NEXT) | instid1(VALU_DEP_1)
	v_min_u32_e32 v74, 32, v74
	v_subrev_nc_u32_e32 v77, 28, v74
	v_sub_nc_u32_e32 v74, 29, v74
	s_delay_alu instid0(VALU_DEP_1) | instskip(SKIP_1) | instid1(VALU_DEP_2)
	v_dual_cndmask_b32 v74, v78, v74 :: v_dual_lshlrev_b32 v77, v77, v47
	v_lshlrev_b32_e32 v47, 24, v47
	v_and_b32_e32 v77, 7, v77
	s_delay_alu instid0(VALU_DEP_3) | instskip(NEXT) | instid1(VALU_DEP_3)
	v_lshl_add_u32 v74, v74, 23, 0x3b800000
	v_and_b32_e32 v47, 0x80000000, v47
	s_delay_alu instid0(VALU_DEP_3) | instskip(NEXT) | instid1(VALU_DEP_1)
	v_cndmask_b32_e32 v63, v63, v77, vcc_lo
	v_lshlrev_b32_e32 v63, 20, v63
	s_delay_alu instid0(VALU_DEP_1)
	v_or3_b32 v63, v47, v74, v63
.LBB6_6084:                             ;   in Loop: Header=BB6_4903 Depth=2
	s_or_b32 exec_lo, exec_lo, s23
	v_lshrrev_b16 v47, 8, v20
	s_mov_b32 s7, 0
	s_mov_b32 s24, exec_lo
                                        ; implicit-def: $sgpr23
	s_delay_alu instid0(VALU_DEP_1)
	v_cmpx_lt_i16_e32 0x7f, v47
	s_xor_b32 s24, exec_lo, s24
	s_cbranch_execnz .LBB6_7162
; %bb.6085:                             ;   in Loop: Header=BB6_4903 Depth=2
	s_or_saveexec_b32 s24, s24
	v_mov_b32_e32 v74, s23
	s_xor_b32 exec_lo, exec_lo, s24
	s_cbranch_execnz .LBB6_7165
.LBB6_6086:                             ;   in Loop: Header=BB6_4903 Depth=2
	s_or_b32 exec_lo, exec_lo, s24
	s_and_saveexec_b32 s23, s7
	s_cbranch_execz .LBB6_6088
.LBB6_6087:                             ;   in Loop: Header=BB6_4903 Depth=2
	v_and_b32_e32 v74, 0xffff, v47
	v_lshlrev_b32_e32 v47, 24, v47
	s_delay_alu instid0(VALU_DEP_2) | instskip(NEXT) | instid1(VALU_DEP_2)
	v_and_b32_e32 v77, 7, v74
	v_and_b32_e32 v47, 0x80000000, v47
	s_delay_alu instid0(VALU_DEP_2) | instskip(NEXT) | instid1(VALU_DEP_1)
	v_clz_i32_u32_e32 v78, v77
	v_min_u32_e32 v78, 32, v78
	s_delay_alu instid0(VALU_DEP_1) | instskip(SKIP_1) | instid1(VALU_DEP_2)
	v_subrev_nc_u32_e32 v79, 28, v78
	v_sub_nc_u32_e32 v78, 29, v78
	v_lshlrev_b32_e32 v79, v79, v74
	v_bfe_u32 v74, v74, 3, 4
	s_delay_alu instid0(VALU_DEP_1) | instskip(NEXT) | instid1(VALU_DEP_3)
	v_cmp_eq_u32_e32 vcc_lo, 0, v74
	v_dual_cndmask_b32 v74, v74, v78 :: v_dual_and_b32 v79, 7, v79
	s_delay_alu instid0(VALU_DEP_1) | instskip(NEXT) | instid1(VALU_DEP_2)
	v_cndmask_b32_e32 v77, v77, v79, vcc_lo
	v_lshl_add_u32 v74, v74, 23, 0x3b800000
	s_delay_alu instid0(VALU_DEP_2) | instskip(NEXT) | instid1(VALU_DEP_1)
	v_lshlrev_b32_e32 v77, 20, v77
	v_or3_b32 v74, v47, v74, v77
.LBB6_6088:                             ;   in Loop: Header=BB6_4903 Depth=2
	s_or_b32 exec_lo, exec_lo, s23
	s_delay_alu instid0(VALU_DEP_1) | instskip(NEXT) | instid1(VALU_DEP_1)
	v_add_f32_e32 v63, v63, v74
	v_and_b32_e32 v47, 0x7f800000, v63
	s_delay_alu instid0(VALU_DEP_1)
	v_cmp_ne_u32_e32 vcc_lo, 0x7f800000, v47
	v_mov_b32_e32 v47, 0x80
	s_and_saveexec_b32 s23, vcc_lo
	s_cbranch_execz .LBB6_6096
; %bb.6089:                             ;   in Loop: Header=BB6_4903 Depth=2
	v_mov_b32_e32 v47, 0
	s_mov_b32 s24, exec_lo
	v_cmpx_ne_u32_e32 0, v63
	s_cbranch_execz .LBB6_6095
; %bb.6090:                             ;   in Loop: Header=BB6_4903 Depth=2
	v_bfe_u32 v47, v63, 23, 8
	s_delay_alu instid0(VALU_DEP_1) | instskip(SKIP_1) | instid1(VALU_DEP_2)
	v_sub_nc_u32_e32 v77, 0x78, v47
	v_cmp_gt_u32_e32 vcc_lo, 0x79, v47
	v_dual_cndmask_b32 v77, 0, v77 :: v_dual_and_b32 v74, 0x7fffff, v63
	s_delay_alu instid0(VALU_DEP_1) | instskip(SKIP_2) | instid1(VALU_DEP_4)
	v_or_b32_e32 v78, 0x800000, v74
	v_cmp_eq_u32_e32 vcc_lo, 0, v47
	v_add_nc_u32_e32 v47, 0xffffff89, v47
	v_cndmask_b32_e64 v77, v77, 0x77, vcc_lo
	s_delay_alu instid0(VALU_DEP_4) | instskip(NEXT) | instid1(VALU_DEP_3)
	v_cndmask_b32_e32 v74, v78, v74, vcc_lo
	v_cndmask_b32_e64 v47, v47, 0xffffff8a, vcc_lo
	s_delay_alu instid0(VALU_DEP_3) | instskip(NEXT) | instid1(VALU_DEP_3)
	v_lshl_add_u32 v78, 0x100000, v77, -1
	v_lshrrev_b32_e32 v79, v77, v74
	v_lshlrev_b32_e64 v89, v77, 0x80000
	s_delay_alu instid0(VALU_DEP_4) | instskip(NEXT) | instid1(VALU_DEP_4)
	v_add_nc_u32_e32 v77, v77, v47
	v_and_b32_e32 v74, v78, v74
	s_delay_alu instid0(VALU_DEP_4) | instskip(NEXT) | instid1(VALU_DEP_2)
	v_bfe_u32 v88, v79, 20, 1
	v_cmp_eq_u32_e64 s7, v74, v89
	s_delay_alu instid0(VALU_DEP_2) | instskip(NEXT) | instid1(VALU_DEP_1)
	v_add_nc_u32_e32 v78, -1, v88
	v_cndmask_b32_e64 v74, 0, v78, s7
	v_lshrrev_b32_e32 v78, 23, v79
	s_mov_b32 s7, exec_lo
	s_delay_alu instid0(VALU_DEP_2) | instskip(NEXT) | instid1(VALU_DEP_2)
	v_add_nc_u32_e32 v74, v74, v79
	v_xor_b32_e32 v78, 1, v78
	s_delay_alu instid0(VALU_DEP_2) | instskip(NEXT) | instid1(VALU_DEP_1)
	v_and_b32_e32 v47, 0xfffff, v74
	v_add_nc_u32_e32 v74, v47, v79
                                        ; implicit-def: $vgpr47
	s_delay_alu instid0(VALU_DEP_3)
	v_cmpx_ne_u32_e64 v77, v78
	s_xor_b32 s7, exec_lo, s7
; %bb.6091:                             ;   in Loop: Header=BB6_4903 Depth=2
	s_delay_alu instid0(VALU_DEP_2) | instskip(SKIP_2) | instid1(VALU_DEP_2)
	v_cmp_lt_u32_e32 vcc_lo, 0xffffff, v74
	v_sub_nc_u32_e32 v47, v77, v78
	v_cndmask_b32_e64 v77, 0, 1, vcc_lo
	v_add_co_ci_u32_e32 v47, vcc_lo, 0, v47, vcc_lo
	s_delay_alu instid0(VALU_DEP_2)
	v_lshrrev_b32_e32 v74, v77, v74
; %bb.6092:                             ;   in Loop: Header=BB6_4903 Depth=2
	s_and_not1_saveexec_b32 s7, s7
; %bb.6093:                             ;   in Loop: Header=BB6_4903 Depth=2
	s_delay_alu instid0(VALU_DEP_1)
	v_bfe_u32 v47, v74, 23, 1
; %bb.6094:                             ;   in Loop: Header=BB6_4903 Depth=2
	s_or_b32 exec_lo, exec_lo, s7
	v_lshrrev_b32_e32 v74, 20, v74
	s_delay_alu instid0(VALU_DEP_2) | instskip(SKIP_2) | instid1(VALU_DEP_2)
	v_cmp_gt_i32_e32 vcc_lo, 16, v47
	v_lshrrev_b32_e32 v63, 24, v63
	v_min_i32_e32 v77, 15, v47
	v_dual_cndmask_b32 v74, 7, v74 :: v_dual_and_b32 v63, 0x80, v63
	s_delay_alu instid0(VALU_DEP_2) | instskip(NEXT) | instid1(VALU_DEP_2)
	v_lshlrev_b32_e32 v77, 3, v77
	v_or_b32_e32 v47, v47, v74
	s_delay_alu instid0(VALU_DEP_1) | instskip(SKIP_1) | instid1(VALU_DEP_1)
	v_cmp_ne_u32_e32 vcc_lo, 0, v47
	v_and_b32_e32 v78, 7, v74
	v_or3_b32 v63, v77, v63, v78
	s_delay_alu instid0(VALU_DEP_1)
	v_cndmask_b32_e32 v47, 0, v63, vcc_lo
.LBB6_6095:                             ;   in Loop: Header=BB6_4903 Depth=2
	s_or_b32 exec_lo, exec_lo, s24
.LBB6_6096:                             ;   in Loop: Header=BB6_4903 Depth=2
	s_delay_alu instid0(SALU_CYCLE_1) | instskip(SKIP_3) | instid1(VALU_DEP_1)
	s_or_b32 exec_lo, exec_lo, s23
	v_and_b32_e32 v74, 0xff, v46
	s_mov_b32 s7, 0
	s_mov_b32 s24, exec_lo
                                        ; implicit-def: $sgpr23
	v_cmpx_lt_i16_e32 0x7f, v74
	s_xor_b32 s24, exec_lo, s24
	s_cbranch_execnz .LBB6_7166
; %bb.6097:                             ;   in Loop: Header=BB6_4903 Depth=2
	s_or_saveexec_b32 s24, s24
	v_mov_b32_e32 v63, s23
	s_xor_b32 exec_lo, exec_lo, s24
	s_cbranch_execnz .LBB6_7169
.LBB6_6098:                             ;   in Loop: Header=BB6_4903 Depth=2
	s_or_b32 exec_lo, exec_lo, s24
	s_and_saveexec_b32 s23, s7
	s_cbranch_execz .LBB6_6100
.LBB6_6099:                             ;   in Loop: Header=BB6_4903 Depth=2
	v_and_b32_e32 v63, 7, v46
	v_bfe_u32 v78, v46, 3, 4
	s_delay_alu instid0(VALU_DEP_2) | instskip(NEXT) | instid1(VALU_DEP_2)
	v_clz_i32_u32_e32 v74, v63
	v_cmp_eq_u32_e32 vcc_lo, 0, v78
	s_delay_alu instid0(VALU_DEP_2) | instskip(NEXT) | instid1(VALU_DEP_1)
	v_min_u32_e32 v74, 32, v74
	v_subrev_nc_u32_e32 v77, 28, v74
	v_sub_nc_u32_e32 v74, 29, v74
	s_delay_alu instid0(VALU_DEP_2) | instskip(NEXT) | instid1(VALU_DEP_1)
	v_lshlrev_b32_e32 v77, v77, v46
	v_dual_cndmask_b32 v74, v78, v74 :: v_dual_and_b32 v77, 7, v77
	v_lshlrev_b32_e32 v46, 24, v46
	s_delay_alu instid0(VALU_DEP_2) | instskip(NEXT) | instid1(VALU_DEP_2)
	v_lshl_add_u32 v74, v74, 23, 0x3b800000
	v_dual_cndmask_b32 v63, v63, v77 :: v_dual_and_b32 v46, 0x80000000, v46
	s_delay_alu instid0(VALU_DEP_1) | instskip(NEXT) | instid1(VALU_DEP_1)
	v_lshlrev_b32_e32 v63, 20, v63
	v_or3_b32 v63, v46, v74, v63
.LBB6_6100:                             ;   in Loop: Header=BB6_4903 Depth=2
	s_or_b32 exec_lo, exec_lo, s23
	v_lshrrev_b32_e32 v46, 16, v20
	s_mov_b32 s7, 0
	s_mov_b32 s24, exec_lo
                                        ; implicit-def: $sgpr23
	s_delay_alu instid0(VALU_DEP_1) | instskip(NEXT) | instid1(VALU_DEP_1)
	v_and_b32_e32 v77, 0xff, v46
	v_cmpx_lt_i16_e32 0x7f, v77
	s_xor_b32 s24, exec_lo, s24
	s_cbranch_execnz .LBB6_7170
; %bb.6101:                             ;   in Loop: Header=BB6_4903 Depth=2
	s_or_saveexec_b32 s24, s24
	v_mov_b32_e32 v74, s23
	s_xor_b32 exec_lo, exec_lo, s24
	s_cbranch_execnz .LBB6_7173
.LBB6_6102:                             ;   in Loop: Header=BB6_4903 Depth=2
	s_or_b32 exec_lo, exec_lo, s24
	s_and_saveexec_b32 s23, s7
	s_cbranch_execz .LBB6_6104
.LBB6_6103:                             ;   in Loop: Header=BB6_4903 Depth=2
	v_bfe_u32 v74, v20, 16, 3
	s_delay_alu instid0(VALU_DEP_1) | instskip(NEXT) | instid1(VALU_DEP_1)
	v_clz_i32_u32_e32 v77, v74
	v_min_u32_e32 v77, 32, v77
	s_delay_alu instid0(VALU_DEP_1) | instskip(SKIP_1) | instid1(VALU_DEP_2)
	v_subrev_nc_u32_e32 v78, 28, v77
	v_sub_nc_u32_e32 v77, 29, v77
	v_lshlrev_b32_e32 v46, v78, v46
	v_bfe_u32 v78, v20, 19, 4
	s_delay_alu instid0(VALU_DEP_1) | instskip(NEXT) | instid1(VALU_DEP_3)
	v_cmp_eq_u32_e32 vcc_lo, 0, v78
	v_dual_cndmask_b32 v77, v78, v77 :: v_dual_and_b32 v46, 7, v46
	s_delay_alu instid0(VALU_DEP_1) | instskip(NEXT) | instid1(VALU_DEP_2)
	v_dual_cndmask_b32 v46, v74, v46 :: v_dual_lshlrev_b32 v79, 8, v20
	v_lshl_add_u32 v77, v77, 23, 0x3b800000
	s_delay_alu instid0(VALU_DEP_2) | instskip(NEXT) | instid1(VALU_DEP_3)
	v_and_b32_e32 v74, 0x80000000, v79
	v_lshlrev_b32_e32 v46, 20, v46
	s_delay_alu instid0(VALU_DEP_1)
	v_or3_b32 v74, v74, v77, v46
.LBB6_6104:                             ;   in Loop: Header=BB6_4903 Depth=2
	s_or_b32 exec_lo, exec_lo, s23
	s_delay_alu instid0(VALU_DEP_1) | instskip(NEXT) | instid1(VALU_DEP_1)
	v_add_f32_e32 v63, v63, v74
	v_and_b32_e32 v46, 0x7f800000, v63
	s_delay_alu instid0(VALU_DEP_1)
	v_cmp_ne_u32_e32 vcc_lo, 0x7f800000, v46
	v_mov_b32_e32 v46, 0x80
	s_and_saveexec_b32 s23, vcc_lo
	s_cbranch_execz .LBB6_6112
; %bb.6105:                             ;   in Loop: Header=BB6_4903 Depth=2
	v_mov_b32_e32 v46, 0
	s_mov_b32 s24, exec_lo
	v_cmpx_ne_u32_e32 0, v63
	s_cbranch_execz .LBB6_6111
; %bb.6106:                             ;   in Loop: Header=BB6_4903 Depth=2
	v_bfe_u32 v46, v63, 23, 8
	s_delay_alu instid0(VALU_DEP_1) | instskip(SKIP_1) | instid1(VALU_DEP_2)
	v_sub_nc_u32_e32 v77, 0x78, v46
	v_cmp_gt_u32_e32 vcc_lo, 0x79, v46
	v_dual_cndmask_b32 v77, 0, v77 :: v_dual_and_b32 v74, 0x7fffff, v63
	s_delay_alu instid0(VALU_DEP_1) | instskip(SKIP_2) | instid1(VALU_DEP_4)
	v_or_b32_e32 v78, 0x800000, v74
	v_cmp_eq_u32_e32 vcc_lo, 0, v46
	v_add_nc_u32_e32 v46, 0xffffff89, v46
	v_cndmask_b32_e64 v77, v77, 0x77, vcc_lo
	s_delay_alu instid0(VALU_DEP_4) | instskip(NEXT) | instid1(VALU_DEP_3)
	v_cndmask_b32_e32 v74, v78, v74, vcc_lo
	v_cndmask_b32_e64 v46, v46, 0xffffff8a, vcc_lo
	s_delay_alu instid0(VALU_DEP_3) | instskip(NEXT) | instid1(VALU_DEP_3)
	v_lshl_add_u32 v78, 0x100000, v77, -1
	v_lshrrev_b32_e32 v79, v77, v74
	v_lshlrev_b32_e64 v89, v77, 0x80000
	s_delay_alu instid0(VALU_DEP_4) | instskip(NEXT) | instid1(VALU_DEP_4)
	v_add_nc_u32_e32 v77, v77, v46
	v_and_b32_e32 v74, v78, v74
	s_delay_alu instid0(VALU_DEP_4) | instskip(NEXT) | instid1(VALU_DEP_2)
	v_bfe_u32 v88, v79, 20, 1
	v_cmp_eq_u32_e64 s7, v74, v89
	s_delay_alu instid0(VALU_DEP_2) | instskip(NEXT) | instid1(VALU_DEP_1)
	v_add_nc_u32_e32 v78, -1, v88
	v_cndmask_b32_e64 v74, 0, v78, s7
	v_lshrrev_b32_e32 v78, 23, v79
	s_mov_b32 s7, exec_lo
	s_delay_alu instid0(VALU_DEP_2) | instskip(NEXT) | instid1(VALU_DEP_2)
	v_add_nc_u32_e32 v74, v74, v79
	v_xor_b32_e32 v78, 1, v78
	s_delay_alu instid0(VALU_DEP_2) | instskip(NEXT) | instid1(VALU_DEP_1)
	v_and_b32_e32 v46, 0xfffff, v74
	v_add_nc_u32_e32 v74, v46, v79
                                        ; implicit-def: $vgpr46
	s_delay_alu instid0(VALU_DEP_3)
	v_cmpx_ne_u32_e64 v77, v78
	s_xor_b32 s7, exec_lo, s7
; %bb.6107:                             ;   in Loop: Header=BB6_4903 Depth=2
	s_delay_alu instid0(VALU_DEP_2) | instskip(SKIP_2) | instid1(VALU_DEP_2)
	v_cmp_lt_u32_e32 vcc_lo, 0xffffff, v74
	v_sub_nc_u32_e32 v46, v77, v78
	v_cndmask_b32_e64 v77, 0, 1, vcc_lo
	v_add_co_ci_u32_e32 v46, vcc_lo, 0, v46, vcc_lo
	s_delay_alu instid0(VALU_DEP_2)
	v_lshrrev_b32_e32 v74, v77, v74
; %bb.6108:                             ;   in Loop: Header=BB6_4903 Depth=2
	s_and_not1_saveexec_b32 s7, s7
; %bb.6109:                             ;   in Loop: Header=BB6_4903 Depth=2
	s_delay_alu instid0(VALU_DEP_1)
	v_bfe_u32 v46, v74, 23, 1
; %bb.6110:                             ;   in Loop: Header=BB6_4903 Depth=2
	s_or_b32 exec_lo, exec_lo, s7
	v_lshrrev_b32_e32 v74, 20, v74
	s_delay_alu instid0(VALU_DEP_2) | instskip(SKIP_2) | instid1(VALU_DEP_2)
	v_cmp_gt_i32_e32 vcc_lo, 16, v46
	v_lshrrev_b32_e32 v63, 24, v63
	v_min_i32_e32 v77, 15, v46
	v_dual_cndmask_b32 v74, 7, v74 :: v_dual_and_b32 v63, 0x80, v63
	s_delay_alu instid0(VALU_DEP_1) | instskip(SKIP_1) | instid1(VALU_DEP_2)
	v_or_b32_e32 v46, v46, v74
	v_and_b32_e32 v78, 7, v74
	v_cmp_ne_u32_e32 vcc_lo, 0, v46
	v_lshlrev_b32_e32 v77, 3, v77
	s_delay_alu instid0(VALU_DEP_1) | instskip(NEXT) | instid1(VALU_DEP_1)
	v_or3_b32 v63, v77, v63, v78
	v_cndmask_b32_e32 v46, 0, v63, vcc_lo
.LBB6_6111:                             ;   in Loop: Header=BB6_4903 Depth=2
	s_or_b32 exec_lo, exec_lo, s24
.LBB6_6112:                             ;   in Loop: Header=BB6_4903 Depth=2
	s_delay_alu instid0(SALU_CYCLE_1) | instskip(SKIP_3) | instid1(VALU_DEP_1)
	s_or_b32 exec_lo, exec_lo, s23
	v_and_b32_e32 v74, 0xff, v44
	s_mov_b32 s7, 0
	s_mov_b32 s24, exec_lo
                                        ; implicit-def: $sgpr23
	v_cmpx_lt_i16_e32 0x7f, v74
	s_xor_b32 s24, exec_lo, s24
	s_cbranch_execnz .LBB6_7174
; %bb.6113:                             ;   in Loop: Header=BB6_4903 Depth=2
	s_or_saveexec_b32 s24, s24
	v_mov_b32_e32 v63, s23
	s_xor_b32 exec_lo, exec_lo, s24
	s_cbranch_execnz .LBB6_7177
.LBB6_6114:                             ;   in Loop: Header=BB6_4903 Depth=2
	s_or_b32 exec_lo, exec_lo, s24
	s_and_saveexec_b32 s23, s7
	s_cbranch_execz .LBB6_6116
.LBB6_6115:                             ;   in Loop: Header=BB6_4903 Depth=2
	v_lshlrev_b32_e32 v44, 8, v44
	s_delay_alu instid0(VALU_DEP_1) | instskip(SKIP_1) | instid1(VALU_DEP_2)
	v_and_b32_e32 v63, 0xff00, v44
	v_bfe_u32 v44, v44, 11, 4
	v_bfe_u32 v77, v63, 8, 3
	s_delay_alu instid0(VALU_DEP_2) | instskip(NEXT) | instid1(VALU_DEP_2)
	v_cmp_eq_u32_e32 vcc_lo, 0, v44
	v_clz_i32_u32_e32 v78, v77
	s_delay_alu instid0(VALU_DEP_1) | instskip(NEXT) | instid1(VALU_DEP_1)
	v_min_u32_e32 v78, 32, v78
	v_subrev_nc_u32_e32 v79, 28, v78
	v_sub_nc_u32_e32 v78, 29, v78
	s_delay_alu instid0(VALU_DEP_2) | instskip(NEXT) | instid1(VALU_DEP_2)
	v_lshlrev_b32_e32 v74, v79, v74
	v_cndmask_b32_e32 v44, v44, v78, vcc_lo
	s_delay_alu instid0(VALU_DEP_2) | instskip(SKIP_1) | instid1(VALU_DEP_3)
	v_and_b32_e32 v74, 7, v74
	v_lshlrev_b32_e32 v63, 16, v63
	v_lshl_add_u32 v44, v44, 23, 0x3b800000
	s_delay_alu instid0(VALU_DEP_2) | instskip(NEXT) | instid1(VALU_DEP_1)
	v_dual_cndmask_b32 v74, v77, v74 :: v_dual_and_b32 v63, 0x80000000, v63
	v_lshlrev_b32_e32 v74, 20, v74
	s_delay_alu instid0(VALU_DEP_1)
	v_or3_b32 v63, v63, v44, v74
.LBB6_6116:                             ;   in Loop: Header=BB6_4903 Depth=2
	s_or_b32 exec_lo, exec_lo, s23
	v_lshrrev_b32_e32 v44, 24, v20
	s_mov_b32 s7, 0
	s_mov_b32 s24, exec_lo
                                        ; implicit-def: $sgpr23
	s_delay_alu instid0(VALU_DEP_1)
	v_cmpx_lt_i16_e32 0x7f, v44
	s_xor_b32 s24, exec_lo, s24
	s_cbranch_execnz .LBB6_7178
; %bb.6117:                             ;   in Loop: Header=BB6_4903 Depth=2
	s_or_saveexec_b32 s24, s24
	v_mov_b32_e32 v74, s23
	s_xor_b32 exec_lo, exec_lo, s24
	s_cbranch_execnz .LBB6_7181
.LBB6_6118:                             ;   in Loop: Header=BB6_4903 Depth=2
	s_or_b32 exec_lo, exec_lo, s24
	s_and_saveexec_b32 s23, s7
	s_cbranch_execz .LBB6_6120
.LBB6_6119:                             ;   in Loop: Header=BB6_4903 Depth=2
	v_bfe_u32 v74, v20, 24, 3
	s_delay_alu instid0(VALU_DEP_1) | instskip(NEXT) | instid1(VALU_DEP_1)
	v_clz_i32_u32_e32 v77, v74
	v_min_u32_e32 v77, 32, v77
	s_delay_alu instid0(VALU_DEP_1) | instskip(SKIP_1) | instid1(VALU_DEP_2)
	v_subrev_nc_u32_e32 v78, 28, v77
	v_sub_nc_u32_e32 v77, 29, v77
	v_lshlrev_b32_e32 v44, v78, v44
	v_bfe_u32 v78, v20, 27, 4
	v_and_b32_e32 v20, 0x80000000, v20
	s_delay_alu instid0(VALU_DEP_2) | instskip(NEXT) | instid1(VALU_DEP_4)
	v_cmp_eq_u32_e32 vcc_lo, 0, v78
	v_dual_cndmask_b32 v77, v78, v77 :: v_dual_and_b32 v44, 7, v44
	s_delay_alu instid0(VALU_DEP_1) | instskip(NEXT) | instid1(VALU_DEP_2)
	v_cndmask_b32_e32 v44, v74, v44, vcc_lo
	v_lshl_add_u32 v74, v77, 23, 0x3b800000
	s_delay_alu instid0(VALU_DEP_2) | instskip(NEXT) | instid1(VALU_DEP_1)
	v_lshlrev_b32_e32 v44, 20, v44
	v_or3_b32 v74, v20, v74, v44
.LBB6_6120:                             ;   in Loop: Header=BB6_4903 Depth=2
	s_or_b32 exec_lo, exec_lo, s23
	s_delay_alu instid0(VALU_DEP_1) | instskip(NEXT) | instid1(VALU_DEP_1)
	v_add_f32_e32 v44, v63, v74
	v_and_b32_e32 v20, 0x7f800000, v44
	s_delay_alu instid0(VALU_DEP_1)
	v_cmp_ne_u32_e32 vcc_lo, 0x7f800000, v20
	v_mov_b32_e32 v20, 0x80
	s_and_saveexec_b32 s23, vcc_lo
	s_cbranch_execz .LBB6_6128
; %bb.6121:                             ;   in Loop: Header=BB6_4903 Depth=2
	v_mov_b32_e32 v20, 0
	s_mov_b32 s24, exec_lo
	v_cmpx_ne_u32_e32 0, v44
	s_cbranch_execz .LBB6_6127
; %bb.6122:                             ;   in Loop: Header=BB6_4903 Depth=2
	v_bfe_u32 v20, v44, 23, 8
	s_delay_alu instid0(VALU_DEP_1) | instskip(SKIP_1) | instid1(VALU_DEP_2)
	v_sub_nc_u32_e32 v74, 0x78, v20
	v_cmp_gt_u32_e32 vcc_lo, 0x79, v20
	v_dual_cndmask_b32 v74, 0, v74 :: v_dual_and_b32 v63, 0x7fffff, v44
	s_delay_alu instid0(VALU_DEP_1) | instskip(SKIP_2) | instid1(VALU_DEP_4)
	v_or_b32_e32 v77, 0x800000, v63
	v_cmp_eq_u32_e32 vcc_lo, 0, v20
	v_add_nc_u32_e32 v20, 0xffffff89, v20
	v_cndmask_b32_e64 v74, v74, 0x77, vcc_lo
	s_delay_alu instid0(VALU_DEP_4) | instskip(NEXT) | instid1(VALU_DEP_3)
	v_cndmask_b32_e32 v63, v77, v63, vcc_lo
	v_cndmask_b32_e64 v20, v20, 0xffffff8a, vcc_lo
	s_delay_alu instid0(VALU_DEP_3) | instskip(NEXT) | instid1(VALU_DEP_3)
	v_lshl_add_u32 v77, 0x100000, v74, -1
	v_lshrrev_b32_e32 v78, v74, v63
	v_lshlrev_b32_e64 v88, v74, 0x80000
	s_delay_alu instid0(VALU_DEP_4) | instskip(NEXT) | instid1(VALU_DEP_4)
	v_add_nc_u32_e32 v74, v74, v20
	v_and_b32_e32 v63, v77, v63
	s_delay_alu instid0(VALU_DEP_4) | instskip(NEXT) | instid1(VALU_DEP_2)
	v_bfe_u32 v79, v78, 20, 1
	v_cmp_eq_u32_e64 s7, v63, v88
	s_delay_alu instid0(VALU_DEP_2) | instskip(NEXT) | instid1(VALU_DEP_1)
	v_add_nc_u32_e32 v77, -1, v79
	v_cndmask_b32_e64 v63, 0, v77, s7
	v_lshrrev_b32_e32 v77, 23, v78
	s_mov_b32 s7, exec_lo
	s_delay_alu instid0(VALU_DEP_2) | instskip(NEXT) | instid1(VALU_DEP_2)
	v_add_nc_u32_e32 v63, v63, v78
	v_xor_b32_e32 v77, 1, v77
	s_delay_alu instid0(VALU_DEP_2) | instskip(NEXT) | instid1(VALU_DEP_1)
	v_and_b32_e32 v20, 0xfffff, v63
	v_add_nc_u32_e32 v63, v20, v78
                                        ; implicit-def: $vgpr20
	s_delay_alu instid0(VALU_DEP_3)
	v_cmpx_ne_u32_e64 v74, v77
	s_xor_b32 s7, exec_lo, s7
; %bb.6123:                             ;   in Loop: Header=BB6_4903 Depth=2
	s_delay_alu instid0(VALU_DEP_2) | instskip(SKIP_2) | instid1(VALU_DEP_2)
	v_cmp_lt_u32_e32 vcc_lo, 0xffffff, v63
	v_sub_nc_u32_e32 v20, v74, v77
	v_cndmask_b32_e64 v74, 0, 1, vcc_lo
	v_add_co_ci_u32_e32 v20, vcc_lo, 0, v20, vcc_lo
	s_delay_alu instid0(VALU_DEP_2)
	v_lshrrev_b32_e32 v63, v74, v63
; %bb.6124:                             ;   in Loop: Header=BB6_4903 Depth=2
	s_and_not1_saveexec_b32 s7, s7
; %bb.6125:                             ;   in Loop: Header=BB6_4903 Depth=2
	s_delay_alu instid0(VALU_DEP_1)
	v_bfe_u32 v20, v63, 23, 1
; %bb.6126:                             ;   in Loop: Header=BB6_4903 Depth=2
	s_or_b32 exec_lo, exec_lo, s7
	v_lshrrev_b32_e32 v63, 20, v63
	s_delay_alu instid0(VALU_DEP_2) | instskip(SKIP_2) | instid1(VALU_DEP_2)
	v_cmp_gt_i32_e32 vcc_lo, 16, v20
	v_lshrrev_b32_e32 v44, 24, v44
	v_min_i32_e32 v74, 15, v20
	v_dual_cndmask_b32 v63, 7, v63 :: v_dual_and_b32 v44, 0x80, v44
	s_delay_alu instid0(VALU_DEP_2) | instskip(NEXT) | instid1(VALU_DEP_2)
	v_lshlrev_b32_e32 v74, 3, v74
	v_or_b32_e32 v20, v20, v63
	s_delay_alu instid0(VALU_DEP_1) | instskip(SKIP_1) | instid1(VALU_DEP_1)
	v_cmp_ne_u32_e32 vcc_lo, 0, v20
	v_and_b32_e32 v77, 7, v63
	v_or3_b32 v44, v74, v44, v77
	s_delay_alu instid0(VALU_DEP_1)
	v_cndmask_b32_e32 v20, 0, v44, vcc_lo
.LBB6_6127:                             ;   in Loop: Header=BB6_4903 Depth=2
	s_or_b32 exec_lo, exec_lo, s24
.LBB6_6128:                             ;   in Loop: Header=BB6_4903 Depth=2
	s_delay_alu instid0(SALU_CYCLE_1) | instskip(SKIP_3) | instid1(VALU_DEP_1)
	s_or_b32 exec_lo, exec_lo, s23
	v_or_b32_e32 v56, v56, v43
	s_mov_b32 s7, 0
	s_mov_b32 s24, exec_lo
                                        ; implicit-def: $sgpr23
	v_and_b32_e32 v44, 0xff, v56
	s_delay_alu instid0(VALU_DEP_1)
	v_cmpx_lt_i16_e32 0x7f, v44
	s_xor_b32 s24, exec_lo, s24
	s_cbranch_execnz .LBB6_7182
; %bb.6129:                             ;   in Loop: Header=BB6_4903 Depth=2
	s_or_saveexec_b32 s24, s24
	v_mov_b32_e32 v43, s23
	s_xor_b32 exec_lo, exec_lo, s24
	s_cbranch_execnz .LBB6_7185
.LBB6_6130:                             ;   in Loop: Header=BB6_4903 Depth=2
	s_or_b32 exec_lo, exec_lo, s24
	s_and_saveexec_b32 s23, s7
	s_cbranch_execz .LBB6_6132
.LBB6_6131:                             ;   in Loop: Header=BB6_4903 Depth=2
	v_and_b32_e32 v43, 7, v56
	v_bfe_u32 v74, v56, 3, 4
	v_lshlrev_b32_e32 v77, 24, v56
	s_delay_alu instid0(VALU_DEP_3) | instskip(NEXT) | instid1(VALU_DEP_3)
	v_clz_i32_u32_e32 v44, v43
	v_cmp_eq_u32_e32 vcc_lo, 0, v74
	s_delay_alu instid0(VALU_DEP_2) | instskip(NEXT) | instid1(VALU_DEP_1)
	v_min_u32_e32 v44, 32, v44
	v_subrev_nc_u32_e32 v63, 28, v44
	v_sub_nc_u32_e32 v44, 29, v44
	s_delay_alu instid0(VALU_DEP_2) | instskip(NEXT) | instid1(VALU_DEP_1)
	v_lshlrev_b32_e32 v63, v63, v56
	v_dual_cndmask_b32 v44, v74, v44 :: v_dual_and_b32 v63, 7, v63
	s_delay_alu instid0(VALU_DEP_1) | instskip(NEXT) | instid1(VALU_DEP_2)
	v_lshl_add_u32 v44, v44, 23, 0x3b800000
	v_cndmask_b32_e32 v43, v43, v63, vcc_lo
	v_and_b32_e32 v63, 0x80000000, v77
	s_delay_alu instid0(VALU_DEP_2) | instskip(NEXT) | instid1(VALU_DEP_1)
	v_lshlrev_b32_e32 v43, 20, v43
	v_or3_b32 v43, v63, v44, v43
.LBB6_6132:                             ;   in Loop: Header=BB6_4903 Depth=2
	s_or_b32 exec_lo, exec_lo, s23
	v_and_b32_e32 v63, 0xff, v21
	s_mov_b32 s7, 0
	s_mov_b32 s24, exec_lo
                                        ; implicit-def: $sgpr23
	s_delay_alu instid0(VALU_DEP_1)
	v_cmpx_lt_i16_e32 0x7f, v63
	s_xor_b32 s24, exec_lo, s24
	s_cbranch_execnz .LBB6_7186
; %bb.6133:                             ;   in Loop: Header=BB6_4903 Depth=2
	s_or_saveexec_b32 s24, s24
	v_mov_b32_e32 v44, s23
	s_xor_b32 exec_lo, exec_lo, s24
	s_cbranch_execnz .LBB6_7189
.LBB6_6134:                             ;   in Loop: Header=BB6_4903 Depth=2
	s_or_b32 exec_lo, exec_lo, s24
	s_and_saveexec_b32 s23, s7
	s_cbranch_execz .LBB6_6136
.LBB6_6135:                             ;   in Loop: Header=BB6_4903 Depth=2
	v_bfe_u32 v77, v21, 3, 4
	v_lshlrev_b32_e32 v78, 24, v21
	s_delay_alu instid0(VALU_DEP_2) | instskip(SKIP_1) | instid1(VALU_DEP_1)
	v_cmp_eq_u32_e32 vcc_lo, 0, v77
	v_and_b32_e32 v44, 7, v21
	v_clz_i32_u32_e32 v63, v44
	s_delay_alu instid0(VALU_DEP_1) | instskip(NEXT) | instid1(VALU_DEP_1)
	v_min_u32_e32 v63, 32, v63
	v_subrev_nc_u32_e32 v74, 28, v63
	v_sub_nc_u32_e32 v63, 29, v63
	s_delay_alu instid0(VALU_DEP_1) | instskip(NEXT) | instid1(VALU_DEP_1)
	v_dual_cndmask_b32 v63, v77, v63 :: v_dual_lshlrev_b32 v74, v74, v21
	v_and_b32_e32 v74, 7, v74
	s_delay_alu instid0(VALU_DEP_2) | instskip(NEXT) | instid1(VALU_DEP_2)
	v_lshl_add_u32 v63, v63, 23, 0x3b800000
	v_cndmask_b32_e32 v44, v44, v74, vcc_lo
	v_and_b32_e32 v74, 0x80000000, v78
	s_delay_alu instid0(VALU_DEP_2) | instskip(NEXT) | instid1(VALU_DEP_1)
	v_lshlrev_b32_e32 v44, 20, v44
	v_or3_b32 v44, v74, v63, v44
.LBB6_6136:                             ;   in Loop: Header=BB6_4903 Depth=2
	s_or_b32 exec_lo, exec_lo, s23
	s_delay_alu instid0(VALU_DEP_1) | instskip(NEXT) | instid1(VALU_DEP_1)
	v_add_f32_e32 v44, v43, v44
	v_and_b32_e32 v43, 0x7f800000, v44
	s_delay_alu instid0(VALU_DEP_1)
	v_cmp_ne_u32_e32 vcc_lo, 0x7f800000, v43
	v_mov_b32_e32 v43, 0x80
	s_and_saveexec_b32 s23, vcc_lo
	s_cbranch_execz .LBB6_6144
; %bb.6137:                             ;   in Loop: Header=BB6_4903 Depth=2
	v_mov_b32_e32 v43, 0
	s_mov_b32 s24, exec_lo
	v_cmpx_ne_u32_e32 0, v44
	s_cbranch_execz .LBB6_6143
; %bb.6138:                             ;   in Loop: Header=BB6_4903 Depth=2
	v_bfe_u32 v43, v44, 23, 8
	s_delay_alu instid0(VALU_DEP_1) | instskip(SKIP_1) | instid1(VALU_DEP_2)
	v_sub_nc_u32_e32 v74, 0x78, v43
	v_cmp_gt_u32_e32 vcc_lo, 0x79, v43
	v_dual_cndmask_b32 v74, 0, v74 :: v_dual_and_b32 v63, 0x7fffff, v44
	s_delay_alu instid0(VALU_DEP_1) | instskip(SKIP_2) | instid1(VALU_DEP_4)
	v_or_b32_e32 v77, 0x800000, v63
	v_cmp_eq_u32_e32 vcc_lo, 0, v43
	v_add_nc_u32_e32 v43, 0xffffff89, v43
	v_cndmask_b32_e64 v74, v74, 0x77, vcc_lo
	s_delay_alu instid0(VALU_DEP_4) | instskip(NEXT) | instid1(VALU_DEP_3)
	v_cndmask_b32_e32 v63, v77, v63, vcc_lo
	v_cndmask_b32_e64 v43, v43, 0xffffff8a, vcc_lo
	s_delay_alu instid0(VALU_DEP_3) | instskip(NEXT) | instid1(VALU_DEP_3)
	v_lshl_add_u32 v77, 0x100000, v74, -1
	v_lshrrev_b32_e32 v78, v74, v63
	v_lshlrev_b32_e64 v88, v74, 0x80000
	s_delay_alu instid0(VALU_DEP_4) | instskip(NEXT) | instid1(VALU_DEP_4)
	v_add_nc_u32_e32 v74, v74, v43
	v_and_b32_e32 v63, v77, v63
	s_delay_alu instid0(VALU_DEP_4) | instskip(NEXT) | instid1(VALU_DEP_2)
	v_bfe_u32 v79, v78, 20, 1
	v_cmp_eq_u32_e64 s7, v63, v88
	s_delay_alu instid0(VALU_DEP_2) | instskip(NEXT) | instid1(VALU_DEP_1)
	v_add_nc_u32_e32 v77, -1, v79
	v_cndmask_b32_e64 v63, 0, v77, s7
	v_lshrrev_b32_e32 v77, 23, v78
	s_mov_b32 s7, exec_lo
	s_delay_alu instid0(VALU_DEP_2) | instskip(NEXT) | instid1(VALU_DEP_2)
	v_add_nc_u32_e32 v63, v63, v78
	v_xor_b32_e32 v77, 1, v77
	s_delay_alu instid0(VALU_DEP_2) | instskip(NEXT) | instid1(VALU_DEP_1)
	v_and_b32_e32 v43, 0xfffff, v63
	v_add_nc_u32_e32 v63, v43, v78
                                        ; implicit-def: $vgpr43
	s_delay_alu instid0(VALU_DEP_3)
	v_cmpx_ne_u32_e64 v74, v77
	s_xor_b32 s7, exec_lo, s7
; %bb.6139:                             ;   in Loop: Header=BB6_4903 Depth=2
	s_delay_alu instid0(VALU_DEP_2) | instskip(SKIP_2) | instid1(VALU_DEP_2)
	v_cmp_lt_u32_e32 vcc_lo, 0xffffff, v63
	v_sub_nc_u32_e32 v43, v74, v77
	v_cndmask_b32_e64 v74, 0, 1, vcc_lo
	v_add_co_ci_u32_e32 v43, vcc_lo, 0, v43, vcc_lo
	s_delay_alu instid0(VALU_DEP_2)
	v_lshrrev_b32_e32 v63, v74, v63
; %bb.6140:                             ;   in Loop: Header=BB6_4903 Depth=2
	s_and_not1_saveexec_b32 s7, s7
; %bb.6141:                             ;   in Loop: Header=BB6_4903 Depth=2
	s_delay_alu instid0(VALU_DEP_1)
	v_bfe_u32 v43, v63, 23, 1
; %bb.6142:                             ;   in Loop: Header=BB6_4903 Depth=2
	s_or_b32 exec_lo, exec_lo, s7
	v_lshrrev_b32_e32 v63, 20, v63
	s_delay_alu instid0(VALU_DEP_2) | instskip(SKIP_2) | instid1(VALU_DEP_2)
	v_cmp_gt_i32_e32 vcc_lo, 16, v43
	v_lshrrev_b32_e32 v44, 24, v44
	v_min_i32_e32 v74, 15, v43
	v_dual_cndmask_b32 v63, 7, v63 :: v_dual_and_b32 v44, 0x80, v44
	s_delay_alu instid0(VALU_DEP_1) | instskip(SKIP_1) | instid1(VALU_DEP_2)
	v_or_b32_e32 v43, v43, v63
	v_and_b32_e32 v77, 7, v63
	v_cmp_ne_u32_e32 vcc_lo, 0, v43
	v_lshlrev_b32_e32 v74, 3, v74
	s_delay_alu instid0(VALU_DEP_1) | instskip(NEXT) | instid1(VALU_DEP_1)
	v_or3_b32 v44, v74, v44, v77
	v_cndmask_b32_e32 v43, 0, v44, vcc_lo
.LBB6_6143:                             ;   in Loop: Header=BB6_4903 Depth=2
	s_or_b32 exec_lo, exec_lo, s24
.LBB6_6144:                             ;   in Loop: Header=BB6_4903 Depth=2
	s_delay_alu instid0(SALU_CYCLE_1) | instskip(SKIP_3) | instid1(VALU_DEP_1)
	s_or_b32 exec_lo, exec_lo, s23
	v_lshrrev_b16 v63, 8, v56
	s_mov_b32 s7, 0
	s_mov_b32 s24, exec_lo
                                        ; implicit-def: $sgpr23
	v_cmpx_lt_i16_e32 0x7f, v63
	s_xor_b32 s24, exec_lo, s24
	s_cbranch_execnz .LBB6_7190
; %bb.6145:                             ;   in Loop: Header=BB6_4903 Depth=2
	s_or_saveexec_b32 s24, s24
	v_mov_b32_e32 v44, s23
	s_xor_b32 exec_lo, exec_lo, s24
	s_cbranch_execnz .LBB6_7193
.LBB6_6146:                             ;   in Loop: Header=BB6_4903 Depth=2
	s_or_b32 exec_lo, exec_lo, s24
	s_and_saveexec_b32 s23, s7
	s_cbranch_execz .LBB6_6148
.LBB6_6147:                             ;   in Loop: Header=BB6_4903 Depth=2
	v_and_b32_e32 v44, 0xffff, v63
	s_delay_alu instid0(VALU_DEP_1) | instskip(NEXT) | instid1(VALU_DEP_1)
	v_and_b32_e32 v74, 7, v44
	v_clz_i32_u32_e32 v77, v74
	s_delay_alu instid0(VALU_DEP_1) | instskip(NEXT) | instid1(VALU_DEP_1)
	v_min_u32_e32 v77, 32, v77
	v_subrev_nc_u32_e32 v78, 28, v77
	v_sub_nc_u32_e32 v77, 29, v77
	s_delay_alu instid0(VALU_DEP_2) | instskip(SKIP_1) | instid1(VALU_DEP_2)
	v_lshlrev_b32_e32 v78, v78, v44
	v_bfe_u32 v44, v44, 3, 4
	v_and_b32_e32 v78, 7, v78
	s_delay_alu instid0(VALU_DEP_2) | instskip(SKIP_1) | instid1(VALU_DEP_1)
	v_cmp_eq_u32_e32 vcc_lo, 0, v44
	v_dual_cndmask_b32 v44, v44, v77 :: v_dual_lshlrev_b32 v63, 24, v63
	v_dual_cndmask_b32 v74, v74, v78 :: v_dual_and_b32 v63, 0x80000000, v63
	s_delay_alu instid0(VALU_DEP_2) | instskip(NEXT) | instid1(VALU_DEP_2)
	v_lshl_add_u32 v44, v44, 23, 0x3b800000
	v_lshlrev_b32_e32 v74, 20, v74
	s_delay_alu instid0(VALU_DEP_1)
	v_or3_b32 v44, v63, v44, v74
.LBB6_6148:                             ;   in Loop: Header=BB6_4903 Depth=2
	s_or_b32 exec_lo, exec_lo, s23
	v_lshrrev_b16 v63, 8, v21
	s_mov_b32 s7, 0
	s_mov_b32 s24, exec_lo
                                        ; implicit-def: $sgpr23
	s_delay_alu instid0(VALU_DEP_1)
	v_cmpx_lt_i16_e32 0x7f, v63
	s_xor_b32 s24, exec_lo, s24
	s_cbranch_execnz .LBB6_7194
; %bb.6149:                             ;   in Loop: Header=BB6_4903 Depth=2
	s_or_saveexec_b32 s24, s24
	v_mov_b32_e32 v74, s23
	s_xor_b32 exec_lo, exec_lo, s24
	s_cbranch_execnz .LBB6_7197
.LBB6_6150:                             ;   in Loop: Header=BB6_4903 Depth=2
	s_or_b32 exec_lo, exec_lo, s24
	s_and_saveexec_b32 s23, s7
	s_cbranch_execz .LBB6_6152
.LBB6_6151:                             ;   in Loop: Header=BB6_4903 Depth=2
	v_and_b32_e32 v74, 0xffff, v63
	v_lshlrev_b32_e32 v63, 24, v63
	s_delay_alu instid0(VALU_DEP_2) | instskip(NEXT) | instid1(VALU_DEP_2)
	v_and_b32_e32 v77, 7, v74
	v_and_b32_e32 v63, 0x80000000, v63
	s_delay_alu instid0(VALU_DEP_2) | instskip(NEXT) | instid1(VALU_DEP_1)
	v_clz_i32_u32_e32 v78, v77
	v_min_u32_e32 v78, 32, v78
	s_delay_alu instid0(VALU_DEP_1) | instskip(SKIP_1) | instid1(VALU_DEP_2)
	v_subrev_nc_u32_e32 v79, 28, v78
	v_sub_nc_u32_e32 v78, 29, v78
	v_lshlrev_b32_e32 v79, v79, v74
	v_bfe_u32 v74, v74, 3, 4
	s_delay_alu instid0(VALU_DEP_1) | instskip(NEXT) | instid1(VALU_DEP_3)
	v_cmp_eq_u32_e32 vcc_lo, 0, v74
	v_dual_cndmask_b32 v74, v74, v78 :: v_dual_and_b32 v79, 7, v79
	s_delay_alu instid0(VALU_DEP_1) | instskip(NEXT) | instid1(VALU_DEP_2)
	v_cndmask_b32_e32 v77, v77, v79, vcc_lo
	v_lshl_add_u32 v74, v74, 23, 0x3b800000
	s_delay_alu instid0(VALU_DEP_2) | instskip(NEXT) | instid1(VALU_DEP_1)
	v_lshlrev_b32_e32 v77, 20, v77
	v_or3_b32 v74, v63, v74, v77
.LBB6_6152:                             ;   in Loop: Header=BB6_4903 Depth=2
	s_or_b32 exec_lo, exec_lo, s23
	s_delay_alu instid0(VALU_DEP_1) | instskip(NEXT) | instid1(VALU_DEP_1)
	v_add_f32_e32 v63, v44, v74
	v_and_b32_e32 v44, 0x7f800000, v63
	s_delay_alu instid0(VALU_DEP_1)
	v_cmp_ne_u32_e32 vcc_lo, 0x7f800000, v44
	v_mov_b32_e32 v44, 0x8000
	s_and_saveexec_b32 s23, vcc_lo
	s_cbranch_execz .LBB6_6160
; %bb.6153:                             ;   in Loop: Header=BB6_4903 Depth=2
	v_mov_b32_e32 v44, 0
	s_mov_b32 s24, exec_lo
	v_cmpx_ne_u32_e32 0, v63
	s_cbranch_execz .LBB6_6159
; %bb.6154:                             ;   in Loop: Header=BB6_4903 Depth=2
	v_bfe_u32 v44, v63, 23, 8
	s_delay_alu instid0(VALU_DEP_1) | instskip(SKIP_1) | instid1(VALU_DEP_2)
	v_sub_nc_u32_e32 v77, 0x78, v44
	v_cmp_gt_u32_e32 vcc_lo, 0x79, v44
	v_dual_cndmask_b32 v77, 0, v77 :: v_dual_and_b32 v74, 0x7fffff, v63
	s_delay_alu instid0(VALU_DEP_1) | instskip(SKIP_2) | instid1(VALU_DEP_4)
	v_or_b32_e32 v78, 0x800000, v74
	v_cmp_eq_u32_e32 vcc_lo, 0, v44
	v_add_nc_u32_e32 v44, 0xffffff89, v44
	v_cndmask_b32_e64 v77, v77, 0x77, vcc_lo
	s_delay_alu instid0(VALU_DEP_2) | instskip(SKIP_1) | instid1(VALU_DEP_3)
	v_cndmask_b32_e64 v44, v44, 0xffffff8a, vcc_lo
	v_cndmask_b32_e32 v74, v78, v74, vcc_lo
	v_lshl_add_u32 v78, 0x100000, v77, -1
	v_lshlrev_b32_e64 v89, v77, 0x80000
	s_delay_alu instid0(VALU_DEP_3) | instskip(SKIP_1) | instid1(VALU_DEP_4)
	v_lshrrev_b32_e32 v79, v77, v74
	v_add_nc_u32_e32 v77, v77, v44
	v_and_b32_e32 v74, v78, v74
	s_delay_alu instid0(VALU_DEP_3) | instskip(NEXT) | instid1(VALU_DEP_2)
	v_bfe_u32 v88, v79, 20, 1
	v_cmp_eq_u32_e64 s7, v74, v89
	s_delay_alu instid0(VALU_DEP_2) | instskip(NEXT) | instid1(VALU_DEP_1)
	v_add_nc_u32_e32 v78, -1, v88
	v_cndmask_b32_e64 v74, 0, v78, s7
	v_lshrrev_b32_e32 v78, 23, v79
	s_mov_b32 s7, exec_lo
	s_delay_alu instid0(VALU_DEP_2) | instskip(NEXT) | instid1(VALU_DEP_2)
	v_add_nc_u32_e32 v74, v74, v79
	v_xor_b32_e32 v78, 1, v78
	s_delay_alu instid0(VALU_DEP_2) | instskip(NEXT) | instid1(VALU_DEP_1)
	v_and_b32_e32 v44, 0xfffff, v74
	v_add_nc_u32_e32 v74, v44, v79
                                        ; implicit-def: $vgpr44
	s_delay_alu instid0(VALU_DEP_3)
	v_cmpx_ne_u32_e64 v77, v78
	s_xor_b32 s7, exec_lo, s7
; %bb.6155:                             ;   in Loop: Header=BB6_4903 Depth=2
	s_delay_alu instid0(VALU_DEP_2) | instskip(SKIP_2) | instid1(VALU_DEP_2)
	v_cmp_lt_u32_e32 vcc_lo, 0xffffff, v74
	v_sub_nc_u32_e32 v44, v77, v78
	v_cndmask_b32_e64 v77, 0, 1, vcc_lo
	v_add_co_ci_u32_e32 v44, vcc_lo, 0, v44, vcc_lo
	s_delay_alu instid0(VALU_DEP_2)
	v_lshrrev_b32_e32 v74, v77, v74
; %bb.6156:                             ;   in Loop: Header=BB6_4903 Depth=2
	s_and_not1_saveexec_b32 s7, s7
; %bb.6157:                             ;   in Loop: Header=BB6_4903 Depth=2
	s_delay_alu instid0(VALU_DEP_1)
	v_bfe_u32 v44, v74, 23, 1
; %bb.6158:                             ;   in Loop: Header=BB6_4903 Depth=2
	s_or_b32 exec_lo, exec_lo, s7
	v_lshrrev_b32_e32 v74, 20, v74
	s_delay_alu instid0(VALU_DEP_2) | instskip(SKIP_2) | instid1(VALU_DEP_2)
	v_cmp_gt_i32_e32 vcc_lo, 16, v44
	v_min_i32_e32 v77, 15, v44
	v_lshrrev_b32_e32 v63, 24, v63
	v_dual_cndmask_b32 v74, 7, v74 :: v_dual_lshlrev_b32 v77, 3, v77
	s_delay_alu instid0(VALU_DEP_2) | instskip(NEXT) | instid1(VALU_DEP_2)
	v_and_b32_e32 v63, 0x80, v63
	v_or_b32_e32 v44, v44, v74
	v_and_b32_e32 v78, 7, v74
	s_delay_alu instid0(VALU_DEP_2) | instskip(SKIP_1) | instid1(VALU_DEP_1)
	v_cmp_ne_u32_e32 vcc_lo, 0, v44
	v_and_b32_e32 v77, 0xf8, v77
	v_or3_b32 v63, v63, v77, v78
	s_delay_alu instid0(VALU_DEP_1) | instskip(NEXT) | instid1(VALU_DEP_1)
	v_lshlrev_b32_e32 v63, 8, v63
	v_cndmask_b32_e32 v44, 0, v63, vcc_lo
.LBB6_6159:                             ;   in Loop: Header=BB6_4903 Depth=2
	s_or_b32 exec_lo, exec_lo, s24
.LBB6_6160:                             ;   in Loop: Header=BB6_4903 Depth=2
	s_delay_alu instid0(SALU_CYCLE_1) | instskip(SKIP_3) | instid1(VALU_DEP_1)
	s_or_b32 exec_lo, exec_lo, s23
	v_or_b32_e32 v45, v45, v42
	s_mov_b32 s7, 0
	s_mov_b32 s24, exec_lo
                                        ; implicit-def: $sgpr23
	v_and_b32_e32 v63, 0xff, v45
	s_delay_alu instid0(VALU_DEP_1)
	v_cmpx_lt_i16_e32 0x7f, v63
	s_xor_b32 s24, exec_lo, s24
	s_cbranch_execnz .LBB6_7198
; %bb.6161:                             ;   in Loop: Header=BB6_4903 Depth=2
	s_or_saveexec_b32 s24, s24
	v_mov_b32_e32 v42, s23
	s_xor_b32 exec_lo, exec_lo, s24
	s_cbranch_execnz .LBB6_7201
.LBB6_6162:                             ;   in Loop: Header=BB6_4903 Depth=2
	s_or_b32 exec_lo, exec_lo, s24
	v_lshl_or_b32 v45, v45, 16, v56
	s_and_saveexec_b32 s23, s7
	s_cbranch_execz .LBB6_6164
.LBB6_6163:                             ;   in Loop: Header=BB6_4903 Depth=2
	s_delay_alu instid0(VALU_DEP_1) | instskip(SKIP_1) | instid1(VALU_DEP_2)
	v_bfe_u32 v42, v45, 16, 3
	v_lshrrev_b32_e32 v63, 16, v45
	v_clz_i32_u32_e32 v56, v42
	s_delay_alu instid0(VALU_DEP_1) | instskip(NEXT) | instid1(VALU_DEP_1)
	v_min_u32_e32 v56, 32, v56
	v_subrev_nc_u32_e32 v74, 28, v56
	v_sub_nc_u32_e32 v56, 29, v56
	s_delay_alu instid0(VALU_DEP_2) | instskip(SKIP_1) | instid1(VALU_DEP_1)
	v_lshlrev_b32_e32 v63, v74, v63
	v_bfe_u32 v74, v45, 19, 4
	v_cmp_eq_u32_e32 vcc_lo, 0, v74
	s_delay_alu instid0(VALU_DEP_3) | instskip(NEXT) | instid1(VALU_DEP_1)
	v_dual_cndmask_b32 v56, v74, v56 :: v_dual_and_b32 v63, 7, v63
	v_dual_cndmask_b32 v42, v42, v63 :: v_dual_lshlrev_b32 v77, 8, v45
	s_delay_alu instid0(VALU_DEP_2) | instskip(NEXT) | instid1(VALU_DEP_2)
	v_lshl_add_u32 v56, v56, 23, 0x3b800000
	v_and_b32_e32 v63, 0x80000000, v77
	s_delay_alu instid0(VALU_DEP_3) | instskip(NEXT) | instid1(VALU_DEP_1)
	v_lshlrev_b32_e32 v42, 20, v42
	v_or3_b32 v42, v63, v56, v42
.LBB6_6164:                             ;   in Loop: Header=BB6_4903 Depth=2
	s_or_b32 exec_lo, exec_lo, s23
	v_lshrrev_b32_e32 v56, 16, v21
	s_mov_b32 s7, 0
	s_mov_b32 s24, exec_lo
                                        ; implicit-def: $sgpr23
	s_delay_alu instid0(VALU_DEP_1) | instskip(NEXT) | instid1(VALU_DEP_1)
	v_and_b32_e32 v74, 0xff, v56
	v_cmpx_lt_i16_e32 0x7f, v74
	s_xor_b32 s24, exec_lo, s24
	s_cbranch_execnz .LBB6_7202
; %bb.6165:                             ;   in Loop: Header=BB6_4903 Depth=2
	s_or_saveexec_b32 s24, s24
	v_mov_b32_e32 v63, s23
	s_xor_b32 exec_lo, exec_lo, s24
	s_cbranch_execnz .LBB6_7205
.LBB6_6166:                             ;   in Loop: Header=BB6_4903 Depth=2
	s_or_b32 exec_lo, exec_lo, s24
	s_and_saveexec_b32 s23, s7
	s_cbranch_execz .LBB6_6168
.LBB6_6167:                             ;   in Loop: Header=BB6_4903 Depth=2
	v_bfe_u32 v63, v21, 16, 3
	v_lshlrev_b32_e32 v78, 8, v21
	s_delay_alu instid0(VALU_DEP_2) | instskip(NEXT) | instid1(VALU_DEP_1)
	v_clz_i32_u32_e32 v74, v63
	v_min_u32_e32 v74, 32, v74
	s_delay_alu instid0(VALU_DEP_1) | instskip(SKIP_1) | instid1(VALU_DEP_2)
	v_subrev_nc_u32_e32 v77, 28, v74
	v_sub_nc_u32_e32 v74, 29, v74
	v_lshlrev_b32_e32 v56, v77, v56
	v_bfe_u32 v77, v21, 19, 4
	s_delay_alu instid0(VALU_DEP_2) | instskip(NEXT) | instid1(VALU_DEP_2)
	v_and_b32_e32 v56, 7, v56
	v_cmp_eq_u32_e32 vcc_lo, 0, v77
	v_cndmask_b32_e32 v74, v77, v74, vcc_lo
	s_delay_alu instid0(VALU_DEP_3) | instskip(NEXT) | instid1(VALU_DEP_2)
	v_dual_cndmask_b32 v56, v63, v56 :: v_dual_and_b32 v63, 0x80000000, v78
	v_lshl_add_u32 v74, v74, 23, 0x3b800000
	s_delay_alu instid0(VALU_DEP_2) | instskip(NEXT) | instid1(VALU_DEP_1)
	v_lshlrev_b32_e32 v56, 20, v56
	v_or3_b32 v63, v63, v74, v56
.LBB6_6168:                             ;   in Loop: Header=BB6_4903 Depth=2
	s_or_b32 exec_lo, exec_lo, s23
	s_delay_alu instid0(VALU_DEP_1) | instskip(NEXT) | instid1(VALU_DEP_1)
	v_add_f32_e32 v56, v42, v63
	v_and_b32_e32 v42, 0x7f800000, v56
	s_delay_alu instid0(VALU_DEP_1)
	v_cmp_ne_u32_e32 vcc_lo, 0x7f800000, v42
	v_mov_b32_e32 v42, 0x80
	s_and_saveexec_b32 s23, vcc_lo
	s_cbranch_execz .LBB6_6176
; %bb.6169:                             ;   in Loop: Header=BB6_4903 Depth=2
	v_mov_b32_e32 v42, 0
	s_mov_b32 s24, exec_lo
	v_cmpx_ne_u32_e32 0, v56
	s_cbranch_execz .LBB6_6175
; %bb.6170:                             ;   in Loop: Header=BB6_4903 Depth=2
	v_bfe_u32 v42, v56, 23, 8
	s_delay_alu instid0(VALU_DEP_1) | instskip(SKIP_1) | instid1(VALU_DEP_2)
	v_sub_nc_u32_e32 v74, 0x78, v42
	v_cmp_gt_u32_e32 vcc_lo, 0x79, v42
	v_dual_cndmask_b32 v74, 0, v74 :: v_dual_and_b32 v63, 0x7fffff, v56
	s_delay_alu instid0(VALU_DEP_1) | instskip(SKIP_2) | instid1(VALU_DEP_4)
	v_or_b32_e32 v77, 0x800000, v63
	v_cmp_eq_u32_e32 vcc_lo, 0, v42
	v_add_nc_u32_e32 v42, 0xffffff89, v42
	v_cndmask_b32_e64 v74, v74, 0x77, vcc_lo
	s_delay_alu instid0(VALU_DEP_4) | instskip(NEXT) | instid1(VALU_DEP_3)
	v_cndmask_b32_e32 v63, v77, v63, vcc_lo
	v_cndmask_b32_e64 v42, v42, 0xffffff8a, vcc_lo
	s_delay_alu instid0(VALU_DEP_3) | instskip(NEXT) | instid1(VALU_DEP_3)
	v_lshl_add_u32 v77, 0x100000, v74, -1
	v_lshrrev_b32_e32 v78, v74, v63
	v_lshlrev_b32_e64 v88, v74, 0x80000
	s_delay_alu instid0(VALU_DEP_4) | instskip(NEXT) | instid1(VALU_DEP_4)
	v_add_nc_u32_e32 v74, v74, v42
	v_and_b32_e32 v63, v77, v63
	s_delay_alu instid0(VALU_DEP_4) | instskip(NEXT) | instid1(VALU_DEP_2)
	v_bfe_u32 v79, v78, 20, 1
	v_cmp_eq_u32_e64 s7, v63, v88
	s_delay_alu instid0(VALU_DEP_2) | instskip(NEXT) | instid1(VALU_DEP_1)
	v_add_nc_u32_e32 v77, -1, v79
	v_cndmask_b32_e64 v63, 0, v77, s7
	v_lshrrev_b32_e32 v77, 23, v78
	s_mov_b32 s7, exec_lo
	s_delay_alu instid0(VALU_DEP_2) | instskip(NEXT) | instid1(VALU_DEP_2)
	v_add_nc_u32_e32 v63, v63, v78
	v_xor_b32_e32 v77, 1, v77
	s_delay_alu instid0(VALU_DEP_2) | instskip(NEXT) | instid1(VALU_DEP_1)
	v_and_b32_e32 v42, 0xfffff, v63
	v_add_nc_u32_e32 v63, v42, v78
                                        ; implicit-def: $vgpr42
	s_delay_alu instid0(VALU_DEP_3)
	v_cmpx_ne_u32_e64 v74, v77
	s_xor_b32 s7, exec_lo, s7
; %bb.6171:                             ;   in Loop: Header=BB6_4903 Depth=2
	s_delay_alu instid0(VALU_DEP_2) | instskip(SKIP_2) | instid1(VALU_DEP_2)
	v_cmp_lt_u32_e32 vcc_lo, 0xffffff, v63
	v_sub_nc_u32_e32 v42, v74, v77
	v_cndmask_b32_e64 v74, 0, 1, vcc_lo
	v_add_co_ci_u32_e32 v42, vcc_lo, 0, v42, vcc_lo
	s_delay_alu instid0(VALU_DEP_2)
	v_lshrrev_b32_e32 v63, v74, v63
; %bb.6172:                             ;   in Loop: Header=BB6_4903 Depth=2
	s_and_not1_saveexec_b32 s7, s7
; %bb.6173:                             ;   in Loop: Header=BB6_4903 Depth=2
	s_delay_alu instid0(VALU_DEP_1)
	v_bfe_u32 v42, v63, 23, 1
; %bb.6174:                             ;   in Loop: Header=BB6_4903 Depth=2
	s_or_b32 exec_lo, exec_lo, s7
	v_lshrrev_b32_e32 v63, 20, v63
	s_delay_alu instid0(VALU_DEP_2) | instskip(SKIP_2) | instid1(VALU_DEP_2)
	v_cmp_gt_i32_e32 vcc_lo, 16, v42
	v_min_i32_e32 v74, 15, v42
	v_lshrrev_b32_e32 v56, 24, v56
	v_dual_cndmask_b32 v63, 7, v63 :: v_dual_lshlrev_b32 v74, 3, v74
	s_delay_alu instid0(VALU_DEP_2) | instskip(NEXT) | instid1(VALU_DEP_2)
	v_and_b32_e32 v56, 0x80, v56
	v_or_b32_e32 v42, v42, v63
	s_delay_alu instid0(VALU_DEP_3) | instskip(NEXT) | instid1(VALU_DEP_2)
	v_and_b32_e32 v74, 0xf8, v74
	v_cmp_ne_u32_e32 vcc_lo, 0, v42
	v_and_b32_e32 v77, 7, v63
	s_delay_alu instid0(VALU_DEP_1) | instskip(NEXT) | instid1(VALU_DEP_1)
	v_or3_b32 v56, v74, v56, v77
	v_cndmask_b32_e32 v42, 0, v56, vcc_lo
.LBB6_6175:                             ;   in Loop: Header=BB6_4903 Depth=2
	s_or_b32 exec_lo, exec_lo, s24
.LBB6_6176:                             ;   in Loop: Header=BB6_4903 Depth=2
	s_delay_alu instid0(SALU_CYCLE_1) | instskip(SKIP_3) | instid1(VALU_DEP_1)
	s_or_b32 exec_lo, exec_lo, s23
	v_lshrrev_b32_e32 v63, 24, v45
	s_mov_b32 s7, 0
	s_mov_b32 s24, exec_lo
                                        ; implicit-def: $sgpr23
	v_cmpx_lt_i16_e32 0x7f, v63
	s_xor_b32 s24, exec_lo, s24
	s_cbranch_execnz .LBB6_7206
; %bb.6177:                             ;   in Loop: Header=BB6_4903 Depth=2
	s_or_saveexec_b32 s24, s24
	v_mov_b32_e32 v56, s23
	s_xor_b32 exec_lo, exec_lo, s24
	s_cbranch_execnz .LBB6_7209
.LBB6_6178:                             ;   in Loop: Header=BB6_4903 Depth=2
	s_or_b32 exec_lo, exec_lo, s24
	s_and_saveexec_b32 s23, s7
	s_cbranch_execz .LBB6_6180
.LBB6_6179:                             ;   in Loop: Header=BB6_4903 Depth=2
	v_bfe_u32 v56, v45, 24, 3
	s_delay_alu instid0(VALU_DEP_1) | instskip(NEXT) | instid1(VALU_DEP_1)
	v_clz_i32_u32_e32 v74, v56
	v_min_u32_e32 v74, 32, v74
	s_delay_alu instid0(VALU_DEP_1) | instskip(SKIP_1) | instid1(VALU_DEP_2)
	v_subrev_nc_u32_e32 v77, 28, v74
	v_sub_nc_u32_e32 v74, 29, v74
	v_lshlrev_b32_e32 v63, v77, v63
	v_bfe_u32 v77, v45, 27, 4
	v_and_b32_e32 v45, 0x80000000, v45
	s_delay_alu instid0(VALU_DEP_2) | instskip(NEXT) | instid1(VALU_DEP_4)
	v_cmp_eq_u32_e32 vcc_lo, 0, v77
	v_dual_cndmask_b32 v74, v77, v74 :: v_dual_and_b32 v63, 7, v63
	s_delay_alu instid0(VALU_DEP_1) | instskip(NEXT) | instid1(VALU_DEP_2)
	v_cndmask_b32_e32 v56, v56, v63, vcc_lo
	v_lshl_add_u32 v63, v74, 23, 0x3b800000
	s_delay_alu instid0(VALU_DEP_2) | instskip(NEXT) | instid1(VALU_DEP_1)
	v_lshlrev_b32_e32 v56, 20, v56
	v_or3_b32 v56, v45, v63, v56
.LBB6_6180:                             ;   in Loop: Header=BB6_4903 Depth=2
	s_or_b32 exec_lo, exec_lo, s23
	v_lshrrev_b32_e32 v45, 24, v21
	s_mov_b32 s7, 0
	s_mov_b32 s24, exec_lo
                                        ; implicit-def: $sgpr23
	s_delay_alu instid0(VALU_DEP_1)
	v_cmpx_lt_i16_e32 0x7f, v45
	s_xor_b32 s24, exec_lo, s24
	s_cbranch_execnz .LBB6_7210
; %bb.6181:                             ;   in Loop: Header=BB6_4903 Depth=2
	s_or_saveexec_b32 s24, s24
	v_mov_b32_e32 v63, s23
	s_xor_b32 exec_lo, exec_lo, s24
	s_cbranch_execnz .LBB6_7213
.LBB6_6182:                             ;   in Loop: Header=BB6_4903 Depth=2
	s_or_b32 exec_lo, exec_lo, s24
	s_and_saveexec_b32 s23, s7
	s_cbranch_execz .LBB6_6184
.LBB6_6183:                             ;   in Loop: Header=BB6_4903 Depth=2
	v_bfe_u32 v63, v21, 24, 3
	s_delay_alu instid0(VALU_DEP_1) | instskip(NEXT) | instid1(VALU_DEP_1)
	v_clz_i32_u32_e32 v74, v63
	v_min_u32_e32 v74, 32, v74
	s_delay_alu instid0(VALU_DEP_1) | instskip(SKIP_1) | instid1(VALU_DEP_2)
	v_subrev_nc_u32_e32 v77, 28, v74
	v_sub_nc_u32_e32 v74, 29, v74
	v_lshlrev_b32_e32 v45, v77, v45
	v_bfe_u32 v77, v21, 27, 4
	v_and_b32_e32 v21, 0x80000000, v21
	s_delay_alu instid0(VALU_DEP_2) | instskip(NEXT) | instid1(VALU_DEP_4)
	v_cmp_eq_u32_e32 vcc_lo, 0, v77
	v_dual_cndmask_b32 v74, v77, v74 :: v_dual_and_b32 v45, 7, v45
	s_delay_alu instid0(VALU_DEP_1) | instskip(NEXT) | instid1(VALU_DEP_2)
	v_cndmask_b32_e32 v45, v63, v45, vcc_lo
	v_lshl_add_u32 v63, v74, 23, 0x3b800000
	s_delay_alu instid0(VALU_DEP_2) | instskip(NEXT) | instid1(VALU_DEP_1)
	v_lshlrev_b32_e32 v45, 20, v45
	v_or3_b32 v63, v21, v63, v45
.LBB6_6184:                             ;   in Loop: Header=BB6_4903 Depth=2
	s_or_b32 exec_lo, exec_lo, s23
	s_delay_alu instid0(VALU_DEP_1) | instskip(NEXT) | instid1(VALU_DEP_1)
	v_add_f32_e32 v45, v56, v63
	v_and_b32_e32 v21, 0x7f800000, v45
	s_delay_alu instid0(VALU_DEP_1)
	v_cmp_ne_u32_e32 vcc_lo, 0x7f800000, v21
	v_mov_b32_e32 v21, 0x8000
	s_and_saveexec_b32 s23, vcc_lo
	s_cbranch_execz .LBB6_6192
; %bb.6185:                             ;   in Loop: Header=BB6_4903 Depth=2
	v_mov_b32_e32 v21, 0
	s_mov_b32 s24, exec_lo
	v_cmpx_ne_u32_e32 0, v45
	s_cbranch_execz .LBB6_6191
; %bb.6186:                             ;   in Loop: Header=BB6_4903 Depth=2
	v_bfe_u32 v21, v45, 23, 8
	s_delay_alu instid0(VALU_DEP_1) | instskip(SKIP_1) | instid1(VALU_DEP_2)
	v_sub_nc_u32_e32 v63, 0x78, v21
	v_cmp_gt_u32_e32 vcc_lo, 0x79, v21
	v_dual_cndmask_b32 v63, 0, v63 :: v_dual_and_b32 v56, 0x7fffff, v45
	s_delay_alu instid0(VALU_DEP_1) | instskip(SKIP_2) | instid1(VALU_DEP_4)
	v_or_b32_e32 v74, 0x800000, v56
	v_cmp_eq_u32_e32 vcc_lo, 0, v21
	v_add_nc_u32_e32 v21, 0xffffff89, v21
	v_cndmask_b32_e64 v63, v63, 0x77, vcc_lo
	s_delay_alu instid0(VALU_DEP_4) | instskip(NEXT) | instid1(VALU_DEP_3)
	v_cndmask_b32_e32 v56, v74, v56, vcc_lo
	v_cndmask_b32_e64 v21, v21, 0xffffff8a, vcc_lo
	s_delay_alu instid0(VALU_DEP_3) | instskip(NEXT) | instid1(VALU_DEP_3)
	v_lshl_add_u32 v74, 0x100000, v63, -1
	v_lshrrev_b32_e32 v77, v63, v56
	v_lshlrev_b32_e64 v79, v63, 0x80000
	s_delay_alu instid0(VALU_DEP_4) | instskip(NEXT) | instid1(VALU_DEP_4)
	v_add_nc_u32_e32 v63, v63, v21
	v_and_b32_e32 v56, v74, v56
	s_delay_alu instid0(VALU_DEP_4) | instskip(NEXT) | instid1(VALU_DEP_2)
	v_bfe_u32 v78, v77, 20, 1
	v_cmp_eq_u32_e64 s7, v56, v79
	s_delay_alu instid0(VALU_DEP_2) | instskip(NEXT) | instid1(VALU_DEP_1)
	v_add_nc_u32_e32 v74, -1, v78
	v_cndmask_b32_e64 v56, 0, v74, s7
	v_lshrrev_b32_e32 v74, 23, v77
	s_mov_b32 s7, exec_lo
	s_delay_alu instid0(VALU_DEP_2) | instskip(NEXT) | instid1(VALU_DEP_2)
	v_add_nc_u32_e32 v56, v56, v77
	v_xor_b32_e32 v74, 1, v74
	s_delay_alu instid0(VALU_DEP_2) | instskip(NEXT) | instid1(VALU_DEP_1)
	v_and_b32_e32 v21, 0xfffff, v56
	v_add_nc_u32_e32 v56, v21, v77
                                        ; implicit-def: $vgpr21
	s_delay_alu instid0(VALU_DEP_3)
	v_cmpx_ne_u32_e64 v63, v74
	s_xor_b32 s7, exec_lo, s7
; %bb.6187:                             ;   in Loop: Header=BB6_4903 Depth=2
	s_delay_alu instid0(VALU_DEP_2) | instskip(SKIP_2) | instid1(VALU_DEP_2)
	v_cmp_lt_u32_e32 vcc_lo, 0xffffff, v56
	v_sub_nc_u32_e32 v21, v63, v74
	v_cndmask_b32_e64 v63, 0, 1, vcc_lo
	v_add_co_ci_u32_e32 v21, vcc_lo, 0, v21, vcc_lo
	s_delay_alu instid0(VALU_DEP_2)
	v_lshrrev_b32_e32 v56, v63, v56
; %bb.6188:                             ;   in Loop: Header=BB6_4903 Depth=2
	s_and_not1_saveexec_b32 s7, s7
; %bb.6189:                             ;   in Loop: Header=BB6_4903 Depth=2
	s_delay_alu instid0(VALU_DEP_1)
	v_bfe_u32 v21, v56, 23, 1
; %bb.6190:                             ;   in Loop: Header=BB6_4903 Depth=2
	s_or_b32 exec_lo, exec_lo, s7
	v_lshrrev_b32_e32 v56, 20, v56
	s_delay_alu instid0(VALU_DEP_2) | instskip(SKIP_2) | instid1(VALU_DEP_2)
	v_cmp_gt_i32_e32 vcc_lo, 16, v21
	v_min_i32_e32 v63, 15, v21
	v_lshrrev_b32_e32 v45, 24, v45
	v_dual_cndmask_b32 v56, 7, v56 :: v_dual_lshlrev_b32 v63, 3, v63
	s_delay_alu instid0(VALU_DEP_2) | instskip(NEXT) | instid1(VALU_DEP_2)
	v_and_b32_e32 v45, 0x80, v45
	v_or_b32_e32 v21, v21, v56
	s_delay_alu instid0(VALU_DEP_3) | instskip(NEXT) | instid1(VALU_DEP_2)
	v_and_b32_e32 v63, 0xf8, v63
	v_cmp_ne_u32_e32 vcc_lo, 0, v21
	v_and_b32_e32 v74, 7, v56
	s_delay_alu instid0(VALU_DEP_1) | instskip(NEXT) | instid1(VALU_DEP_1)
	v_or3_b32 v45, v45, v63, v74
	v_lshlrev_b32_e32 v45, 8, v45
	s_delay_alu instid0(VALU_DEP_1)
	v_cndmask_b32_e32 v21, 0, v45, vcc_lo
.LBB6_6191:                             ;   in Loop: Header=BB6_4903 Depth=2
	s_or_b32 exec_lo, exec_lo, s24
.LBB6_6192:                             ;   in Loop: Header=BB6_4903 Depth=2
	s_delay_alu instid0(SALU_CYCLE_1) | instskip(SKIP_3) | instid1(VALU_DEP_1)
	s_or_b32 exec_lo, exec_lo, s23
	v_and_b32_e32 v56, 0xff, v40
	s_mov_b32 s7, 0
	s_mov_b32 s24, exec_lo
                                        ; implicit-def: $sgpr23
	v_cmpx_lt_i16_e32 0x7f, v56
	s_xor_b32 s24, exec_lo, s24
	s_cbranch_execnz .LBB6_7214
; %bb.6193:                             ;   in Loop: Header=BB6_4903 Depth=2
	s_or_saveexec_b32 s24, s24
	v_mov_b32_e32 v45, s23
	s_xor_b32 exec_lo, exec_lo, s24
	s_cbranch_execnz .LBB6_7217
.LBB6_6194:                             ;   in Loop: Header=BB6_4903 Depth=2
	s_or_b32 exec_lo, exec_lo, s24
	s_and_saveexec_b32 s23, s7
	s_cbranch_execz .LBB6_6196
.LBB6_6195:                             ;   in Loop: Header=BB6_4903 Depth=2
	v_and_b32_e32 v45, 7, v40
	v_bfe_u32 v74, v40, 3, 4
	s_delay_alu instid0(VALU_DEP_2) | instskip(NEXT) | instid1(VALU_DEP_2)
	v_clz_i32_u32_e32 v56, v45
	v_cmp_eq_u32_e32 vcc_lo, 0, v74
	s_delay_alu instid0(VALU_DEP_2) | instskip(NEXT) | instid1(VALU_DEP_1)
	v_min_u32_e32 v56, 32, v56
	v_subrev_nc_u32_e32 v63, 28, v56
	v_sub_nc_u32_e32 v56, 29, v56
	s_delay_alu instid0(VALU_DEP_2) | instskip(NEXT) | instid1(VALU_DEP_1)
	v_lshlrev_b32_e32 v63, v63, v40
	v_dual_cndmask_b32 v56, v74, v56 :: v_dual_and_b32 v63, 7, v63
	v_lshlrev_b32_e32 v40, 24, v40
	s_delay_alu instid0(VALU_DEP_2) | instskip(NEXT) | instid1(VALU_DEP_2)
	v_lshl_add_u32 v56, v56, 23, 0x3b800000
	v_dual_cndmask_b32 v45, v45, v63 :: v_dual_and_b32 v40, 0x80000000, v40
	s_delay_alu instid0(VALU_DEP_1) | instskip(NEXT) | instid1(VALU_DEP_1)
	v_lshlrev_b32_e32 v45, 20, v45
	v_or3_b32 v45, v40, v56, v45
.LBB6_6196:                             ;   in Loop: Header=BB6_4903 Depth=2
	s_or_b32 exec_lo, exec_lo, s23
	s_waitcnt vmcnt(1)
	v_and_b32_e32 v56, 0xff, v14
	s_mov_b32 s7, 0
	s_mov_b32 s24, exec_lo
                                        ; implicit-def: $sgpr23
	s_delay_alu instid0(VALU_DEP_1)
	v_cmpx_lt_i16_e32 0x7f, v56
	s_xor_b32 s24, exec_lo, s24
	s_cbranch_execnz .LBB6_7218
; %bb.6197:                             ;   in Loop: Header=BB6_4903 Depth=2
	s_or_saveexec_b32 s24, s24
	v_mov_b32_e32 v40, s23
	s_xor_b32 exec_lo, exec_lo, s24
	s_cbranch_execnz .LBB6_7221
.LBB6_6198:                             ;   in Loop: Header=BB6_4903 Depth=2
	s_or_b32 exec_lo, exec_lo, s24
	s_and_saveexec_b32 s23, s7
	s_cbranch_execz .LBB6_6200
.LBB6_6199:                             ;   in Loop: Header=BB6_4903 Depth=2
	v_and_b32_e32 v40, 7, v14
	v_bfe_u32 v74, v14, 3, 4
	s_delay_alu instid0(VALU_DEP_2) | instskip(NEXT) | instid1(VALU_DEP_2)
	v_clz_i32_u32_e32 v56, v40
	v_cmp_eq_u32_e32 vcc_lo, 0, v74
	s_delay_alu instid0(VALU_DEP_2) | instskip(NEXT) | instid1(VALU_DEP_1)
	v_min_u32_e32 v56, 32, v56
	v_subrev_nc_u32_e32 v63, 28, v56
	v_sub_nc_u32_e32 v56, 29, v56
	s_delay_alu instid0(VALU_DEP_1) | instskip(NEXT) | instid1(VALU_DEP_1)
	v_dual_cndmask_b32 v56, v74, v56 :: v_dual_lshlrev_b32 v63, v63, v14
	v_and_b32_e32 v63, 7, v63
	v_lshlrev_b32_e32 v77, 24, v14
	s_delay_alu instid0(VALU_DEP_3) | instskip(NEXT) | instid1(VALU_DEP_2)
	v_lshl_add_u32 v56, v56, 23, 0x3b800000
	v_dual_cndmask_b32 v40, v40, v63 :: v_dual_and_b32 v63, 0x80000000, v77
	s_delay_alu instid0(VALU_DEP_1) | instskip(NEXT) | instid1(VALU_DEP_1)
	v_lshlrev_b32_e32 v40, 20, v40
	v_or3_b32 v40, v63, v56, v40
.LBB6_6200:                             ;   in Loop: Header=BB6_4903 Depth=2
	s_or_b32 exec_lo, exec_lo, s23
	s_delay_alu instid0(VALU_DEP_1) | instskip(NEXT) | instid1(VALU_DEP_1)
	v_add_f32_e32 v45, v45, v40
	v_and_b32_e32 v40, 0x7f800000, v45
	s_delay_alu instid0(VALU_DEP_1)
	v_cmp_ne_u32_e32 vcc_lo, 0x7f800000, v40
	v_mov_b32_e32 v40, 0x80
	s_and_saveexec_b32 s23, vcc_lo
	s_cbranch_execz .LBB6_6208
; %bb.6201:                             ;   in Loop: Header=BB6_4903 Depth=2
	v_mov_b32_e32 v40, 0
	s_mov_b32 s24, exec_lo
	v_cmpx_ne_u32_e32 0, v45
	s_cbranch_execz .LBB6_6207
; %bb.6202:                             ;   in Loop: Header=BB6_4903 Depth=2
	v_bfe_u32 v40, v45, 23, 8
	s_delay_alu instid0(VALU_DEP_1) | instskip(SKIP_1) | instid1(VALU_DEP_2)
	v_sub_nc_u32_e32 v63, 0x78, v40
	v_cmp_gt_u32_e32 vcc_lo, 0x79, v40
	v_dual_cndmask_b32 v63, 0, v63 :: v_dual_and_b32 v56, 0x7fffff, v45
	s_delay_alu instid0(VALU_DEP_1) | instskip(SKIP_2) | instid1(VALU_DEP_4)
	v_or_b32_e32 v74, 0x800000, v56
	v_cmp_eq_u32_e32 vcc_lo, 0, v40
	v_add_nc_u32_e32 v40, 0xffffff89, v40
	v_cndmask_b32_e64 v63, v63, 0x77, vcc_lo
	s_delay_alu instid0(VALU_DEP_4) | instskip(NEXT) | instid1(VALU_DEP_3)
	v_cndmask_b32_e32 v56, v74, v56, vcc_lo
	v_cndmask_b32_e64 v40, v40, 0xffffff8a, vcc_lo
	s_delay_alu instid0(VALU_DEP_3) | instskip(NEXT) | instid1(VALU_DEP_3)
	v_lshl_add_u32 v74, 0x100000, v63, -1
	v_lshrrev_b32_e32 v77, v63, v56
	v_lshlrev_b32_e64 v79, v63, 0x80000
	s_delay_alu instid0(VALU_DEP_4) | instskip(NEXT) | instid1(VALU_DEP_4)
	v_add_nc_u32_e32 v63, v63, v40
	v_and_b32_e32 v56, v74, v56
	s_delay_alu instid0(VALU_DEP_4) | instskip(NEXT) | instid1(VALU_DEP_2)
	v_bfe_u32 v78, v77, 20, 1
	v_cmp_eq_u32_e64 s7, v56, v79
	s_delay_alu instid0(VALU_DEP_2) | instskip(NEXT) | instid1(VALU_DEP_1)
	v_add_nc_u32_e32 v74, -1, v78
	v_cndmask_b32_e64 v56, 0, v74, s7
	v_lshrrev_b32_e32 v74, 23, v77
	s_mov_b32 s7, exec_lo
	s_delay_alu instid0(VALU_DEP_2) | instskip(NEXT) | instid1(VALU_DEP_2)
	v_add_nc_u32_e32 v56, v56, v77
	v_xor_b32_e32 v74, 1, v74
	s_delay_alu instid0(VALU_DEP_2) | instskip(NEXT) | instid1(VALU_DEP_1)
	v_and_b32_e32 v40, 0xfffff, v56
	v_add_nc_u32_e32 v56, v40, v77
                                        ; implicit-def: $vgpr40
	s_delay_alu instid0(VALU_DEP_3)
	v_cmpx_ne_u32_e64 v63, v74
	s_xor_b32 s7, exec_lo, s7
; %bb.6203:                             ;   in Loop: Header=BB6_4903 Depth=2
	s_delay_alu instid0(VALU_DEP_2) | instskip(SKIP_2) | instid1(VALU_DEP_2)
	v_cmp_lt_u32_e32 vcc_lo, 0xffffff, v56
	v_sub_nc_u32_e32 v40, v63, v74
	v_cndmask_b32_e64 v63, 0, 1, vcc_lo
	v_add_co_ci_u32_e32 v40, vcc_lo, 0, v40, vcc_lo
	s_delay_alu instid0(VALU_DEP_2)
	v_lshrrev_b32_e32 v56, v63, v56
; %bb.6204:                             ;   in Loop: Header=BB6_4903 Depth=2
	s_and_not1_saveexec_b32 s7, s7
; %bb.6205:                             ;   in Loop: Header=BB6_4903 Depth=2
	s_delay_alu instid0(VALU_DEP_1)
	v_bfe_u32 v40, v56, 23, 1
; %bb.6206:                             ;   in Loop: Header=BB6_4903 Depth=2
	s_or_b32 exec_lo, exec_lo, s7
	v_lshrrev_b32_e32 v56, 20, v56
	s_delay_alu instid0(VALU_DEP_2) | instskip(SKIP_2) | instid1(VALU_DEP_2)
	v_cmp_gt_i32_e32 vcc_lo, 16, v40
	v_lshrrev_b32_e32 v45, 24, v45
	v_min_i32_e32 v63, 15, v40
	v_dual_cndmask_b32 v56, 7, v56 :: v_dual_and_b32 v45, 0x80, v45
	s_delay_alu instid0(VALU_DEP_1) | instskip(SKIP_1) | instid1(VALU_DEP_2)
	v_or_b32_e32 v40, v40, v56
	v_and_b32_e32 v74, 7, v56
	v_cmp_ne_u32_e32 vcc_lo, 0, v40
	v_lshlrev_b32_e32 v63, 3, v63
	s_delay_alu instid0(VALU_DEP_1) | instskip(NEXT) | instid1(VALU_DEP_1)
	v_or3_b32 v45, v63, v45, v74
	v_cndmask_b32_e32 v40, 0, v45, vcc_lo
.LBB6_6207:                             ;   in Loop: Header=BB6_4903 Depth=2
	s_or_b32 exec_lo, exec_lo, s24
.LBB6_6208:                             ;   in Loop: Header=BB6_4903 Depth=2
	s_delay_alu instid0(SALU_CYCLE_1) | instskip(SKIP_3) | instid1(VALU_DEP_1)
	s_or_b32 exec_lo, exec_lo, s23
	v_and_b32_e32 v56, 0xff, v182
	s_mov_b32 s7, 0
	s_mov_b32 s24, exec_lo
                                        ; implicit-def: $sgpr23
	v_cmpx_lt_i16_e32 0x7f, v56
	s_xor_b32 s24, exec_lo, s24
	s_cbranch_execnz .LBB6_7222
; %bb.6209:                             ;   in Loop: Header=BB6_4903 Depth=2
	s_or_saveexec_b32 s24, s24
	v_mov_b32_e32 v45, s23
	s_xor_b32 exec_lo, exec_lo, s24
	s_cbranch_execnz .LBB6_7225
.LBB6_6210:                             ;   in Loop: Header=BB6_4903 Depth=2
	s_or_b32 exec_lo, exec_lo, s24
	s_and_saveexec_b32 s23, s7
	s_cbranch_execz .LBB6_6212
.LBB6_6211:                             ;   in Loop: Header=BB6_4903 Depth=2
	v_bfe_u32 v74, v182, 3, 4
	s_delay_alu instid0(VALU_DEP_1) | instskip(SKIP_1) | instid1(VALU_DEP_1)
	v_cmp_eq_u32_e32 vcc_lo, 0, v74
	v_and_b32_e32 v45, 7, v182
	v_clz_i32_u32_e32 v56, v45
	s_delay_alu instid0(VALU_DEP_1) | instskip(NEXT) | instid1(VALU_DEP_1)
	v_min_u32_e32 v56, 32, v56
	v_subrev_nc_u32_e32 v63, 28, v56
	v_sub_nc_u32_e32 v56, 29, v56
	s_delay_alu instid0(VALU_DEP_1) | instskip(NEXT) | instid1(VALU_DEP_1)
	v_dual_cndmask_b32 v56, v74, v56 :: v_dual_lshlrev_b32 v63, v63, v182
	v_and_b32_e32 v63, 7, v63
	v_lshlrev_b32_e32 v182, 24, v182
	s_delay_alu instid0(VALU_DEP_3) | instskip(NEXT) | instid1(VALU_DEP_2)
	v_lshl_add_u32 v56, v56, 23, 0x3b800000
	v_dual_cndmask_b32 v45, v45, v63 :: v_dual_and_b32 v182, 0x80000000, v182
	s_delay_alu instid0(VALU_DEP_1) | instskip(NEXT) | instid1(VALU_DEP_1)
	v_lshlrev_b32_e32 v45, 20, v45
	v_or3_b32 v45, v182, v56, v45
.LBB6_6212:                             ;   in Loop: Header=BB6_4903 Depth=2
	s_or_b32 exec_lo, exec_lo, s23
	v_lshrrev_b16 v182, 8, v14
	s_mov_b32 s7, 0
	s_mov_b32 s24, exec_lo
                                        ; implicit-def: $sgpr23
	s_delay_alu instid0(VALU_DEP_1)
	v_cmpx_lt_i16_e64 0x7f, v182
	s_xor_b32 s24, exec_lo, s24
	s_cbranch_execnz .LBB6_7226
; %bb.6213:                             ;   in Loop: Header=BB6_4903 Depth=2
	s_or_saveexec_b32 s24, s24
	v_mov_b32_e32 v56, s23
	s_xor_b32 exec_lo, exec_lo, s24
	s_cbranch_execnz .LBB6_7229
.LBB6_6214:                             ;   in Loop: Header=BB6_4903 Depth=2
	s_or_b32 exec_lo, exec_lo, s24
	s_and_saveexec_b32 s23, s7
	s_cbranch_execz .LBB6_6216
.LBB6_6215:                             ;   in Loop: Header=BB6_4903 Depth=2
	v_and_b32_e32 v56, 0xffff, v182
	v_lshlrev_b32_e32 v182, 24, v182
	s_delay_alu instid0(VALU_DEP_2) | instskip(NEXT) | instid1(VALU_DEP_2)
	v_and_b32_e32 v63, 7, v56
	v_and_b32_e32 v182, 0x80000000, v182
	s_delay_alu instid0(VALU_DEP_2) | instskip(NEXT) | instid1(VALU_DEP_1)
	v_clz_i32_u32_e32 v74, v63
	v_min_u32_e32 v74, 32, v74
	s_delay_alu instid0(VALU_DEP_1) | instskip(SKIP_1) | instid1(VALU_DEP_2)
	v_subrev_nc_u32_e32 v77, 28, v74
	v_sub_nc_u32_e32 v74, 29, v74
	v_lshlrev_b32_e32 v77, v77, v56
	v_bfe_u32 v56, v56, 3, 4
	s_delay_alu instid0(VALU_DEP_2) | instskip(NEXT) | instid1(VALU_DEP_2)
	v_and_b32_e32 v77, 7, v77
	v_cmp_eq_u32_e32 vcc_lo, 0, v56
	s_delay_alu instid0(VALU_DEP_2) | instskip(NEXT) | instid1(VALU_DEP_1)
	v_dual_cndmask_b32 v56, v56, v74 :: v_dual_cndmask_b32 v63, v63, v77
	v_lshl_add_u32 v56, v56, 23, 0x3b800000
	s_delay_alu instid0(VALU_DEP_2) | instskip(NEXT) | instid1(VALU_DEP_1)
	v_lshlrev_b32_e32 v63, 20, v63
	v_or3_b32 v56, v182, v56, v63
.LBB6_6216:                             ;   in Loop: Header=BB6_4903 Depth=2
	s_or_b32 exec_lo, exec_lo, s23
	s_delay_alu instid0(VALU_DEP_1) | instskip(NEXT) | instid1(VALU_DEP_1)
	v_add_f32_e32 v45, v45, v56
	v_and_b32_e32 v182, 0x7f800000, v45
	s_delay_alu instid0(VALU_DEP_1)
	v_cmp_ne_u32_e32 vcc_lo, 0x7f800000, v182
	v_mov_b32_e32 v182, 0x80
	s_and_saveexec_b32 s23, vcc_lo
	s_cbranch_execz .LBB6_6224
; %bb.6217:                             ;   in Loop: Header=BB6_4903 Depth=2
	v_mov_b32_e32 v182, 0
	s_mov_b32 s24, exec_lo
	v_cmpx_ne_u32_e32 0, v45
	s_cbranch_execz .LBB6_6223
; %bb.6218:                             ;   in Loop: Header=BB6_4903 Depth=2
	v_bfe_u32 v182, v45, 23, 8
	s_delay_alu instid0(VALU_DEP_1) | instskip(SKIP_1) | instid1(VALU_DEP_2)
	v_sub_nc_u32_e32 v63, 0x78, v182
	v_cmp_gt_u32_e32 vcc_lo, 0x79, v182
	v_dual_cndmask_b32 v63, 0, v63 :: v_dual_and_b32 v56, 0x7fffff, v45
	s_delay_alu instid0(VALU_DEP_1) | instskip(SKIP_2) | instid1(VALU_DEP_4)
	v_or_b32_e32 v74, 0x800000, v56
	v_cmp_eq_u32_e32 vcc_lo, 0, v182
	v_add_nc_u32_e32 v182, 0xffffff89, v182
	v_cndmask_b32_e64 v63, v63, 0x77, vcc_lo
	s_delay_alu instid0(VALU_DEP_2) | instskip(SKIP_1) | instid1(VALU_DEP_3)
	v_cndmask_b32_e64 v182, v182, 0xffffff8a, vcc_lo
	v_cndmask_b32_e32 v56, v74, v56, vcc_lo
	v_lshl_add_u32 v74, 0x100000, v63, -1
	v_lshlrev_b32_e64 v79, v63, 0x80000
	s_delay_alu instid0(VALU_DEP_3) | instskip(SKIP_1) | instid1(VALU_DEP_4)
	v_lshrrev_b32_e32 v77, v63, v56
	v_add_nc_u32_e32 v63, v63, v182
	v_and_b32_e32 v56, v74, v56
	s_delay_alu instid0(VALU_DEP_3) | instskip(NEXT) | instid1(VALU_DEP_2)
	v_bfe_u32 v78, v77, 20, 1
	v_cmp_eq_u32_e64 s7, v56, v79
	s_delay_alu instid0(VALU_DEP_2) | instskip(NEXT) | instid1(VALU_DEP_1)
	v_add_nc_u32_e32 v74, -1, v78
	v_cndmask_b32_e64 v56, 0, v74, s7
	v_lshrrev_b32_e32 v74, 23, v77
	s_mov_b32 s7, exec_lo
	s_delay_alu instid0(VALU_DEP_2) | instskip(NEXT) | instid1(VALU_DEP_2)
	v_add_nc_u32_e32 v56, v56, v77
	v_xor_b32_e32 v74, 1, v74
	s_delay_alu instid0(VALU_DEP_2) | instskip(NEXT) | instid1(VALU_DEP_1)
	v_and_b32_e32 v182, 0xfffff, v56
	v_add_nc_u32_e32 v56, v182, v77
                                        ; implicit-def: $vgpr182
	s_delay_alu instid0(VALU_DEP_3)
	v_cmpx_ne_u32_e64 v63, v74
	s_xor_b32 s7, exec_lo, s7
; %bb.6219:                             ;   in Loop: Header=BB6_4903 Depth=2
	s_delay_alu instid0(VALU_DEP_2) | instskip(SKIP_2) | instid1(VALU_DEP_2)
	v_cmp_lt_u32_e32 vcc_lo, 0xffffff, v56
	v_sub_nc_u32_e32 v182, v63, v74
	v_cndmask_b32_e64 v63, 0, 1, vcc_lo
	v_add_co_ci_u32_e32 v182, vcc_lo, 0, v182, vcc_lo
	s_delay_alu instid0(VALU_DEP_2)
	v_lshrrev_b32_e32 v56, v63, v56
; %bb.6220:                             ;   in Loop: Header=BB6_4903 Depth=2
	s_and_not1_saveexec_b32 s7, s7
; %bb.6221:                             ;   in Loop: Header=BB6_4903 Depth=2
	s_delay_alu instid0(VALU_DEP_1)
	v_bfe_u32 v182, v56, 23, 1
; %bb.6222:                             ;   in Loop: Header=BB6_4903 Depth=2
	s_or_b32 exec_lo, exec_lo, s7
	v_lshrrev_b32_e32 v56, 20, v56
	s_delay_alu instid0(VALU_DEP_2) | instskip(SKIP_2) | instid1(VALU_DEP_2)
	v_cmp_gt_i32_e32 vcc_lo, 16, v182
	v_lshrrev_b32_e32 v45, 24, v45
	v_min_i32_e32 v63, 15, v182
	v_dual_cndmask_b32 v56, 7, v56 :: v_dual_and_b32 v45, 0x80, v45
	s_delay_alu instid0(VALU_DEP_1) | instskip(SKIP_1) | instid1(VALU_DEP_2)
	v_or_b32_e32 v182, v182, v56
	v_and_b32_e32 v74, 7, v56
	v_cmp_ne_u32_e32 vcc_lo, 0, v182
	v_lshlrev_b32_e32 v63, 3, v63
	s_delay_alu instid0(VALU_DEP_1) | instskip(NEXT) | instid1(VALU_DEP_1)
	v_or3_b32 v45, v63, v45, v74
	v_cndmask_b32_e32 v182, 0, v45, vcc_lo
.LBB6_6223:                             ;   in Loop: Header=BB6_4903 Depth=2
	s_or_b32 exec_lo, exec_lo, s24
.LBB6_6224:                             ;   in Loop: Header=BB6_4903 Depth=2
	s_delay_alu instid0(SALU_CYCLE_1) | instskip(SKIP_3) | instid1(VALU_DEP_1)
	s_or_b32 exec_lo, exec_lo, s23
	v_and_b32_e32 v56, 0xff, v180
	s_mov_b32 s7, 0
	s_mov_b32 s24, exec_lo
                                        ; implicit-def: $sgpr23
	v_cmpx_lt_i16_e32 0x7f, v56
	s_xor_b32 s24, exec_lo, s24
	s_cbranch_execnz .LBB6_7230
; %bb.6225:                             ;   in Loop: Header=BB6_4903 Depth=2
	s_or_saveexec_b32 s24, s24
	v_mov_b32_e32 v45, s23
	s_xor_b32 exec_lo, exec_lo, s24
	s_cbranch_execnz .LBB6_7233
.LBB6_6226:                             ;   in Loop: Header=BB6_4903 Depth=2
	s_or_b32 exec_lo, exec_lo, s24
	s_and_saveexec_b32 s23, s7
	s_cbranch_execz .LBB6_6228
.LBB6_6227:                             ;   in Loop: Header=BB6_4903 Depth=2
	v_and_b32_e32 v45, 7, v180
	v_bfe_u32 v74, v180, 3, 4
	s_delay_alu instid0(VALU_DEP_2) | instskip(NEXT) | instid1(VALU_DEP_2)
	v_clz_i32_u32_e32 v56, v45
	v_cmp_eq_u32_e32 vcc_lo, 0, v74
	s_delay_alu instid0(VALU_DEP_2) | instskip(NEXT) | instid1(VALU_DEP_1)
	v_min_u32_e32 v56, 32, v56
	v_subrev_nc_u32_e32 v63, 28, v56
	v_sub_nc_u32_e32 v56, 29, v56
	s_delay_alu instid0(VALU_DEP_2) | instskip(NEXT) | instid1(VALU_DEP_1)
	v_lshlrev_b32_e32 v63, v63, v180
	v_dual_cndmask_b32 v56, v74, v56 :: v_dual_and_b32 v63, 7, v63
	v_lshlrev_b32_e32 v180, 24, v180
	s_delay_alu instid0(VALU_DEP_2) | instskip(NEXT) | instid1(VALU_DEP_2)
	v_lshl_add_u32 v56, v56, 23, 0x3b800000
	v_dual_cndmask_b32 v45, v45, v63 :: v_dual_and_b32 v180, 0x80000000, v180
	s_delay_alu instid0(VALU_DEP_1) | instskip(NEXT) | instid1(VALU_DEP_1)
	v_lshlrev_b32_e32 v45, 20, v45
	v_or3_b32 v45, v180, v56, v45
.LBB6_6228:                             ;   in Loop: Header=BB6_4903 Depth=2
	s_or_b32 exec_lo, exec_lo, s23
	v_lshrrev_b32_e32 v180, 16, v14
	s_mov_b32 s7, 0
	s_mov_b32 s24, exec_lo
                                        ; implicit-def: $sgpr23
	s_delay_alu instid0(VALU_DEP_1) | instskip(NEXT) | instid1(VALU_DEP_1)
	v_and_b32_e32 v63, 0xff, v180
	v_cmpx_lt_i16_e32 0x7f, v63
	s_xor_b32 s24, exec_lo, s24
	s_cbranch_execnz .LBB6_7234
; %bb.6229:                             ;   in Loop: Header=BB6_4903 Depth=2
	s_or_saveexec_b32 s24, s24
	v_mov_b32_e32 v56, s23
	s_xor_b32 exec_lo, exec_lo, s24
	s_cbranch_execnz .LBB6_7237
.LBB6_6230:                             ;   in Loop: Header=BB6_4903 Depth=2
	s_or_b32 exec_lo, exec_lo, s24
	s_and_saveexec_b32 s23, s7
	s_cbranch_execz .LBB6_6232
.LBB6_6231:                             ;   in Loop: Header=BB6_4903 Depth=2
	v_bfe_u32 v56, v14, 16, 3
	s_delay_alu instid0(VALU_DEP_1) | instskip(NEXT) | instid1(VALU_DEP_1)
	v_clz_i32_u32_e32 v63, v56
	v_min_u32_e32 v63, 32, v63
	s_delay_alu instid0(VALU_DEP_1) | instskip(SKIP_1) | instid1(VALU_DEP_2)
	v_subrev_nc_u32_e32 v74, 28, v63
	v_sub_nc_u32_e32 v63, 29, v63
	v_lshlrev_b32_e32 v180, v74, v180
	v_bfe_u32 v74, v14, 19, 4
	s_delay_alu instid0(VALU_DEP_1) | instskip(NEXT) | instid1(VALU_DEP_3)
	v_cmp_eq_u32_e32 vcc_lo, 0, v74
	v_dual_cndmask_b32 v63, v74, v63 :: v_dual_and_b32 v180, 7, v180
	s_delay_alu instid0(VALU_DEP_1) | instskip(NEXT) | instid1(VALU_DEP_2)
	v_dual_cndmask_b32 v180, v56, v180 :: v_dual_lshlrev_b32 v77, 8, v14
	v_lshl_add_u32 v63, v63, 23, 0x3b800000
	s_delay_alu instid0(VALU_DEP_2) | instskip(NEXT) | instid1(VALU_DEP_3)
	v_and_b32_e32 v56, 0x80000000, v77
	v_lshlrev_b32_e32 v180, 20, v180
	s_delay_alu instid0(VALU_DEP_1)
	v_or3_b32 v56, v56, v63, v180
.LBB6_6232:                             ;   in Loop: Header=BB6_4903 Depth=2
	s_or_b32 exec_lo, exec_lo, s23
	s_delay_alu instid0(VALU_DEP_1) | instskip(NEXT) | instid1(VALU_DEP_1)
	v_add_f32_e32 v45, v45, v56
	v_and_b32_e32 v180, 0x7f800000, v45
	s_delay_alu instid0(VALU_DEP_1)
	v_cmp_ne_u32_e32 vcc_lo, 0x7f800000, v180
	v_mov_b32_e32 v180, 0x80
	s_and_saveexec_b32 s23, vcc_lo
	s_cbranch_execz .LBB6_6240
; %bb.6233:                             ;   in Loop: Header=BB6_4903 Depth=2
	v_mov_b32_e32 v180, 0
	s_mov_b32 s24, exec_lo
	v_cmpx_ne_u32_e32 0, v45
	s_cbranch_execz .LBB6_6239
; %bb.6234:                             ;   in Loop: Header=BB6_4903 Depth=2
	v_bfe_u32 v180, v45, 23, 8
	s_delay_alu instid0(VALU_DEP_1) | instskip(SKIP_1) | instid1(VALU_DEP_2)
	v_sub_nc_u32_e32 v63, 0x78, v180
	v_cmp_gt_u32_e32 vcc_lo, 0x79, v180
	v_dual_cndmask_b32 v63, 0, v63 :: v_dual_and_b32 v56, 0x7fffff, v45
	s_delay_alu instid0(VALU_DEP_1) | instskip(SKIP_2) | instid1(VALU_DEP_4)
	v_or_b32_e32 v74, 0x800000, v56
	v_cmp_eq_u32_e32 vcc_lo, 0, v180
	v_add_nc_u32_e32 v180, 0xffffff89, v180
	v_cndmask_b32_e64 v63, v63, 0x77, vcc_lo
	s_delay_alu instid0(VALU_DEP_4) | instskip(NEXT) | instid1(VALU_DEP_3)
	v_cndmask_b32_e32 v56, v74, v56, vcc_lo
	v_cndmask_b32_e64 v180, v180, 0xffffff8a, vcc_lo
	s_delay_alu instid0(VALU_DEP_3) | instskip(NEXT) | instid1(VALU_DEP_3)
	v_lshl_add_u32 v74, 0x100000, v63, -1
	v_lshrrev_b32_e32 v77, v63, v56
	v_lshlrev_b32_e64 v79, v63, 0x80000
	s_delay_alu instid0(VALU_DEP_4) | instskip(NEXT) | instid1(VALU_DEP_4)
	v_add_nc_u32_e32 v63, v63, v180
	v_and_b32_e32 v56, v74, v56
	s_delay_alu instid0(VALU_DEP_4) | instskip(NEXT) | instid1(VALU_DEP_2)
	v_bfe_u32 v78, v77, 20, 1
	v_cmp_eq_u32_e64 s7, v56, v79
	s_delay_alu instid0(VALU_DEP_2) | instskip(NEXT) | instid1(VALU_DEP_1)
	v_add_nc_u32_e32 v74, -1, v78
	v_cndmask_b32_e64 v56, 0, v74, s7
	v_lshrrev_b32_e32 v74, 23, v77
	s_mov_b32 s7, exec_lo
	s_delay_alu instid0(VALU_DEP_2) | instskip(NEXT) | instid1(VALU_DEP_2)
	v_add_nc_u32_e32 v56, v56, v77
	v_xor_b32_e32 v74, 1, v74
	s_delay_alu instid0(VALU_DEP_2) | instskip(NEXT) | instid1(VALU_DEP_1)
	v_and_b32_e32 v180, 0xfffff, v56
	v_add_nc_u32_e32 v56, v180, v77
                                        ; implicit-def: $vgpr180
	s_delay_alu instid0(VALU_DEP_3)
	v_cmpx_ne_u32_e64 v63, v74
	s_xor_b32 s7, exec_lo, s7
; %bb.6235:                             ;   in Loop: Header=BB6_4903 Depth=2
	s_delay_alu instid0(VALU_DEP_2) | instskip(SKIP_2) | instid1(VALU_DEP_2)
	v_cmp_lt_u32_e32 vcc_lo, 0xffffff, v56
	v_sub_nc_u32_e32 v180, v63, v74
	v_cndmask_b32_e64 v63, 0, 1, vcc_lo
	v_add_co_ci_u32_e32 v180, vcc_lo, 0, v180, vcc_lo
	s_delay_alu instid0(VALU_DEP_2)
	v_lshrrev_b32_e32 v56, v63, v56
; %bb.6236:                             ;   in Loop: Header=BB6_4903 Depth=2
	s_and_not1_saveexec_b32 s7, s7
; %bb.6237:                             ;   in Loop: Header=BB6_4903 Depth=2
	s_delay_alu instid0(VALU_DEP_1)
	v_bfe_u32 v180, v56, 23, 1
; %bb.6238:                             ;   in Loop: Header=BB6_4903 Depth=2
	s_or_b32 exec_lo, exec_lo, s7
	v_lshrrev_b32_e32 v56, 20, v56
	s_delay_alu instid0(VALU_DEP_2) | instskip(SKIP_2) | instid1(VALU_DEP_2)
	v_cmp_gt_i32_e32 vcc_lo, 16, v180
	v_lshrrev_b32_e32 v45, 24, v45
	v_min_i32_e32 v63, 15, v180
	v_dual_cndmask_b32 v56, 7, v56 :: v_dual_and_b32 v45, 0x80, v45
	s_delay_alu instid0(VALU_DEP_1) | instskip(SKIP_1) | instid1(VALU_DEP_2)
	v_or_b32_e32 v180, v180, v56
	v_and_b32_e32 v74, 7, v56
	v_cmp_ne_u32_e32 vcc_lo, 0, v180
	v_lshlrev_b32_e32 v63, 3, v63
	s_delay_alu instid0(VALU_DEP_1) | instskip(NEXT) | instid1(VALU_DEP_1)
	v_or3_b32 v45, v63, v45, v74
	v_cndmask_b32_e32 v180, 0, v45, vcc_lo
.LBB6_6239:                             ;   in Loop: Header=BB6_4903 Depth=2
	s_or_b32 exec_lo, exec_lo, s24
.LBB6_6240:                             ;   in Loop: Header=BB6_4903 Depth=2
	s_delay_alu instid0(SALU_CYCLE_1) | instskip(SKIP_3) | instid1(VALU_DEP_1)
	s_or_b32 exec_lo, exec_lo, s23
	v_and_b32_e32 v56, 0xff, v178
	s_mov_b32 s7, 0
	s_mov_b32 s24, exec_lo
                                        ; implicit-def: $sgpr23
	v_cmpx_lt_i16_e32 0x7f, v56
	s_xor_b32 s24, exec_lo, s24
	s_cbranch_execnz .LBB6_7238
; %bb.6241:                             ;   in Loop: Header=BB6_4903 Depth=2
	s_or_saveexec_b32 s24, s24
	v_mov_b32_e32 v45, s23
	s_xor_b32 exec_lo, exec_lo, s24
	s_cbranch_execnz .LBB6_7241
.LBB6_6242:                             ;   in Loop: Header=BB6_4903 Depth=2
	s_or_b32 exec_lo, exec_lo, s24
	s_and_saveexec_b32 s23, s7
	s_cbranch_execz .LBB6_6244
.LBB6_6243:                             ;   in Loop: Header=BB6_4903 Depth=2
	v_lshlrev_b32_e32 v178, 8, v178
	s_delay_alu instid0(VALU_DEP_1) | instskip(SKIP_1) | instid1(VALU_DEP_2)
	v_and_b32_e32 v45, 0xff00, v178
	v_bfe_u32 v178, v178, 11, 4
	v_bfe_u32 v63, v45, 8, 3
	s_delay_alu instid0(VALU_DEP_2) | instskip(NEXT) | instid1(VALU_DEP_2)
	v_cmp_eq_u32_e32 vcc_lo, 0, v178
	v_clz_i32_u32_e32 v74, v63
	s_delay_alu instid0(VALU_DEP_1) | instskip(NEXT) | instid1(VALU_DEP_1)
	v_min_u32_e32 v74, 32, v74
	v_subrev_nc_u32_e32 v77, 28, v74
	v_sub_nc_u32_e32 v74, 29, v74
	s_delay_alu instid0(VALU_DEP_2) | instskip(NEXT) | instid1(VALU_DEP_2)
	v_lshlrev_b32_e32 v56, v77, v56
	v_cndmask_b32_e32 v178, v178, v74, vcc_lo
	s_delay_alu instid0(VALU_DEP_2) | instskip(NEXT) | instid1(VALU_DEP_2)
	v_and_b32_e32 v56, 7, v56
	v_lshl_add_u32 v178, v178, 23, 0x3b800000
	s_delay_alu instid0(VALU_DEP_2) | instskip(NEXT) | instid1(VALU_DEP_1)
	v_dual_cndmask_b32 v56, v63, v56 :: v_dual_lshlrev_b32 v45, 16, v45
	v_lshlrev_b32_e32 v56, 20, v56
	s_delay_alu instid0(VALU_DEP_2) | instskip(NEXT) | instid1(VALU_DEP_1)
	v_and_b32_e32 v45, 0x80000000, v45
	v_or3_b32 v45, v45, v178, v56
.LBB6_6244:                             ;   in Loop: Header=BB6_4903 Depth=2
	s_or_b32 exec_lo, exec_lo, s23
	v_lshrrev_b32_e32 v178, 24, v14
	s_mov_b32 s7, 0
	s_mov_b32 s24, exec_lo
                                        ; implicit-def: $sgpr23
	s_delay_alu instid0(VALU_DEP_1)
	v_cmpx_lt_i16_e64 0x7f, v178
	s_xor_b32 s24, exec_lo, s24
	s_cbranch_execnz .LBB6_7242
; %bb.6245:                             ;   in Loop: Header=BB6_4903 Depth=2
	s_or_saveexec_b32 s24, s24
	v_mov_b32_e32 v56, s23
	s_xor_b32 exec_lo, exec_lo, s24
	s_cbranch_execnz .LBB6_7245
.LBB6_6246:                             ;   in Loop: Header=BB6_4903 Depth=2
	s_or_b32 exec_lo, exec_lo, s24
	s_and_saveexec_b32 s23, s7
	s_cbranch_execz .LBB6_6248
.LBB6_6247:                             ;   in Loop: Header=BB6_4903 Depth=2
	v_bfe_u32 v56, v14, 24, 3
	s_delay_alu instid0(VALU_DEP_1) | instskip(NEXT) | instid1(VALU_DEP_1)
	v_clz_i32_u32_e32 v63, v56
	v_min_u32_e32 v63, 32, v63
	s_delay_alu instid0(VALU_DEP_1) | instskip(SKIP_1) | instid1(VALU_DEP_2)
	v_subrev_nc_u32_e32 v74, 28, v63
	v_sub_nc_u32_e32 v63, 29, v63
	v_lshlrev_b32_e32 v178, v74, v178
	v_bfe_u32 v74, v14, 27, 4
	v_and_b32_e32 v14, 0x80000000, v14
	s_delay_alu instid0(VALU_DEP_2) | instskip(NEXT) | instid1(VALU_DEP_4)
	v_cmp_eq_u32_e32 vcc_lo, 0, v74
	v_dual_cndmask_b32 v63, v74, v63 :: v_dual_and_b32 v178, 7, v178
	s_delay_alu instid0(VALU_DEP_1) | instskip(NEXT) | instid1(VALU_DEP_2)
	v_cndmask_b32_e32 v178, v56, v178, vcc_lo
	v_lshl_add_u32 v56, v63, 23, 0x3b800000
	s_delay_alu instid0(VALU_DEP_2) | instskip(NEXT) | instid1(VALU_DEP_1)
	v_lshlrev_b32_e32 v178, 20, v178
	v_or3_b32 v56, v14, v56, v178
.LBB6_6248:                             ;   in Loop: Header=BB6_4903 Depth=2
	s_or_b32 exec_lo, exec_lo, s23
	s_delay_alu instid0(VALU_DEP_1) | instskip(NEXT) | instid1(VALU_DEP_1)
	v_add_f32_e32 v178, v45, v56
	v_and_b32_e32 v14, 0x7f800000, v178
	s_delay_alu instid0(VALU_DEP_1)
	v_cmp_ne_u32_e32 vcc_lo, 0x7f800000, v14
	v_mov_b32_e32 v14, 0x80
	s_and_saveexec_b32 s23, vcc_lo
	s_cbranch_execz .LBB6_6256
; %bb.6249:                             ;   in Loop: Header=BB6_4903 Depth=2
	v_mov_b32_e32 v14, 0
	s_mov_b32 s24, exec_lo
	v_cmpx_ne_u32_e32 0, v178
	s_cbranch_execz .LBB6_6255
; %bb.6250:                             ;   in Loop: Header=BB6_4903 Depth=2
	v_bfe_u32 v14, v178, 23, 8
	s_delay_alu instid0(VALU_DEP_1) | instskip(SKIP_1) | instid1(VALU_DEP_2)
	v_sub_nc_u32_e32 v56, 0x78, v14
	v_cmp_gt_u32_e32 vcc_lo, 0x79, v14
	v_dual_cndmask_b32 v56, 0, v56 :: v_dual_and_b32 v45, 0x7fffff, v178
	s_delay_alu instid0(VALU_DEP_1) | instskip(SKIP_2) | instid1(VALU_DEP_4)
	v_or_b32_e32 v63, 0x800000, v45
	v_cmp_eq_u32_e32 vcc_lo, 0, v14
	v_add_nc_u32_e32 v14, 0xffffff89, v14
	v_cndmask_b32_e64 v56, v56, 0x77, vcc_lo
	s_delay_alu instid0(VALU_DEP_4) | instskip(NEXT) | instid1(VALU_DEP_3)
	v_cndmask_b32_e32 v45, v63, v45, vcc_lo
	v_cndmask_b32_e64 v14, v14, 0xffffff8a, vcc_lo
	s_delay_alu instid0(VALU_DEP_3) | instskip(NEXT) | instid1(VALU_DEP_3)
	v_lshl_add_u32 v63, 0x100000, v56, -1
	v_lshrrev_b32_e32 v74, v56, v45
	v_lshlrev_b32_e64 v78, v56, 0x80000
	s_delay_alu instid0(VALU_DEP_4) | instskip(NEXT) | instid1(VALU_DEP_4)
	v_add_nc_u32_e32 v56, v56, v14
	v_and_b32_e32 v45, v63, v45
	s_delay_alu instid0(VALU_DEP_4) | instskip(NEXT) | instid1(VALU_DEP_2)
	v_bfe_u32 v77, v74, 20, 1
	v_cmp_eq_u32_e64 s7, v45, v78
	s_delay_alu instid0(VALU_DEP_2) | instskip(NEXT) | instid1(VALU_DEP_1)
	v_add_nc_u32_e32 v63, -1, v77
	v_cndmask_b32_e64 v45, 0, v63, s7
	v_lshrrev_b32_e32 v63, 23, v74
	s_mov_b32 s7, exec_lo
	s_delay_alu instid0(VALU_DEP_2) | instskip(NEXT) | instid1(VALU_DEP_2)
	v_add_nc_u32_e32 v45, v45, v74
	v_xor_b32_e32 v63, 1, v63
	s_delay_alu instid0(VALU_DEP_2) | instskip(NEXT) | instid1(VALU_DEP_1)
	v_and_b32_e32 v14, 0xfffff, v45
	v_add_nc_u32_e32 v45, v14, v74
                                        ; implicit-def: $vgpr14
	s_delay_alu instid0(VALU_DEP_3)
	v_cmpx_ne_u32_e64 v56, v63
	s_xor_b32 s7, exec_lo, s7
; %bb.6251:                             ;   in Loop: Header=BB6_4903 Depth=2
	s_delay_alu instid0(VALU_DEP_2) | instskip(SKIP_2) | instid1(VALU_DEP_2)
	v_cmp_lt_u32_e32 vcc_lo, 0xffffff, v45
	v_sub_nc_u32_e32 v14, v56, v63
	v_cndmask_b32_e64 v56, 0, 1, vcc_lo
	v_add_co_ci_u32_e32 v14, vcc_lo, 0, v14, vcc_lo
	s_delay_alu instid0(VALU_DEP_2)
	v_lshrrev_b32_e32 v45, v56, v45
; %bb.6252:                             ;   in Loop: Header=BB6_4903 Depth=2
	s_and_not1_saveexec_b32 s7, s7
; %bb.6253:                             ;   in Loop: Header=BB6_4903 Depth=2
	s_delay_alu instid0(VALU_DEP_1)
	v_bfe_u32 v14, v45, 23, 1
; %bb.6254:                             ;   in Loop: Header=BB6_4903 Depth=2
	s_or_b32 exec_lo, exec_lo, s7
	v_lshrrev_b32_e32 v45, 20, v45
	s_delay_alu instid0(VALU_DEP_2) | instskip(SKIP_2) | instid1(VALU_DEP_2)
	v_cmp_gt_i32_e32 vcc_lo, 16, v14
	v_lshrrev_b32_e32 v178, 24, v178
	v_min_i32_e32 v56, 15, v14
	v_dual_cndmask_b32 v45, 7, v45 :: v_dual_and_b32 v178, 0x80, v178
	s_delay_alu instid0(VALU_DEP_2) | instskip(NEXT) | instid1(VALU_DEP_2)
	v_lshlrev_b32_e32 v56, 3, v56
	v_or_b32_e32 v14, v14, v45
	s_delay_alu instid0(VALU_DEP_1) | instskip(SKIP_1) | instid1(VALU_DEP_1)
	v_cmp_ne_u32_e32 vcc_lo, 0, v14
	v_and_b32_e32 v63, 7, v45
	v_or3_b32 v178, v56, v178, v63
	s_delay_alu instid0(VALU_DEP_1)
	v_cndmask_b32_e32 v14, 0, v178, vcc_lo
.LBB6_6255:                             ;   in Loop: Header=BB6_4903 Depth=2
	s_or_b32 exec_lo, exec_lo, s24
.LBB6_6256:                             ;   in Loop: Header=BB6_4903 Depth=2
	s_delay_alu instid0(SALU_CYCLE_1) | instskip(SKIP_3) | instid1(VALU_DEP_1)
	s_or_b32 exec_lo, exec_lo, s23
	v_or_b32_e32 v183, v183, v177
	s_mov_b32 s7, 0
	s_mov_b32 s24, exec_lo
                                        ; implicit-def: $sgpr23
	v_and_b32_e32 v178, 0xff, v183
	s_delay_alu instid0(VALU_DEP_1)
	v_cmpx_lt_i16_e64 0x7f, v178
	s_xor_b32 s24, exec_lo, s24
	s_cbranch_execnz .LBB6_7246
; %bb.6257:                             ;   in Loop: Header=BB6_4903 Depth=2
	s_or_saveexec_b32 s24, s24
	v_mov_b32_e32 v177, s23
	s_xor_b32 exec_lo, exec_lo, s24
	s_cbranch_execnz .LBB6_7249
.LBB6_6258:                             ;   in Loop: Header=BB6_4903 Depth=2
	s_or_b32 exec_lo, exec_lo, s24
	s_and_saveexec_b32 s23, s7
	s_cbranch_execz .LBB6_6260
.LBB6_6259:                             ;   in Loop: Header=BB6_4903 Depth=2
	v_bfe_u32 v56, v183, 3, 4
	v_lshlrev_b32_e32 v63, 24, v183
	s_delay_alu instid0(VALU_DEP_2) | instskip(SKIP_1) | instid1(VALU_DEP_1)
	v_cmp_eq_u32_e32 vcc_lo, 0, v56
	v_and_b32_e32 v177, 7, v183
	v_clz_i32_u32_e32 v178, v177
	s_delay_alu instid0(VALU_DEP_1) | instskip(NEXT) | instid1(VALU_DEP_1)
	v_min_u32_e32 v178, 32, v178
	v_subrev_nc_u32_e32 v45, 28, v178
	v_sub_nc_u32_e32 v178, 29, v178
	s_delay_alu instid0(VALU_DEP_1) | instskip(NEXT) | instid1(VALU_DEP_1)
	v_dual_cndmask_b32 v178, v56, v178 :: v_dual_lshlrev_b32 v45, v45, v183
	v_and_b32_e32 v45, 7, v45
	s_delay_alu instid0(VALU_DEP_2) | instskip(NEXT) | instid1(VALU_DEP_2)
	v_lshl_add_u32 v178, v178, 23, 0x3b800000
	v_cndmask_b32_e32 v177, v177, v45, vcc_lo
	v_and_b32_e32 v45, 0x80000000, v63
	s_delay_alu instid0(VALU_DEP_2) | instskip(NEXT) | instid1(VALU_DEP_1)
	v_lshlrev_b32_e32 v177, 20, v177
	v_or3_b32 v177, v45, v178, v177
.LBB6_6260:                             ;   in Loop: Header=BB6_4903 Depth=2
	s_or_b32 exec_lo, exec_lo, s23
	v_and_b32_e32 v45, 0xff, v15
	s_mov_b32 s7, 0
	s_mov_b32 s24, exec_lo
                                        ; implicit-def: $sgpr23
	s_delay_alu instid0(VALU_DEP_1)
	v_cmpx_lt_i16_e32 0x7f, v45
	s_xor_b32 s24, exec_lo, s24
	s_cbranch_execnz .LBB6_7250
; %bb.6261:                             ;   in Loop: Header=BB6_4903 Depth=2
	s_or_saveexec_b32 s24, s24
	v_mov_b32_e32 v178, s23
	s_xor_b32 exec_lo, exec_lo, s24
	s_cbranch_execnz .LBB6_7253
.LBB6_6262:                             ;   in Loop: Header=BB6_4903 Depth=2
	s_or_b32 exec_lo, exec_lo, s24
	s_and_saveexec_b32 s23, s7
	s_cbranch_execz .LBB6_6264
.LBB6_6263:                             ;   in Loop: Header=BB6_4903 Depth=2
	v_bfe_u32 v63, v15, 3, 4
	v_lshlrev_b32_e32 v74, 24, v15
	s_delay_alu instid0(VALU_DEP_2) | instskip(SKIP_1) | instid1(VALU_DEP_1)
	v_cmp_eq_u32_e32 vcc_lo, 0, v63
	v_and_b32_e32 v178, 7, v15
	v_clz_i32_u32_e32 v45, v178
	s_delay_alu instid0(VALU_DEP_1) | instskip(NEXT) | instid1(VALU_DEP_1)
	v_min_u32_e32 v45, 32, v45
	v_subrev_nc_u32_e32 v56, 28, v45
	v_sub_nc_u32_e32 v45, 29, v45
	s_delay_alu instid0(VALU_DEP_1) | instskip(NEXT) | instid1(VALU_DEP_1)
	v_dual_cndmask_b32 v45, v63, v45 :: v_dual_lshlrev_b32 v56, v56, v15
	v_and_b32_e32 v56, 7, v56
	s_delay_alu instid0(VALU_DEP_2) | instskip(NEXT) | instid1(VALU_DEP_2)
	v_lshl_add_u32 v45, v45, 23, 0x3b800000
	v_cndmask_b32_e32 v178, v178, v56, vcc_lo
	v_and_b32_e32 v56, 0x80000000, v74
	s_delay_alu instid0(VALU_DEP_2) | instskip(NEXT) | instid1(VALU_DEP_1)
	v_lshlrev_b32_e32 v178, 20, v178
	v_or3_b32 v178, v56, v45, v178
.LBB6_6264:                             ;   in Loop: Header=BB6_4903 Depth=2
	s_or_b32 exec_lo, exec_lo, s23
	s_delay_alu instid0(VALU_DEP_1) | instskip(NEXT) | instid1(VALU_DEP_1)
	v_add_f32_e32 v178, v177, v178
	v_and_b32_e32 v177, 0x7f800000, v178
	s_delay_alu instid0(VALU_DEP_1)
	v_cmp_ne_u32_e32 vcc_lo, 0x7f800000, v177
	v_mov_b32_e32 v177, 0x80
	s_and_saveexec_b32 s23, vcc_lo
	s_cbranch_execz .LBB6_6272
; %bb.6265:                             ;   in Loop: Header=BB6_4903 Depth=2
	v_mov_b32_e32 v177, 0
	s_mov_b32 s24, exec_lo
	v_cmpx_ne_u32_e32 0, v178
	s_cbranch_execz .LBB6_6271
; %bb.6266:                             ;   in Loop: Header=BB6_4903 Depth=2
	v_bfe_u32 v177, v178, 23, 8
	s_delay_alu instid0(VALU_DEP_1) | instskip(SKIP_1) | instid1(VALU_DEP_2)
	v_sub_nc_u32_e32 v56, 0x78, v177
	v_cmp_gt_u32_e32 vcc_lo, 0x79, v177
	v_dual_cndmask_b32 v56, 0, v56 :: v_dual_and_b32 v45, 0x7fffff, v178
	s_delay_alu instid0(VALU_DEP_1) | instskip(SKIP_2) | instid1(VALU_DEP_4)
	v_or_b32_e32 v63, 0x800000, v45
	v_cmp_eq_u32_e32 vcc_lo, 0, v177
	v_add_nc_u32_e32 v177, 0xffffff89, v177
	v_cndmask_b32_e64 v56, v56, 0x77, vcc_lo
	s_delay_alu instid0(VALU_DEP_4) | instskip(NEXT) | instid1(VALU_DEP_3)
	v_cndmask_b32_e32 v45, v63, v45, vcc_lo
	v_cndmask_b32_e64 v177, v177, 0xffffff8a, vcc_lo
	s_delay_alu instid0(VALU_DEP_3) | instskip(NEXT) | instid1(VALU_DEP_3)
	v_lshl_add_u32 v63, 0x100000, v56, -1
	v_lshrrev_b32_e32 v74, v56, v45
	v_lshlrev_b32_e64 v78, v56, 0x80000
	s_delay_alu instid0(VALU_DEP_4) | instskip(NEXT) | instid1(VALU_DEP_4)
	v_add_nc_u32_e32 v56, v56, v177
	v_and_b32_e32 v45, v63, v45
	s_delay_alu instid0(VALU_DEP_4) | instskip(NEXT) | instid1(VALU_DEP_2)
	v_bfe_u32 v77, v74, 20, 1
	v_cmp_eq_u32_e64 s7, v45, v78
	s_delay_alu instid0(VALU_DEP_2) | instskip(NEXT) | instid1(VALU_DEP_1)
	v_add_nc_u32_e32 v63, -1, v77
	v_cndmask_b32_e64 v45, 0, v63, s7
	v_lshrrev_b32_e32 v63, 23, v74
	s_mov_b32 s7, exec_lo
	s_delay_alu instid0(VALU_DEP_2) | instskip(NEXT) | instid1(VALU_DEP_2)
	v_add_nc_u32_e32 v45, v45, v74
	v_xor_b32_e32 v63, 1, v63
	s_delay_alu instid0(VALU_DEP_2) | instskip(NEXT) | instid1(VALU_DEP_1)
	v_and_b32_e32 v177, 0xfffff, v45
	v_add_nc_u32_e32 v45, v177, v74
                                        ; implicit-def: $vgpr177
	s_delay_alu instid0(VALU_DEP_3)
	v_cmpx_ne_u32_e64 v56, v63
	s_xor_b32 s7, exec_lo, s7
; %bb.6267:                             ;   in Loop: Header=BB6_4903 Depth=2
	s_delay_alu instid0(VALU_DEP_2) | instskip(SKIP_2) | instid1(VALU_DEP_2)
	v_cmp_lt_u32_e32 vcc_lo, 0xffffff, v45
	v_sub_nc_u32_e32 v177, v56, v63
	v_cndmask_b32_e64 v56, 0, 1, vcc_lo
	v_add_co_ci_u32_e32 v177, vcc_lo, 0, v177, vcc_lo
	s_delay_alu instid0(VALU_DEP_2)
	v_lshrrev_b32_e32 v45, v56, v45
; %bb.6268:                             ;   in Loop: Header=BB6_4903 Depth=2
	s_and_not1_saveexec_b32 s7, s7
; %bb.6269:                             ;   in Loop: Header=BB6_4903 Depth=2
	s_delay_alu instid0(VALU_DEP_1)
	v_bfe_u32 v177, v45, 23, 1
; %bb.6270:                             ;   in Loop: Header=BB6_4903 Depth=2
	s_or_b32 exec_lo, exec_lo, s7
	v_lshrrev_b32_e32 v45, 20, v45
	s_delay_alu instid0(VALU_DEP_2) | instskip(SKIP_2) | instid1(VALU_DEP_2)
	v_cmp_gt_i32_e32 vcc_lo, 16, v177
	v_lshrrev_b32_e32 v178, 24, v178
	v_min_i32_e32 v56, 15, v177
	v_dual_cndmask_b32 v45, 7, v45 :: v_dual_and_b32 v178, 0x80, v178
	s_delay_alu instid0(VALU_DEP_1) | instskip(SKIP_1) | instid1(VALU_DEP_2)
	v_or_b32_e32 v177, v177, v45
	v_and_b32_e32 v63, 7, v45
	v_cmp_ne_u32_e32 vcc_lo, 0, v177
	v_lshlrev_b32_e32 v56, 3, v56
	s_delay_alu instid0(VALU_DEP_1) | instskip(NEXT) | instid1(VALU_DEP_1)
	v_or3_b32 v178, v56, v178, v63
	v_cndmask_b32_e32 v177, 0, v178, vcc_lo
.LBB6_6271:                             ;   in Loop: Header=BB6_4903 Depth=2
	s_or_b32 exec_lo, exec_lo, s24
.LBB6_6272:                             ;   in Loop: Header=BB6_4903 Depth=2
	s_delay_alu instid0(SALU_CYCLE_1) | instskip(SKIP_3) | instid1(VALU_DEP_1)
	s_or_b32 exec_lo, exec_lo, s23
	v_lshrrev_b16 v45, 8, v183
	s_mov_b32 s7, 0
	s_mov_b32 s24, exec_lo
                                        ; implicit-def: $sgpr23
	v_cmpx_lt_i16_e32 0x7f, v45
	s_xor_b32 s24, exec_lo, s24
	s_cbranch_execnz .LBB6_7254
; %bb.6273:                             ;   in Loop: Header=BB6_4903 Depth=2
	s_or_saveexec_b32 s24, s24
	v_mov_b32_e32 v178, s23
	s_xor_b32 exec_lo, exec_lo, s24
	s_cbranch_execnz .LBB6_7257
.LBB6_6274:                             ;   in Loop: Header=BB6_4903 Depth=2
	s_or_b32 exec_lo, exec_lo, s24
	s_and_saveexec_b32 s23, s7
	s_cbranch_execz .LBB6_6276
.LBB6_6275:                             ;   in Loop: Header=BB6_4903 Depth=2
	v_and_b32_e32 v178, 0xffff, v45
	s_delay_alu instid0(VALU_DEP_1) | instskip(NEXT) | instid1(VALU_DEP_1)
	v_and_b32_e32 v56, 7, v178
	v_clz_i32_u32_e32 v63, v56
	s_delay_alu instid0(VALU_DEP_1) | instskip(NEXT) | instid1(VALU_DEP_1)
	v_min_u32_e32 v63, 32, v63
	v_subrev_nc_u32_e32 v74, 28, v63
	v_sub_nc_u32_e32 v63, 29, v63
	s_delay_alu instid0(VALU_DEP_2) | instskip(SKIP_1) | instid1(VALU_DEP_2)
	v_lshlrev_b32_e32 v74, v74, v178
	v_bfe_u32 v178, v178, 3, 4
	v_and_b32_e32 v74, 7, v74
	s_delay_alu instid0(VALU_DEP_2) | instskip(SKIP_1) | instid1(VALU_DEP_1)
	v_cmp_eq_u32_e32 vcc_lo, 0, v178
	v_dual_cndmask_b32 v178, v178, v63 :: v_dual_lshlrev_b32 v45, 24, v45
	v_dual_cndmask_b32 v56, v56, v74 :: v_dual_and_b32 v45, 0x80000000, v45
	s_delay_alu instid0(VALU_DEP_2) | instskip(NEXT) | instid1(VALU_DEP_2)
	v_lshl_add_u32 v178, v178, 23, 0x3b800000
	v_lshlrev_b32_e32 v56, 20, v56
	s_delay_alu instid0(VALU_DEP_1)
	v_or3_b32 v178, v45, v178, v56
.LBB6_6276:                             ;   in Loop: Header=BB6_4903 Depth=2
	s_or_b32 exec_lo, exec_lo, s23
	v_lshrrev_b16 v45, 8, v15
	s_mov_b32 s7, 0
	s_mov_b32 s24, exec_lo
                                        ; implicit-def: $sgpr23
	s_delay_alu instid0(VALU_DEP_1)
	v_cmpx_lt_i16_e32 0x7f, v45
	s_xor_b32 s24, exec_lo, s24
	s_cbranch_execnz .LBB6_7258
; %bb.6277:                             ;   in Loop: Header=BB6_4903 Depth=2
	s_or_saveexec_b32 s24, s24
	v_mov_b32_e32 v56, s23
	s_xor_b32 exec_lo, exec_lo, s24
	s_cbranch_execnz .LBB6_7261
.LBB6_6278:                             ;   in Loop: Header=BB6_4903 Depth=2
	s_or_b32 exec_lo, exec_lo, s24
	s_and_saveexec_b32 s23, s7
	s_cbranch_execz .LBB6_6280
.LBB6_6279:                             ;   in Loop: Header=BB6_4903 Depth=2
	v_and_b32_e32 v56, 0xffff, v45
	v_lshlrev_b32_e32 v45, 24, v45
	s_delay_alu instid0(VALU_DEP_2) | instskip(NEXT) | instid1(VALU_DEP_2)
	v_and_b32_e32 v63, 7, v56
	v_and_b32_e32 v45, 0x80000000, v45
	s_delay_alu instid0(VALU_DEP_2) | instskip(NEXT) | instid1(VALU_DEP_1)
	v_clz_i32_u32_e32 v74, v63
	v_min_u32_e32 v74, 32, v74
	s_delay_alu instid0(VALU_DEP_1) | instskip(SKIP_1) | instid1(VALU_DEP_2)
	v_subrev_nc_u32_e32 v77, 28, v74
	v_sub_nc_u32_e32 v74, 29, v74
	v_lshlrev_b32_e32 v77, v77, v56
	v_bfe_u32 v56, v56, 3, 4
	s_delay_alu instid0(VALU_DEP_2) | instskip(NEXT) | instid1(VALU_DEP_2)
	v_and_b32_e32 v77, 7, v77
	v_cmp_eq_u32_e32 vcc_lo, 0, v56
	s_delay_alu instid0(VALU_DEP_2) | instskip(NEXT) | instid1(VALU_DEP_1)
	v_dual_cndmask_b32 v56, v56, v74 :: v_dual_cndmask_b32 v63, v63, v77
	v_lshl_add_u32 v56, v56, 23, 0x3b800000
	s_delay_alu instid0(VALU_DEP_2) | instskip(NEXT) | instid1(VALU_DEP_1)
	v_lshlrev_b32_e32 v63, 20, v63
	v_or3_b32 v56, v45, v56, v63
.LBB6_6280:                             ;   in Loop: Header=BB6_4903 Depth=2
	s_or_b32 exec_lo, exec_lo, s23
	s_delay_alu instid0(VALU_DEP_1) | instskip(NEXT) | instid1(VALU_DEP_1)
	v_add_f32_e32 v45, v178, v56
	v_and_b32_e32 v178, 0x7f800000, v45
	s_delay_alu instid0(VALU_DEP_1)
	v_cmp_ne_u32_e32 vcc_lo, 0x7f800000, v178
	v_mov_b32_e32 v178, 0x8000
	s_and_saveexec_b32 s23, vcc_lo
	s_cbranch_execz .LBB6_6288
; %bb.6281:                             ;   in Loop: Header=BB6_4903 Depth=2
	v_mov_b32_e32 v178, 0
	s_mov_b32 s24, exec_lo
	v_cmpx_ne_u32_e32 0, v45
	s_cbranch_execz .LBB6_6287
; %bb.6282:                             ;   in Loop: Header=BB6_4903 Depth=2
	v_bfe_u32 v178, v45, 23, 8
	s_delay_alu instid0(VALU_DEP_1) | instskip(SKIP_1) | instid1(VALU_DEP_2)
	v_sub_nc_u32_e32 v63, 0x78, v178
	v_cmp_gt_u32_e32 vcc_lo, 0x79, v178
	v_dual_cndmask_b32 v63, 0, v63 :: v_dual_and_b32 v56, 0x7fffff, v45
	s_delay_alu instid0(VALU_DEP_1) | instskip(SKIP_2) | instid1(VALU_DEP_4)
	v_or_b32_e32 v74, 0x800000, v56
	v_cmp_eq_u32_e32 vcc_lo, 0, v178
	v_add_nc_u32_e32 v178, 0xffffff89, v178
	v_cndmask_b32_e64 v63, v63, 0x77, vcc_lo
	s_delay_alu instid0(VALU_DEP_2) | instskip(SKIP_1) | instid1(VALU_DEP_3)
	v_cndmask_b32_e64 v178, v178, 0xffffff8a, vcc_lo
	v_cndmask_b32_e32 v56, v74, v56, vcc_lo
	v_lshl_add_u32 v74, 0x100000, v63, -1
	v_lshlrev_b32_e64 v79, v63, 0x80000
	s_delay_alu instid0(VALU_DEP_3) | instskip(SKIP_1) | instid1(VALU_DEP_4)
	v_lshrrev_b32_e32 v77, v63, v56
	v_add_nc_u32_e32 v63, v63, v178
	v_and_b32_e32 v56, v74, v56
	s_delay_alu instid0(VALU_DEP_3) | instskip(NEXT) | instid1(VALU_DEP_2)
	v_bfe_u32 v78, v77, 20, 1
	v_cmp_eq_u32_e64 s7, v56, v79
	s_delay_alu instid0(VALU_DEP_2) | instskip(NEXT) | instid1(VALU_DEP_1)
	v_add_nc_u32_e32 v74, -1, v78
	v_cndmask_b32_e64 v56, 0, v74, s7
	v_lshrrev_b32_e32 v74, 23, v77
	s_mov_b32 s7, exec_lo
	s_delay_alu instid0(VALU_DEP_2) | instskip(NEXT) | instid1(VALU_DEP_2)
	v_add_nc_u32_e32 v56, v56, v77
	v_xor_b32_e32 v74, 1, v74
	s_delay_alu instid0(VALU_DEP_2) | instskip(NEXT) | instid1(VALU_DEP_1)
	v_and_b32_e32 v178, 0xfffff, v56
	v_add_nc_u32_e32 v56, v178, v77
                                        ; implicit-def: $vgpr178
	s_delay_alu instid0(VALU_DEP_3)
	v_cmpx_ne_u32_e64 v63, v74
	s_xor_b32 s7, exec_lo, s7
; %bb.6283:                             ;   in Loop: Header=BB6_4903 Depth=2
	s_delay_alu instid0(VALU_DEP_2) | instskip(SKIP_2) | instid1(VALU_DEP_2)
	v_cmp_lt_u32_e32 vcc_lo, 0xffffff, v56
	v_sub_nc_u32_e32 v178, v63, v74
	v_cndmask_b32_e64 v63, 0, 1, vcc_lo
	v_add_co_ci_u32_e32 v178, vcc_lo, 0, v178, vcc_lo
	s_delay_alu instid0(VALU_DEP_2)
	v_lshrrev_b32_e32 v56, v63, v56
; %bb.6284:                             ;   in Loop: Header=BB6_4903 Depth=2
	s_and_not1_saveexec_b32 s7, s7
; %bb.6285:                             ;   in Loop: Header=BB6_4903 Depth=2
	s_delay_alu instid0(VALU_DEP_1)
	v_bfe_u32 v178, v56, 23, 1
; %bb.6286:                             ;   in Loop: Header=BB6_4903 Depth=2
	s_or_b32 exec_lo, exec_lo, s7
	v_lshrrev_b32_e32 v56, 20, v56
	s_delay_alu instid0(VALU_DEP_2) | instskip(SKIP_2) | instid1(VALU_DEP_2)
	v_cmp_gt_i32_e32 vcc_lo, 16, v178
	v_min_i32_e32 v63, 15, v178
	v_lshrrev_b32_e32 v45, 24, v45
	v_dual_cndmask_b32 v56, 7, v56 :: v_dual_lshlrev_b32 v63, 3, v63
	s_delay_alu instid0(VALU_DEP_2) | instskip(NEXT) | instid1(VALU_DEP_2)
	v_and_b32_e32 v45, 0x80, v45
	v_or_b32_e32 v178, v178, v56
	v_and_b32_e32 v74, 7, v56
	s_delay_alu instid0(VALU_DEP_2) | instskip(SKIP_1) | instid1(VALU_DEP_1)
	v_cmp_ne_u32_e32 vcc_lo, 0, v178
	v_and_b32_e32 v63, 0xf8, v63
	v_or3_b32 v45, v45, v63, v74
	s_delay_alu instid0(VALU_DEP_1) | instskip(NEXT) | instid1(VALU_DEP_1)
	v_lshlrev_b32_e32 v45, 8, v45
	v_cndmask_b32_e32 v178, 0, v45, vcc_lo
.LBB6_6287:                             ;   in Loop: Header=BB6_4903 Depth=2
	s_or_b32 exec_lo, exec_lo, s24
.LBB6_6288:                             ;   in Loop: Header=BB6_4903 Depth=2
	s_delay_alu instid0(SALU_CYCLE_1) | instskip(SKIP_3) | instid1(VALU_DEP_1)
	s_or_b32 exec_lo, exec_lo, s23
	v_or_b32_e32 v179, v179, v167
	s_mov_b32 s7, 0
	s_mov_b32 s24, exec_lo
                                        ; implicit-def: $sgpr23
	v_and_b32_e32 v45, 0xff, v179
	s_delay_alu instid0(VALU_DEP_1)
	v_cmpx_lt_i16_e32 0x7f, v45
	s_xor_b32 s24, exec_lo, s24
	s_cbranch_execnz .LBB6_7262
; %bb.6289:                             ;   in Loop: Header=BB6_4903 Depth=2
	s_or_saveexec_b32 s24, s24
	v_mov_b32_e32 v167, s23
	s_xor_b32 exec_lo, exec_lo, s24
	s_cbranch_execnz .LBB6_7265
.LBB6_6290:                             ;   in Loop: Header=BB6_4903 Depth=2
	s_or_b32 exec_lo, exec_lo, s24
	v_lshl_or_b32 v179, v179, 16, v183
	s_and_saveexec_b32 s23, s7
	s_cbranch_execz .LBB6_6292
.LBB6_6291:                             ;   in Loop: Header=BB6_4903 Depth=2
	s_delay_alu instid0(VALU_DEP_1) | instskip(SKIP_2) | instid1(VALU_DEP_3)
	v_bfe_u32 v167, v179, 16, 3
	v_lshrrev_b32_e32 v45, 16, v179
	v_lshlrev_b32_e32 v63, 8, v179
	v_clz_i32_u32_e32 v183, v167
	s_delay_alu instid0(VALU_DEP_1) | instskip(NEXT) | instid1(VALU_DEP_1)
	v_min_u32_e32 v183, 32, v183
	v_subrev_nc_u32_e32 v56, 28, v183
	v_sub_nc_u32_e32 v183, 29, v183
	s_delay_alu instid0(VALU_DEP_2) | instskip(SKIP_1) | instid1(VALU_DEP_2)
	v_lshlrev_b32_e32 v45, v56, v45
	v_bfe_u32 v56, v179, 19, 4
	v_and_b32_e32 v45, 7, v45
	s_delay_alu instid0(VALU_DEP_2) | instskip(SKIP_1) | instid1(VALU_DEP_3)
	v_cmp_eq_u32_e32 vcc_lo, 0, v56
	v_cndmask_b32_e32 v183, v56, v183, vcc_lo
	v_cndmask_b32_e32 v167, v167, v45, vcc_lo
	v_and_b32_e32 v45, 0x80000000, v63
	s_delay_alu instid0(VALU_DEP_3) | instskip(NEXT) | instid1(VALU_DEP_3)
	v_lshl_add_u32 v183, v183, 23, 0x3b800000
	v_lshlrev_b32_e32 v167, 20, v167
	s_delay_alu instid0(VALU_DEP_1)
	v_or3_b32 v167, v45, v183, v167
.LBB6_6292:                             ;   in Loop: Header=BB6_4903 Depth=2
	s_or_b32 exec_lo, exec_lo, s23
	v_lshrrev_b32_e32 v183, 16, v15
	s_mov_b32 s7, 0
	s_mov_b32 s24, exec_lo
                                        ; implicit-def: $sgpr23
	s_delay_alu instid0(VALU_DEP_1) | instskip(NEXT) | instid1(VALU_DEP_1)
	v_and_b32_e32 v56, 0xff, v183
	v_cmpx_lt_i16_e32 0x7f, v56
	s_xor_b32 s24, exec_lo, s24
	s_cbranch_execnz .LBB6_7266
; %bb.6293:                             ;   in Loop: Header=BB6_4903 Depth=2
	s_or_saveexec_b32 s24, s24
	v_mov_b32_e32 v45, s23
	s_xor_b32 exec_lo, exec_lo, s24
	s_cbranch_execnz .LBB6_7269
.LBB6_6294:                             ;   in Loop: Header=BB6_4903 Depth=2
	s_or_b32 exec_lo, exec_lo, s24
	s_and_saveexec_b32 s23, s7
	s_cbranch_execz .LBB6_6296
.LBB6_6295:                             ;   in Loop: Header=BB6_4903 Depth=2
	v_bfe_u32 v45, v15, 16, 3
	v_lshlrev_b32_e32 v74, 8, v15
	s_delay_alu instid0(VALU_DEP_2) | instskip(NEXT) | instid1(VALU_DEP_1)
	v_clz_i32_u32_e32 v56, v45
	v_min_u32_e32 v56, 32, v56
	s_delay_alu instid0(VALU_DEP_1) | instskip(SKIP_1) | instid1(VALU_DEP_2)
	v_subrev_nc_u32_e32 v63, 28, v56
	v_sub_nc_u32_e32 v56, 29, v56
	v_lshlrev_b32_e32 v183, v63, v183
	v_bfe_u32 v63, v15, 19, 4
	s_delay_alu instid0(VALU_DEP_1) | instskip(NEXT) | instid1(VALU_DEP_3)
	v_cmp_eq_u32_e32 vcc_lo, 0, v63
	v_dual_cndmask_b32 v56, v63, v56 :: v_dual_and_b32 v183, 7, v183
	s_delay_alu instid0(VALU_DEP_1) | instskip(SKIP_1) | instid1(VALU_DEP_3)
	v_cndmask_b32_e32 v183, v45, v183, vcc_lo
	v_and_b32_e32 v45, 0x80000000, v74
	v_lshl_add_u32 v56, v56, 23, 0x3b800000
	s_delay_alu instid0(VALU_DEP_3) | instskip(NEXT) | instid1(VALU_DEP_1)
	v_lshlrev_b32_e32 v183, 20, v183
	v_or3_b32 v45, v45, v56, v183
.LBB6_6296:                             ;   in Loop: Header=BB6_4903 Depth=2
	s_or_b32 exec_lo, exec_lo, s23
	s_delay_alu instid0(VALU_DEP_1) | instskip(NEXT) | instid1(VALU_DEP_1)
	v_add_f32_e32 v183, v167, v45
	v_and_b32_e32 v167, 0x7f800000, v183
	s_delay_alu instid0(VALU_DEP_1)
	v_cmp_ne_u32_e32 vcc_lo, 0x7f800000, v167
	v_mov_b32_e32 v167, 0x80
	s_and_saveexec_b32 s23, vcc_lo
	s_cbranch_execz .LBB6_6304
; %bb.6297:                             ;   in Loop: Header=BB6_4903 Depth=2
	v_mov_b32_e32 v167, 0
	s_mov_b32 s24, exec_lo
	v_cmpx_ne_u32_e32 0, v183
	s_cbranch_execz .LBB6_6303
; %bb.6298:                             ;   in Loop: Header=BB6_4903 Depth=2
	v_bfe_u32 v167, v183, 23, 8
	s_delay_alu instid0(VALU_DEP_1) | instskip(SKIP_1) | instid1(VALU_DEP_2)
	v_sub_nc_u32_e32 v56, 0x78, v167
	v_cmp_gt_u32_e32 vcc_lo, 0x79, v167
	v_dual_cndmask_b32 v56, 0, v56 :: v_dual_and_b32 v45, 0x7fffff, v183
	s_delay_alu instid0(VALU_DEP_1) | instskip(SKIP_2) | instid1(VALU_DEP_4)
	v_or_b32_e32 v63, 0x800000, v45
	v_cmp_eq_u32_e32 vcc_lo, 0, v167
	v_add_nc_u32_e32 v167, 0xffffff89, v167
	v_cndmask_b32_e64 v56, v56, 0x77, vcc_lo
	s_delay_alu instid0(VALU_DEP_2) | instskip(SKIP_1) | instid1(VALU_DEP_3)
	v_cndmask_b32_e64 v167, v167, 0xffffff8a, vcc_lo
	v_cndmask_b32_e32 v45, v63, v45, vcc_lo
	v_lshl_add_u32 v63, 0x100000, v56, -1
	v_lshlrev_b32_e64 v78, v56, 0x80000
	s_delay_alu instid0(VALU_DEP_3) | instskip(SKIP_1) | instid1(VALU_DEP_4)
	v_lshrrev_b32_e32 v74, v56, v45
	v_add_nc_u32_e32 v56, v56, v167
	v_and_b32_e32 v45, v63, v45
	s_delay_alu instid0(VALU_DEP_3) | instskip(NEXT) | instid1(VALU_DEP_2)
	v_bfe_u32 v77, v74, 20, 1
	v_cmp_eq_u32_e64 s7, v45, v78
	s_delay_alu instid0(VALU_DEP_2) | instskip(NEXT) | instid1(VALU_DEP_1)
	v_add_nc_u32_e32 v63, -1, v77
	v_cndmask_b32_e64 v45, 0, v63, s7
	v_lshrrev_b32_e32 v63, 23, v74
	s_mov_b32 s7, exec_lo
	s_delay_alu instid0(VALU_DEP_2) | instskip(NEXT) | instid1(VALU_DEP_2)
	v_add_nc_u32_e32 v45, v45, v74
	v_xor_b32_e32 v63, 1, v63
	s_delay_alu instid0(VALU_DEP_2) | instskip(NEXT) | instid1(VALU_DEP_1)
	v_and_b32_e32 v167, 0xfffff, v45
	v_add_nc_u32_e32 v45, v167, v74
                                        ; implicit-def: $vgpr167
	s_delay_alu instid0(VALU_DEP_3)
	v_cmpx_ne_u32_e64 v56, v63
	s_xor_b32 s7, exec_lo, s7
; %bb.6299:                             ;   in Loop: Header=BB6_4903 Depth=2
	s_delay_alu instid0(VALU_DEP_2) | instskip(SKIP_2) | instid1(VALU_DEP_2)
	v_cmp_lt_u32_e32 vcc_lo, 0xffffff, v45
	v_sub_nc_u32_e32 v167, v56, v63
	v_cndmask_b32_e64 v56, 0, 1, vcc_lo
	v_add_co_ci_u32_e32 v167, vcc_lo, 0, v167, vcc_lo
	s_delay_alu instid0(VALU_DEP_2)
	v_lshrrev_b32_e32 v45, v56, v45
; %bb.6300:                             ;   in Loop: Header=BB6_4903 Depth=2
	s_and_not1_saveexec_b32 s7, s7
; %bb.6301:                             ;   in Loop: Header=BB6_4903 Depth=2
	s_delay_alu instid0(VALU_DEP_1)
	v_bfe_u32 v167, v45, 23, 1
; %bb.6302:                             ;   in Loop: Header=BB6_4903 Depth=2
	s_or_b32 exec_lo, exec_lo, s7
	v_lshrrev_b32_e32 v45, 20, v45
	s_delay_alu instid0(VALU_DEP_2) | instskip(SKIP_2) | instid1(VALU_DEP_2)
	v_cmp_gt_i32_e32 vcc_lo, 16, v167
	v_min_i32_e32 v56, 15, v167
	v_lshrrev_b32_e32 v183, 24, v183
	v_dual_cndmask_b32 v45, 7, v45 :: v_dual_lshlrev_b32 v56, 3, v56
	s_delay_alu instid0(VALU_DEP_2) | instskip(NEXT) | instid1(VALU_DEP_2)
	v_and_b32_e32 v183, 0x80, v183
	v_or_b32_e32 v167, v167, v45
	v_and_b32_e32 v63, 7, v45
	s_delay_alu instid0(VALU_DEP_2) | instskip(SKIP_1) | instid1(VALU_DEP_1)
	v_cmp_ne_u32_e32 vcc_lo, 0, v167
	v_and_b32_e32 v56, 0xf8, v56
	v_or3_b32 v183, v56, v183, v63
	s_delay_alu instid0(VALU_DEP_1)
	v_cndmask_b32_e32 v167, 0, v183, vcc_lo
.LBB6_6303:                             ;   in Loop: Header=BB6_4903 Depth=2
	s_or_b32 exec_lo, exec_lo, s24
.LBB6_6304:                             ;   in Loop: Header=BB6_4903 Depth=2
	s_delay_alu instid0(SALU_CYCLE_1) | instskip(SKIP_3) | instid1(VALU_DEP_1)
	s_or_b32 exec_lo, exec_lo, s23
	v_lshrrev_b32_e32 v45, 24, v179
	s_mov_b32 s7, 0
	s_mov_b32 s24, exec_lo
                                        ; implicit-def: $sgpr23
	v_cmpx_lt_i16_e32 0x7f, v45
	s_xor_b32 s24, exec_lo, s24
	s_cbranch_execnz .LBB6_7270
; %bb.6305:                             ;   in Loop: Header=BB6_4903 Depth=2
	s_or_saveexec_b32 s24, s24
	v_mov_b32_e32 v183, s23
	s_xor_b32 exec_lo, exec_lo, s24
	s_cbranch_execnz .LBB6_7273
.LBB6_6306:                             ;   in Loop: Header=BB6_4903 Depth=2
	s_or_b32 exec_lo, exec_lo, s24
	s_and_saveexec_b32 s23, s7
	s_cbranch_execz .LBB6_6308
.LBB6_6307:                             ;   in Loop: Header=BB6_4903 Depth=2
	v_bfe_u32 v183, v179, 24, 3
	s_delay_alu instid0(VALU_DEP_1) | instskip(NEXT) | instid1(VALU_DEP_1)
	v_clz_i32_u32_e32 v56, v183
	v_min_u32_e32 v56, 32, v56
	s_delay_alu instid0(VALU_DEP_1) | instskip(SKIP_1) | instid1(VALU_DEP_2)
	v_subrev_nc_u32_e32 v63, 28, v56
	v_sub_nc_u32_e32 v56, 29, v56
	v_lshlrev_b32_e32 v45, v63, v45
	v_bfe_u32 v63, v179, 27, 4
	v_and_b32_e32 v179, 0x80000000, v179
	s_delay_alu instid0(VALU_DEP_2) | instskip(NEXT) | instid1(VALU_DEP_4)
	v_cmp_eq_u32_e32 vcc_lo, 0, v63
	v_dual_cndmask_b32 v56, v63, v56 :: v_dual_and_b32 v45, 7, v45
	s_delay_alu instid0(VALU_DEP_1) | instskip(NEXT) | instid1(VALU_DEP_2)
	v_cndmask_b32_e32 v183, v183, v45, vcc_lo
	v_lshl_add_u32 v45, v56, 23, 0x3b800000
	s_delay_alu instid0(VALU_DEP_2) | instskip(NEXT) | instid1(VALU_DEP_1)
	v_lshlrev_b32_e32 v183, 20, v183
	v_or3_b32 v183, v179, v45, v183
.LBB6_6308:                             ;   in Loop: Header=BB6_4903 Depth=2
	s_or_b32 exec_lo, exec_lo, s23
	v_lshrrev_b32_e32 v179, 24, v15
	s_mov_b32 s7, 0
	s_mov_b32 s24, exec_lo
                                        ; implicit-def: $sgpr23
	s_delay_alu instid0(VALU_DEP_1)
	v_cmpx_lt_i16_e64 0x7f, v179
	s_xor_b32 s24, exec_lo, s24
	s_cbranch_execnz .LBB6_7274
; %bb.6309:                             ;   in Loop: Header=BB6_4903 Depth=2
	s_or_saveexec_b32 s24, s24
	v_mov_b32_e32 v45, s23
	s_xor_b32 exec_lo, exec_lo, s24
	s_cbranch_execnz .LBB6_7277
.LBB6_6310:                             ;   in Loop: Header=BB6_4903 Depth=2
	s_or_b32 exec_lo, exec_lo, s24
	s_and_saveexec_b32 s23, s7
	s_cbranch_execz .LBB6_6312
.LBB6_6311:                             ;   in Loop: Header=BB6_4903 Depth=2
	v_bfe_u32 v45, v15, 24, 3
	s_delay_alu instid0(VALU_DEP_1) | instskip(NEXT) | instid1(VALU_DEP_1)
	v_clz_i32_u32_e32 v56, v45
	v_min_u32_e32 v56, 32, v56
	s_delay_alu instid0(VALU_DEP_1) | instskip(SKIP_1) | instid1(VALU_DEP_2)
	v_subrev_nc_u32_e32 v63, 28, v56
	v_sub_nc_u32_e32 v56, 29, v56
	v_lshlrev_b32_e32 v179, v63, v179
	v_bfe_u32 v63, v15, 27, 4
	v_and_b32_e32 v15, 0x80000000, v15
	s_delay_alu instid0(VALU_DEP_2) | instskip(NEXT) | instid1(VALU_DEP_4)
	v_cmp_eq_u32_e32 vcc_lo, 0, v63
	v_dual_cndmask_b32 v56, v63, v56 :: v_dual_and_b32 v179, 7, v179
	s_delay_alu instid0(VALU_DEP_1) | instskip(NEXT) | instid1(VALU_DEP_2)
	v_cndmask_b32_e32 v179, v45, v179, vcc_lo
	v_lshl_add_u32 v45, v56, 23, 0x3b800000
	s_delay_alu instid0(VALU_DEP_2) | instskip(NEXT) | instid1(VALU_DEP_1)
	v_lshlrev_b32_e32 v179, 20, v179
	v_or3_b32 v45, v15, v45, v179
.LBB6_6312:                             ;   in Loop: Header=BB6_4903 Depth=2
	s_or_b32 exec_lo, exec_lo, s23
	s_delay_alu instid0(VALU_DEP_1) | instskip(NEXT) | instid1(VALU_DEP_1)
	v_add_f32_e32 v179, v183, v45
	v_and_b32_e32 v15, 0x7f800000, v179
	s_delay_alu instid0(VALU_DEP_1)
	v_cmp_ne_u32_e32 vcc_lo, 0x7f800000, v15
	v_mov_b32_e32 v15, 0x8000
	s_and_saveexec_b32 s23, vcc_lo
	s_cbranch_execz .LBB6_6320
; %bb.6313:                             ;   in Loop: Header=BB6_4903 Depth=2
	v_mov_b32_e32 v15, 0
	s_mov_b32 s24, exec_lo
	v_cmpx_ne_u32_e32 0, v179
	s_cbranch_execz .LBB6_6319
; %bb.6314:                             ;   in Loop: Header=BB6_4903 Depth=2
	v_bfe_u32 v15, v179, 23, 8
	v_and_b32_e32 v183, 0x7fffff, v179
	s_delay_alu instid0(VALU_DEP_2) | instskip(SKIP_1) | instid1(VALU_DEP_3)
	v_sub_nc_u32_e32 v45, 0x78, v15
	v_cmp_gt_u32_e32 vcc_lo, 0x79, v15
	v_or_b32_e32 v56, 0x800000, v183
	s_delay_alu instid0(VALU_DEP_3) | instskip(SKIP_2) | instid1(VALU_DEP_3)
	v_cndmask_b32_e32 v45, 0, v45, vcc_lo
	v_cmp_eq_u32_e32 vcc_lo, 0, v15
	v_add_nc_u32_e32 v15, 0xffffff89, v15
	v_cndmask_b32_e64 v45, v45, 0x77, vcc_lo
	v_cndmask_b32_e32 v183, v56, v183, vcc_lo
	s_delay_alu instid0(VALU_DEP_3) | instskip(NEXT) | instid1(VALU_DEP_3)
	v_cndmask_b32_e64 v15, v15, 0xffffff8a, vcc_lo
	v_lshl_add_u32 v56, 0x100000, v45, -1
	s_delay_alu instid0(VALU_DEP_3) | instskip(SKIP_1) | instid1(VALU_DEP_4)
	v_lshrrev_b32_e32 v63, v45, v183
	v_lshlrev_b32_e64 v77, v45, 0x80000
	v_add_nc_u32_e32 v45, v45, v15
	s_delay_alu instid0(VALU_DEP_4) | instskip(NEXT) | instid1(VALU_DEP_4)
	v_and_b32_e32 v183, v56, v183
	v_bfe_u32 v74, v63, 20, 1
	s_delay_alu instid0(VALU_DEP_2) | instskip(NEXT) | instid1(VALU_DEP_2)
	v_cmp_eq_u32_e64 s7, v183, v77
	v_add_nc_u32_e32 v56, -1, v74
	s_delay_alu instid0(VALU_DEP_1) | instskip(SKIP_2) | instid1(VALU_DEP_2)
	v_cndmask_b32_e64 v183, 0, v56, s7
	v_lshrrev_b32_e32 v56, 23, v63
	s_mov_b32 s7, exec_lo
	v_add_nc_u32_e32 v183, v183, v63
	s_delay_alu instid0(VALU_DEP_2) | instskip(NEXT) | instid1(VALU_DEP_2)
	v_xor_b32_e32 v56, 1, v56
	v_and_b32_e32 v15, 0xfffff, v183
	s_delay_alu instid0(VALU_DEP_1) | instskip(NEXT) | instid1(VALU_DEP_3)
	v_add_nc_u32_e32 v183, v15, v63
                                        ; implicit-def: $vgpr15
	v_cmpx_ne_u32_e64 v45, v56
	s_xor_b32 s7, exec_lo, s7
; %bb.6315:                             ;   in Loop: Header=BB6_4903 Depth=2
	s_delay_alu instid0(VALU_DEP_2) | instskip(SKIP_2) | instid1(VALU_DEP_2)
	v_cmp_lt_u32_e32 vcc_lo, 0xffffff, v183
	v_sub_nc_u32_e32 v15, v45, v56
	v_cndmask_b32_e64 v45, 0, 1, vcc_lo
	v_add_co_ci_u32_e32 v15, vcc_lo, 0, v15, vcc_lo
	s_delay_alu instid0(VALU_DEP_2)
	v_lshrrev_b32_e32 v183, v45, v183
; %bb.6316:                             ;   in Loop: Header=BB6_4903 Depth=2
	s_and_not1_saveexec_b32 s7, s7
; %bb.6317:                             ;   in Loop: Header=BB6_4903 Depth=2
	s_delay_alu instid0(VALU_DEP_1)
	v_bfe_u32 v15, v183, 23, 1
; %bb.6318:                             ;   in Loop: Header=BB6_4903 Depth=2
	s_or_b32 exec_lo, exec_lo, s7
	v_lshrrev_b32_e32 v183, 20, v183
	s_delay_alu instid0(VALU_DEP_2) | instskip(SKIP_2) | instid1(VALU_DEP_3)
	v_min_i32_e32 v45, 15, v15
	v_cmp_gt_i32_e32 vcc_lo, 16, v15
	v_lshrrev_b32_e32 v179, 24, v179
	v_lshlrev_b32_e32 v45, 3, v45
	v_cndmask_b32_e32 v183, 7, v183, vcc_lo
	s_delay_alu instid0(VALU_DEP_3) | instskip(NEXT) | instid1(VALU_DEP_3)
	v_and_b32_e32 v179, 0x80, v179
	v_and_b32_e32 v45, 0xf8, v45
	s_delay_alu instid0(VALU_DEP_3) | instskip(SKIP_1) | instid1(VALU_DEP_2)
	v_and_b32_e32 v56, 7, v183
	v_or_b32_e32 v15, v15, v183
	v_or3_b32 v179, v179, v45, v56
	s_delay_alu instid0(VALU_DEP_2) | instskip(NEXT) | instid1(VALU_DEP_2)
	v_cmp_ne_u32_e32 vcc_lo, 0, v15
	v_lshlrev_b32_e32 v179, 8, v179
	s_delay_alu instid0(VALU_DEP_1)
	v_cndmask_b32_e32 v15, 0, v179, vcc_lo
.LBB6_6319:                             ;   in Loop: Header=BB6_4903 Depth=2
	s_or_b32 exec_lo, exec_lo, s24
.LBB6_6320:                             ;   in Loop: Header=BB6_4903 Depth=2
	s_delay_alu instid0(SALU_CYCLE_1) | instskip(SKIP_3) | instid1(VALU_DEP_1)
	s_or_b32 exec_lo, exec_lo, s23
	v_and_b32_e32 v183, 0xff, v166
	s_mov_b32 s7, 0
	s_mov_b32 s24, exec_lo
                                        ; implicit-def: $sgpr23
	v_cmpx_lt_i16_e64 0x7f, v183
	s_xor_b32 s24, exec_lo, s24
	s_cbranch_execnz .LBB6_7278
; %bb.6321:                             ;   in Loop: Header=BB6_4903 Depth=2
	s_or_saveexec_b32 s24, s24
	v_mov_b32_e32 v179, s23
	s_xor_b32 exec_lo, exec_lo, s24
	s_cbranch_execnz .LBB6_7281
.LBB6_6322:                             ;   in Loop: Header=BB6_4903 Depth=2
	s_or_b32 exec_lo, exec_lo, s24
	s_and_saveexec_b32 s23, s7
	s_cbranch_execz .LBB6_6324
.LBB6_6323:                             ;   in Loop: Header=BB6_4903 Depth=2
	v_and_b32_e32 v179, 7, v166
	v_bfe_u32 v56, v166, 3, 4
	s_delay_alu instid0(VALU_DEP_2) | instskip(NEXT) | instid1(VALU_DEP_2)
	v_clz_i32_u32_e32 v183, v179
	v_cmp_eq_u32_e32 vcc_lo, 0, v56
	s_delay_alu instid0(VALU_DEP_2) | instskip(NEXT) | instid1(VALU_DEP_1)
	v_min_u32_e32 v183, 32, v183
	v_subrev_nc_u32_e32 v45, 28, v183
	v_sub_nc_u32_e32 v183, 29, v183
	s_delay_alu instid0(VALU_DEP_2) | instskip(NEXT) | instid1(VALU_DEP_2)
	v_lshlrev_b32_e32 v45, v45, v166
	v_dual_cndmask_b32 v183, v56, v183 :: v_dual_lshlrev_b32 v166, 24, v166
	s_delay_alu instid0(VALU_DEP_2) | instskip(NEXT) | instid1(VALU_DEP_2)
	v_and_b32_e32 v45, 7, v45
	v_and_b32_e32 v166, 0x80000000, v166
	s_delay_alu instid0(VALU_DEP_3) | instskip(NEXT) | instid1(VALU_DEP_3)
	v_lshl_add_u32 v183, v183, 23, 0x3b800000
	v_cndmask_b32_e32 v179, v179, v45, vcc_lo
	s_delay_alu instid0(VALU_DEP_1) | instskip(NEXT) | instid1(VALU_DEP_1)
	v_lshlrev_b32_e32 v179, 20, v179
	v_or3_b32 v179, v166, v183, v179
.LBB6_6324:                             ;   in Loop: Header=BB6_4903 Depth=2
	s_or_b32 exec_lo, exec_lo, s23
	v_and_b32_e32 v183, 0xff, v16
	s_mov_b32 s7, 0
	s_mov_b32 s24, exec_lo
                                        ; implicit-def: $sgpr23
	s_delay_alu instid0(VALU_DEP_1)
	v_cmpx_lt_i16_e64 0x7f, v183
	s_xor_b32 s24, exec_lo, s24
	s_cbranch_execnz .LBB6_7282
; %bb.6325:                             ;   in Loop: Header=BB6_4903 Depth=2
	s_or_saveexec_b32 s24, s24
	v_mov_b32_e32 v166, s23
	s_xor_b32 exec_lo, exec_lo, s24
	s_cbranch_execnz .LBB6_7285
.LBB6_6326:                             ;   in Loop: Header=BB6_4903 Depth=2
	s_or_b32 exec_lo, exec_lo, s24
	s_and_saveexec_b32 s23, s7
	s_cbranch_execz .LBB6_6328
.LBB6_6327:                             ;   in Loop: Header=BB6_4903 Depth=2
	v_bfe_u32 v56, v16, 3, 4
	s_delay_alu instid0(VALU_DEP_1) | instskip(SKIP_1) | instid1(VALU_DEP_1)
	v_cmp_eq_u32_e32 vcc_lo, 0, v56
	v_and_b32_e32 v166, 7, v16
	v_clz_i32_u32_e32 v183, v166
	s_delay_alu instid0(VALU_DEP_1) | instskip(NEXT) | instid1(VALU_DEP_1)
	v_min_u32_e32 v183, 32, v183
	v_subrev_nc_u32_e32 v45, 28, v183
	v_sub_nc_u32_e32 v183, 29, v183
	s_delay_alu instid0(VALU_DEP_2) | instskip(NEXT) | instid1(VALU_DEP_2)
	v_lshlrev_b32_e32 v45, v45, v16
	v_cndmask_b32_e32 v183, v56, v183, vcc_lo
	s_delay_alu instid0(VALU_DEP_2) | instskip(SKIP_1) | instid1(VALU_DEP_3)
	v_and_b32_e32 v45, 7, v45
	v_lshlrev_b32_e32 v63, 24, v16
	v_lshl_add_u32 v183, v183, 23, 0x3b800000
	s_delay_alu instid0(VALU_DEP_2) | instskip(NEXT) | instid1(VALU_DEP_1)
	v_dual_cndmask_b32 v166, v166, v45 :: v_dual_and_b32 v45, 0x80000000, v63
	v_lshlrev_b32_e32 v166, 20, v166
	s_delay_alu instid0(VALU_DEP_1)
	v_or3_b32 v166, v45, v183, v166
.LBB6_6328:                             ;   in Loop: Header=BB6_4903 Depth=2
	s_or_b32 exec_lo, exec_lo, s23
	s_delay_alu instid0(VALU_DEP_1) | instskip(NEXT) | instid1(VALU_DEP_1)
	v_add_f32_e32 v179, v179, v166
	v_and_b32_e32 v166, 0x7f800000, v179
	s_delay_alu instid0(VALU_DEP_1)
	v_cmp_ne_u32_e32 vcc_lo, 0x7f800000, v166
	v_mov_b32_e32 v166, 0x80
	s_and_saveexec_b32 s23, vcc_lo
	s_cbranch_execz .LBB6_6336
; %bb.6329:                             ;   in Loop: Header=BB6_4903 Depth=2
	v_mov_b32_e32 v166, 0
	s_mov_b32 s24, exec_lo
	v_cmpx_ne_u32_e32 0, v179
	s_cbranch_execz .LBB6_6335
; %bb.6330:                             ;   in Loop: Header=BB6_4903 Depth=2
	v_bfe_u32 v166, v179, 23, 8
	v_and_b32_e32 v183, 0x7fffff, v179
	s_delay_alu instid0(VALU_DEP_2) | instskip(SKIP_1) | instid1(VALU_DEP_3)
	v_sub_nc_u32_e32 v45, 0x78, v166
	v_cmp_gt_u32_e32 vcc_lo, 0x79, v166
	v_or_b32_e32 v56, 0x800000, v183
	s_delay_alu instid0(VALU_DEP_3) | instskip(SKIP_2) | instid1(VALU_DEP_3)
	v_cndmask_b32_e32 v45, 0, v45, vcc_lo
	v_cmp_eq_u32_e32 vcc_lo, 0, v166
	v_add_nc_u32_e32 v166, 0xffffff89, v166
	v_cndmask_b32_e64 v45, v45, 0x77, vcc_lo
	v_cndmask_b32_e32 v183, v56, v183, vcc_lo
	s_delay_alu instid0(VALU_DEP_3) | instskip(NEXT) | instid1(VALU_DEP_3)
	v_cndmask_b32_e64 v166, v166, 0xffffff8a, vcc_lo
	v_lshl_add_u32 v56, 0x100000, v45, -1
	s_delay_alu instid0(VALU_DEP_3) | instskip(SKIP_1) | instid1(VALU_DEP_4)
	v_lshrrev_b32_e32 v63, v45, v183
	v_lshlrev_b32_e64 v77, v45, 0x80000
	v_add_nc_u32_e32 v45, v45, v166
	s_delay_alu instid0(VALU_DEP_4) | instskip(NEXT) | instid1(VALU_DEP_4)
	v_and_b32_e32 v183, v56, v183
	v_bfe_u32 v74, v63, 20, 1
	s_delay_alu instid0(VALU_DEP_2) | instskip(NEXT) | instid1(VALU_DEP_2)
	v_cmp_eq_u32_e64 s7, v183, v77
	v_add_nc_u32_e32 v56, -1, v74
	s_delay_alu instid0(VALU_DEP_1) | instskip(SKIP_2) | instid1(VALU_DEP_2)
	v_cndmask_b32_e64 v183, 0, v56, s7
	v_lshrrev_b32_e32 v56, 23, v63
	s_mov_b32 s7, exec_lo
	v_add_nc_u32_e32 v183, v183, v63
	s_delay_alu instid0(VALU_DEP_2) | instskip(NEXT) | instid1(VALU_DEP_2)
	v_xor_b32_e32 v56, 1, v56
	v_and_b32_e32 v166, 0xfffff, v183
	s_delay_alu instid0(VALU_DEP_1) | instskip(NEXT) | instid1(VALU_DEP_3)
	v_add_nc_u32_e32 v183, v166, v63
                                        ; implicit-def: $vgpr166
	v_cmpx_ne_u32_e64 v45, v56
	s_xor_b32 s7, exec_lo, s7
; %bb.6331:                             ;   in Loop: Header=BB6_4903 Depth=2
	s_delay_alu instid0(VALU_DEP_2) | instskip(SKIP_2) | instid1(VALU_DEP_2)
	v_cmp_lt_u32_e32 vcc_lo, 0xffffff, v183
	v_sub_nc_u32_e32 v166, v45, v56
	v_cndmask_b32_e64 v45, 0, 1, vcc_lo
	v_add_co_ci_u32_e32 v166, vcc_lo, 0, v166, vcc_lo
	s_delay_alu instid0(VALU_DEP_2)
	v_lshrrev_b32_e32 v183, v45, v183
; %bb.6332:                             ;   in Loop: Header=BB6_4903 Depth=2
	s_and_not1_saveexec_b32 s7, s7
; %bb.6333:                             ;   in Loop: Header=BB6_4903 Depth=2
	s_delay_alu instid0(VALU_DEP_1)
	v_bfe_u32 v166, v183, 23, 1
; %bb.6334:                             ;   in Loop: Header=BB6_4903 Depth=2
	s_or_b32 exec_lo, exec_lo, s7
	v_lshrrev_b32_e32 v183, 20, v183
	s_delay_alu instid0(VALU_DEP_2) | instskip(SKIP_2) | instid1(VALU_DEP_4)
	v_cmp_gt_i32_e32 vcc_lo, 16, v166
	v_lshrrev_b32_e32 v179, 24, v179
	v_min_i32_e32 v45, 15, v166
	v_cndmask_b32_e32 v183, 7, v183, vcc_lo
	s_delay_alu instid0(VALU_DEP_3) | instskip(NEXT) | instid1(VALU_DEP_2)
	v_and_b32_e32 v179, 0x80, v179
	v_or_b32_e32 v166, v166, v183
	v_and_b32_e32 v56, 7, v183
	s_delay_alu instid0(VALU_DEP_2) | instskip(SKIP_1) | instid1(VALU_DEP_1)
	v_cmp_ne_u32_e32 vcc_lo, 0, v166
	v_lshlrev_b32_e32 v45, 3, v45
	v_or3_b32 v179, v45, v179, v56
	s_delay_alu instid0(VALU_DEP_1)
	v_cndmask_b32_e32 v166, 0, v179, vcc_lo
.LBB6_6335:                             ;   in Loop: Header=BB6_4903 Depth=2
	s_or_b32 exec_lo, exec_lo, s24
.LBB6_6336:                             ;   in Loop: Header=BB6_4903 Depth=2
	s_delay_alu instid0(SALU_CYCLE_1) | instskip(SKIP_3) | instid1(VALU_DEP_1)
	s_or_b32 exec_lo, exec_lo, s23
	v_and_b32_e32 v183, 0xff, v164
	s_mov_b32 s7, 0
	s_mov_b32 s24, exec_lo
                                        ; implicit-def: $sgpr23
	v_cmpx_lt_i16_e64 0x7f, v183
	s_xor_b32 s24, exec_lo, s24
	s_cbranch_execnz .LBB6_7286
; %bb.6337:                             ;   in Loop: Header=BB6_4903 Depth=2
	s_or_saveexec_b32 s24, s24
	v_mov_b32_e32 v179, s23
	s_xor_b32 exec_lo, exec_lo, s24
	s_cbranch_execnz .LBB6_7289
.LBB6_6338:                             ;   in Loop: Header=BB6_4903 Depth=2
	s_or_b32 exec_lo, exec_lo, s24
	s_and_saveexec_b32 s23, s7
	s_cbranch_execz .LBB6_6340
.LBB6_6339:                             ;   in Loop: Header=BB6_4903 Depth=2
	v_and_b32_e32 v179, 7, v164
	v_bfe_u32 v56, v164, 3, 4
	s_delay_alu instid0(VALU_DEP_2) | instskip(NEXT) | instid1(VALU_DEP_2)
	v_clz_i32_u32_e32 v183, v179
	v_cmp_eq_u32_e32 vcc_lo, 0, v56
	s_delay_alu instid0(VALU_DEP_2) | instskip(NEXT) | instid1(VALU_DEP_1)
	v_min_u32_e32 v183, 32, v183
	v_subrev_nc_u32_e32 v45, 28, v183
	v_sub_nc_u32_e32 v183, 29, v183
	s_delay_alu instid0(VALU_DEP_2) | instskip(NEXT) | instid1(VALU_DEP_2)
	v_lshlrev_b32_e32 v45, v45, v164
	v_dual_cndmask_b32 v183, v56, v183 :: v_dual_lshlrev_b32 v164, 24, v164
	s_delay_alu instid0(VALU_DEP_2) | instskip(NEXT) | instid1(VALU_DEP_2)
	v_and_b32_e32 v45, 7, v45
	v_and_b32_e32 v164, 0x80000000, v164
	s_delay_alu instid0(VALU_DEP_3) | instskip(NEXT) | instid1(VALU_DEP_3)
	v_lshl_add_u32 v183, v183, 23, 0x3b800000
	v_cndmask_b32_e32 v179, v179, v45, vcc_lo
	s_delay_alu instid0(VALU_DEP_1) | instskip(NEXT) | instid1(VALU_DEP_1)
	v_lshlrev_b32_e32 v179, 20, v179
	v_or3_b32 v179, v164, v183, v179
.LBB6_6340:                             ;   in Loop: Header=BB6_4903 Depth=2
	s_or_b32 exec_lo, exec_lo, s23
	v_lshrrev_b16 v164, 8, v16
	s_mov_b32 s7, 0
	s_mov_b32 s24, exec_lo
                                        ; implicit-def: $sgpr23
	s_delay_alu instid0(VALU_DEP_1)
	v_cmpx_lt_i16_e64 0x7f, v164
	s_xor_b32 s24, exec_lo, s24
	s_cbranch_execnz .LBB6_7290
; %bb.6341:                             ;   in Loop: Header=BB6_4903 Depth=2
	s_or_saveexec_b32 s24, s24
	v_mov_b32_e32 v183, s23
	s_xor_b32 exec_lo, exec_lo, s24
	s_cbranch_execnz .LBB6_7293
.LBB6_6342:                             ;   in Loop: Header=BB6_4903 Depth=2
	s_or_b32 exec_lo, exec_lo, s24
	s_and_saveexec_b32 s23, s7
	s_cbranch_execz .LBB6_6344
.LBB6_6343:                             ;   in Loop: Header=BB6_4903 Depth=2
	v_and_b32_e32 v183, 0xffff, v164
	s_delay_alu instid0(VALU_DEP_1) | instskip(NEXT) | instid1(VALU_DEP_1)
	v_and_b32_e32 v45, 7, v183
	v_clz_i32_u32_e32 v56, v45
	s_delay_alu instid0(VALU_DEP_1) | instskip(NEXT) | instid1(VALU_DEP_1)
	v_min_u32_e32 v56, 32, v56
	v_subrev_nc_u32_e32 v63, 28, v56
	v_sub_nc_u32_e32 v56, 29, v56
	s_delay_alu instid0(VALU_DEP_2) | instskip(SKIP_1) | instid1(VALU_DEP_2)
	v_lshlrev_b32_e32 v63, v63, v183
	v_bfe_u32 v183, v183, 3, 4
	v_and_b32_e32 v63, 7, v63
	s_delay_alu instid0(VALU_DEP_2) | instskip(NEXT) | instid1(VALU_DEP_2)
	v_cmp_eq_u32_e32 vcc_lo, 0, v183
	v_dual_cndmask_b32 v45, v45, v63 :: v_dual_lshlrev_b32 v164, 24, v164
	v_cndmask_b32_e32 v183, v183, v56, vcc_lo
	s_delay_alu instid0(VALU_DEP_2) | instskip(NEXT) | instid1(VALU_DEP_3)
	v_and_b32_e32 v164, 0x80000000, v164
	v_lshlrev_b32_e32 v45, 20, v45
	s_delay_alu instid0(VALU_DEP_3) | instskip(NEXT) | instid1(VALU_DEP_1)
	v_lshl_add_u32 v183, v183, 23, 0x3b800000
	v_or3_b32 v183, v164, v183, v45
.LBB6_6344:                             ;   in Loop: Header=BB6_4903 Depth=2
	s_or_b32 exec_lo, exec_lo, s23
	s_delay_alu instid0(VALU_DEP_1) | instskip(NEXT) | instid1(VALU_DEP_1)
	v_add_f32_e32 v179, v179, v183
	v_and_b32_e32 v164, 0x7f800000, v179
	s_delay_alu instid0(VALU_DEP_1)
	v_cmp_ne_u32_e32 vcc_lo, 0x7f800000, v164
	v_mov_b32_e32 v164, 0x80
	s_and_saveexec_b32 s23, vcc_lo
	s_cbranch_execz .LBB6_6352
; %bb.6345:                             ;   in Loop: Header=BB6_4903 Depth=2
	v_mov_b32_e32 v164, 0
	s_mov_b32 s24, exec_lo
	v_cmpx_ne_u32_e32 0, v179
	s_cbranch_execz .LBB6_6351
; %bb.6346:                             ;   in Loop: Header=BB6_4903 Depth=2
	v_bfe_u32 v164, v179, 23, 8
	v_and_b32_e32 v183, 0x7fffff, v179
	s_delay_alu instid0(VALU_DEP_2) | instskip(SKIP_1) | instid1(VALU_DEP_3)
	v_sub_nc_u32_e32 v45, 0x78, v164
	v_cmp_gt_u32_e32 vcc_lo, 0x79, v164
	v_or_b32_e32 v56, 0x800000, v183
	s_delay_alu instid0(VALU_DEP_3) | instskip(SKIP_2) | instid1(VALU_DEP_3)
	v_cndmask_b32_e32 v45, 0, v45, vcc_lo
	v_cmp_eq_u32_e32 vcc_lo, 0, v164
	v_add_nc_u32_e32 v164, 0xffffff89, v164
	v_cndmask_b32_e64 v45, v45, 0x77, vcc_lo
	v_cndmask_b32_e32 v183, v56, v183, vcc_lo
	s_delay_alu instid0(VALU_DEP_3) | instskip(NEXT) | instid1(VALU_DEP_3)
	v_cndmask_b32_e64 v164, v164, 0xffffff8a, vcc_lo
	v_lshl_add_u32 v56, 0x100000, v45, -1
	s_delay_alu instid0(VALU_DEP_3) | instskip(SKIP_1) | instid1(VALU_DEP_4)
	v_lshrrev_b32_e32 v63, v45, v183
	v_lshlrev_b32_e64 v77, v45, 0x80000
	v_add_nc_u32_e32 v45, v45, v164
	s_delay_alu instid0(VALU_DEP_4) | instskip(NEXT) | instid1(VALU_DEP_4)
	v_and_b32_e32 v183, v56, v183
	v_bfe_u32 v74, v63, 20, 1
	s_delay_alu instid0(VALU_DEP_2) | instskip(NEXT) | instid1(VALU_DEP_2)
	v_cmp_eq_u32_e64 s7, v183, v77
	v_add_nc_u32_e32 v56, -1, v74
	s_delay_alu instid0(VALU_DEP_1) | instskip(SKIP_2) | instid1(VALU_DEP_2)
	v_cndmask_b32_e64 v183, 0, v56, s7
	v_lshrrev_b32_e32 v56, 23, v63
	s_mov_b32 s7, exec_lo
	v_add_nc_u32_e32 v183, v183, v63
	s_delay_alu instid0(VALU_DEP_2) | instskip(NEXT) | instid1(VALU_DEP_2)
	v_xor_b32_e32 v56, 1, v56
	v_and_b32_e32 v164, 0xfffff, v183
	s_delay_alu instid0(VALU_DEP_1) | instskip(NEXT) | instid1(VALU_DEP_3)
	v_add_nc_u32_e32 v183, v164, v63
                                        ; implicit-def: $vgpr164
	v_cmpx_ne_u32_e64 v45, v56
	s_xor_b32 s7, exec_lo, s7
; %bb.6347:                             ;   in Loop: Header=BB6_4903 Depth=2
	s_delay_alu instid0(VALU_DEP_2) | instskip(SKIP_2) | instid1(VALU_DEP_2)
	v_cmp_lt_u32_e32 vcc_lo, 0xffffff, v183
	v_sub_nc_u32_e32 v164, v45, v56
	v_cndmask_b32_e64 v45, 0, 1, vcc_lo
	v_add_co_ci_u32_e32 v164, vcc_lo, 0, v164, vcc_lo
	s_delay_alu instid0(VALU_DEP_2)
	v_lshrrev_b32_e32 v183, v45, v183
; %bb.6348:                             ;   in Loop: Header=BB6_4903 Depth=2
	s_and_not1_saveexec_b32 s7, s7
; %bb.6349:                             ;   in Loop: Header=BB6_4903 Depth=2
	s_delay_alu instid0(VALU_DEP_1)
	v_bfe_u32 v164, v183, 23, 1
; %bb.6350:                             ;   in Loop: Header=BB6_4903 Depth=2
	s_or_b32 exec_lo, exec_lo, s7
	v_lshrrev_b32_e32 v183, 20, v183
	s_delay_alu instid0(VALU_DEP_2) | instskip(SKIP_2) | instid1(VALU_DEP_4)
	v_cmp_gt_i32_e32 vcc_lo, 16, v164
	v_lshrrev_b32_e32 v179, 24, v179
	v_min_i32_e32 v45, 15, v164
	v_cndmask_b32_e32 v183, 7, v183, vcc_lo
	s_delay_alu instid0(VALU_DEP_3) | instskip(NEXT) | instid1(VALU_DEP_2)
	v_and_b32_e32 v179, 0x80, v179
	v_or_b32_e32 v164, v164, v183
	v_and_b32_e32 v56, 7, v183
	s_delay_alu instid0(VALU_DEP_2) | instskip(SKIP_1) | instid1(VALU_DEP_1)
	v_cmp_ne_u32_e32 vcc_lo, 0, v164
	v_lshlrev_b32_e32 v45, 3, v45
	v_or3_b32 v179, v45, v179, v56
	s_delay_alu instid0(VALU_DEP_1)
	v_cndmask_b32_e32 v164, 0, v179, vcc_lo
.LBB6_6351:                             ;   in Loop: Header=BB6_4903 Depth=2
	s_or_b32 exec_lo, exec_lo, s24
.LBB6_6352:                             ;   in Loop: Header=BB6_4903 Depth=2
	s_delay_alu instid0(SALU_CYCLE_1) | instskip(SKIP_3) | instid1(VALU_DEP_1)
	s_or_b32 exec_lo, exec_lo, s23
	v_and_b32_e32 v183, 0xff, v163
	s_mov_b32 s7, 0
	s_mov_b32 s24, exec_lo
                                        ; implicit-def: $sgpr23
	v_cmpx_lt_i16_e64 0x7f, v183
	s_xor_b32 s24, exec_lo, s24
	s_cbranch_execnz .LBB6_7294
; %bb.6353:                             ;   in Loop: Header=BB6_4903 Depth=2
	s_or_saveexec_b32 s24, s24
	v_mov_b32_e32 v179, s23
	s_xor_b32 exec_lo, exec_lo, s24
	s_cbranch_execnz .LBB6_7297
.LBB6_6354:                             ;   in Loop: Header=BB6_4903 Depth=2
	s_or_b32 exec_lo, exec_lo, s24
	s_and_saveexec_b32 s23, s7
	s_cbranch_execz .LBB6_6356
.LBB6_6355:                             ;   in Loop: Header=BB6_4903 Depth=2
	v_and_b32_e32 v179, 7, v163
	v_bfe_u32 v56, v163, 3, 4
	s_delay_alu instid0(VALU_DEP_2) | instskip(NEXT) | instid1(VALU_DEP_2)
	v_clz_i32_u32_e32 v183, v179
	v_cmp_eq_u32_e32 vcc_lo, 0, v56
	s_delay_alu instid0(VALU_DEP_2) | instskip(NEXT) | instid1(VALU_DEP_1)
	v_min_u32_e32 v183, 32, v183
	v_subrev_nc_u32_e32 v45, 28, v183
	v_sub_nc_u32_e32 v183, 29, v183
	s_delay_alu instid0(VALU_DEP_2) | instskip(SKIP_1) | instid1(VALU_DEP_3)
	v_lshlrev_b32_e32 v45, v45, v163
	v_lshlrev_b32_e32 v163, 24, v163
	v_cndmask_b32_e32 v183, v56, v183, vcc_lo
	s_delay_alu instid0(VALU_DEP_3) | instskip(NEXT) | instid1(VALU_DEP_3)
	v_and_b32_e32 v45, 7, v45
	v_and_b32_e32 v163, 0x80000000, v163
	s_delay_alu instid0(VALU_DEP_3) | instskip(NEXT) | instid1(VALU_DEP_3)
	v_lshl_add_u32 v183, v183, 23, 0x3b800000
	v_cndmask_b32_e32 v179, v179, v45, vcc_lo
	s_delay_alu instid0(VALU_DEP_1) | instskip(NEXT) | instid1(VALU_DEP_1)
	v_lshlrev_b32_e32 v179, 20, v179
	v_or3_b32 v179, v163, v183, v179
.LBB6_6356:                             ;   in Loop: Header=BB6_4903 Depth=2
	s_or_b32 exec_lo, exec_lo, s23
	v_lshrrev_b32_e32 v163, 16, v16
	s_mov_b32 s7, 0
	s_mov_b32 s24, exec_lo
                                        ; implicit-def: $sgpr23
	s_delay_alu instid0(VALU_DEP_1) | instskip(NEXT) | instid1(VALU_DEP_1)
	v_and_b32_e32 v45, 0xff, v163
	v_cmpx_lt_i16_e32 0x7f, v45
	s_xor_b32 s24, exec_lo, s24
	s_cbranch_execnz .LBB6_7298
; %bb.6357:                             ;   in Loop: Header=BB6_4903 Depth=2
	s_or_saveexec_b32 s24, s24
	v_mov_b32_e32 v183, s23
	s_xor_b32 exec_lo, exec_lo, s24
	s_cbranch_execnz .LBB6_7301
.LBB6_6358:                             ;   in Loop: Header=BB6_4903 Depth=2
	s_or_b32 exec_lo, exec_lo, s24
	s_and_saveexec_b32 s23, s7
	s_cbranch_execz .LBB6_6360
.LBB6_6359:                             ;   in Loop: Header=BB6_4903 Depth=2
	v_bfe_u32 v183, v16, 16, 3
	v_lshlrev_b32_e32 v63, 8, v16
	s_delay_alu instid0(VALU_DEP_2) | instskip(NEXT) | instid1(VALU_DEP_1)
	v_clz_i32_u32_e32 v45, v183
	v_min_u32_e32 v45, 32, v45
	s_delay_alu instid0(VALU_DEP_1) | instskip(SKIP_1) | instid1(VALU_DEP_2)
	v_subrev_nc_u32_e32 v56, 28, v45
	v_sub_nc_u32_e32 v45, 29, v45
	v_lshlrev_b32_e32 v163, v56, v163
	v_bfe_u32 v56, v16, 19, 4
	s_delay_alu instid0(VALU_DEP_2) | instskip(NEXT) | instid1(VALU_DEP_2)
	v_and_b32_e32 v163, 7, v163
	v_cmp_eq_u32_e32 vcc_lo, 0, v56
	v_cndmask_b32_e32 v45, v56, v45, vcc_lo
	s_delay_alu instid0(VALU_DEP_3) | instskip(SKIP_1) | instid1(VALU_DEP_3)
	v_cndmask_b32_e32 v163, v183, v163, vcc_lo
	v_and_b32_e32 v183, 0x80000000, v63
	v_lshl_add_u32 v45, v45, 23, 0x3b800000
	s_delay_alu instid0(VALU_DEP_3) | instskip(NEXT) | instid1(VALU_DEP_1)
	v_lshlrev_b32_e32 v163, 20, v163
	v_or3_b32 v183, v183, v45, v163
.LBB6_6360:                             ;   in Loop: Header=BB6_4903 Depth=2
	s_or_b32 exec_lo, exec_lo, s23
	s_delay_alu instid0(VALU_DEP_1) | instskip(NEXT) | instid1(VALU_DEP_1)
	v_add_f32_e32 v179, v179, v183
	v_and_b32_e32 v163, 0x7f800000, v179
	s_delay_alu instid0(VALU_DEP_1)
	v_cmp_ne_u32_e32 vcc_lo, 0x7f800000, v163
	v_mov_b32_e32 v163, 0x80
	s_and_saveexec_b32 s23, vcc_lo
	s_cbranch_execz .LBB6_6368
; %bb.6361:                             ;   in Loop: Header=BB6_4903 Depth=2
	v_mov_b32_e32 v163, 0
	s_mov_b32 s24, exec_lo
	v_cmpx_ne_u32_e32 0, v179
	s_cbranch_execz .LBB6_6367
; %bb.6362:                             ;   in Loop: Header=BB6_4903 Depth=2
	v_bfe_u32 v163, v179, 23, 8
	v_and_b32_e32 v183, 0x7fffff, v179
	s_delay_alu instid0(VALU_DEP_2) | instskip(SKIP_1) | instid1(VALU_DEP_3)
	v_sub_nc_u32_e32 v45, 0x78, v163
	v_cmp_gt_u32_e32 vcc_lo, 0x79, v163
	v_or_b32_e32 v56, 0x800000, v183
	s_delay_alu instid0(VALU_DEP_3) | instskip(SKIP_2) | instid1(VALU_DEP_3)
	v_cndmask_b32_e32 v45, 0, v45, vcc_lo
	v_cmp_eq_u32_e32 vcc_lo, 0, v163
	v_add_nc_u32_e32 v163, 0xffffff89, v163
	v_cndmask_b32_e64 v45, v45, 0x77, vcc_lo
	v_cndmask_b32_e32 v183, v56, v183, vcc_lo
	s_delay_alu instid0(VALU_DEP_3) | instskip(NEXT) | instid1(VALU_DEP_3)
	v_cndmask_b32_e64 v163, v163, 0xffffff8a, vcc_lo
	v_lshl_add_u32 v56, 0x100000, v45, -1
	s_delay_alu instid0(VALU_DEP_3) | instskip(SKIP_1) | instid1(VALU_DEP_4)
	v_lshrrev_b32_e32 v63, v45, v183
	v_lshlrev_b32_e64 v77, v45, 0x80000
	v_add_nc_u32_e32 v45, v45, v163
	s_delay_alu instid0(VALU_DEP_4) | instskip(NEXT) | instid1(VALU_DEP_4)
	v_and_b32_e32 v183, v56, v183
	v_bfe_u32 v74, v63, 20, 1
	s_delay_alu instid0(VALU_DEP_2) | instskip(NEXT) | instid1(VALU_DEP_2)
	v_cmp_eq_u32_e64 s7, v183, v77
	v_add_nc_u32_e32 v56, -1, v74
	s_delay_alu instid0(VALU_DEP_1) | instskip(SKIP_2) | instid1(VALU_DEP_2)
	v_cndmask_b32_e64 v183, 0, v56, s7
	v_lshrrev_b32_e32 v56, 23, v63
	s_mov_b32 s7, exec_lo
	v_add_nc_u32_e32 v183, v183, v63
	s_delay_alu instid0(VALU_DEP_2) | instskip(NEXT) | instid1(VALU_DEP_2)
	v_xor_b32_e32 v56, 1, v56
	v_and_b32_e32 v163, 0xfffff, v183
	s_delay_alu instid0(VALU_DEP_1) | instskip(NEXT) | instid1(VALU_DEP_3)
	v_add_nc_u32_e32 v183, v163, v63
                                        ; implicit-def: $vgpr163
	v_cmpx_ne_u32_e64 v45, v56
	s_xor_b32 s7, exec_lo, s7
; %bb.6363:                             ;   in Loop: Header=BB6_4903 Depth=2
	s_delay_alu instid0(VALU_DEP_2) | instskip(SKIP_2) | instid1(VALU_DEP_2)
	v_cmp_lt_u32_e32 vcc_lo, 0xffffff, v183
	v_sub_nc_u32_e32 v163, v45, v56
	v_cndmask_b32_e64 v45, 0, 1, vcc_lo
	v_add_co_ci_u32_e32 v163, vcc_lo, 0, v163, vcc_lo
	s_delay_alu instid0(VALU_DEP_2)
	v_lshrrev_b32_e32 v183, v45, v183
; %bb.6364:                             ;   in Loop: Header=BB6_4903 Depth=2
	s_and_not1_saveexec_b32 s7, s7
; %bb.6365:                             ;   in Loop: Header=BB6_4903 Depth=2
	s_delay_alu instid0(VALU_DEP_1)
	v_bfe_u32 v163, v183, 23, 1
; %bb.6366:                             ;   in Loop: Header=BB6_4903 Depth=2
	s_or_b32 exec_lo, exec_lo, s7
	v_lshrrev_b32_e32 v183, 20, v183
	s_delay_alu instid0(VALU_DEP_2) | instskip(SKIP_2) | instid1(VALU_DEP_4)
	v_cmp_gt_i32_e32 vcc_lo, 16, v163
	v_lshrrev_b32_e32 v179, 24, v179
	v_min_i32_e32 v45, 15, v163
	v_cndmask_b32_e32 v183, 7, v183, vcc_lo
	s_delay_alu instid0(VALU_DEP_3) | instskip(NEXT) | instid1(VALU_DEP_3)
	v_and_b32_e32 v179, 0x80, v179
	v_lshlrev_b32_e32 v45, 3, v45
	s_delay_alu instid0(VALU_DEP_3) | instskip(SKIP_1) | instid1(VALU_DEP_2)
	v_and_b32_e32 v56, 7, v183
	v_or_b32_e32 v163, v163, v183
	v_or3_b32 v179, v45, v179, v56
	s_delay_alu instid0(VALU_DEP_2) | instskip(NEXT) | instid1(VALU_DEP_2)
	v_cmp_ne_u32_e32 vcc_lo, 0, v163
	v_cndmask_b32_e32 v163, 0, v179, vcc_lo
.LBB6_6367:                             ;   in Loop: Header=BB6_4903 Depth=2
	s_or_b32 exec_lo, exec_lo, s24
.LBB6_6368:                             ;   in Loop: Header=BB6_4903 Depth=2
	s_delay_alu instid0(SALU_CYCLE_1) | instskip(SKIP_3) | instid1(VALU_DEP_1)
	s_or_b32 exec_lo, exec_lo, s23
	v_and_b32_e32 v183, 0xff, v160
	s_mov_b32 s7, 0
	s_mov_b32 s24, exec_lo
                                        ; implicit-def: $sgpr23
	v_cmpx_lt_i16_e64 0x7f, v183
	s_xor_b32 s24, exec_lo, s24
	s_cbranch_execnz .LBB6_7302
; %bb.6369:                             ;   in Loop: Header=BB6_4903 Depth=2
	s_or_saveexec_b32 s24, s24
	v_mov_b32_e32 v179, s23
	s_xor_b32 exec_lo, exec_lo, s24
	s_cbranch_execnz .LBB6_7305
.LBB6_6370:                             ;   in Loop: Header=BB6_4903 Depth=2
	s_or_b32 exec_lo, exec_lo, s24
	s_and_saveexec_b32 s23, s7
	s_cbranch_execz .LBB6_6372
.LBB6_6371:                             ;   in Loop: Header=BB6_4903 Depth=2
	v_lshlrev_b32_e32 v160, 8, v160
	s_delay_alu instid0(VALU_DEP_1) | instskip(SKIP_1) | instid1(VALU_DEP_2)
	v_and_b32_e32 v179, 0xff00, v160
	v_bfe_u32 v160, v160, 11, 4
	v_bfe_u32 v45, v179, 8, 3
	s_delay_alu instid0(VALU_DEP_2) | instskip(SKIP_1) | instid1(VALU_DEP_3)
	v_cmp_eq_u32_e32 vcc_lo, 0, v160
	v_lshlrev_b32_e32 v179, 16, v179
	v_clz_i32_u32_e32 v56, v45
	s_delay_alu instid0(VALU_DEP_2) | instskip(NEXT) | instid1(VALU_DEP_2)
	v_and_b32_e32 v179, 0x80000000, v179
	v_min_u32_e32 v56, 32, v56
	s_delay_alu instid0(VALU_DEP_1) | instskip(SKIP_1) | instid1(VALU_DEP_1)
	v_subrev_nc_u32_e32 v63, 28, v56
	v_sub_nc_u32_e32 v56, 29, v56
	v_dual_cndmask_b32 v160, v160, v56 :: v_dual_lshlrev_b32 v183, v63, v183
	s_delay_alu instid0(VALU_DEP_1) | instskip(NEXT) | instid1(VALU_DEP_2)
	v_and_b32_e32 v183, 7, v183
	v_lshl_add_u32 v160, v160, 23, 0x3b800000
	s_delay_alu instid0(VALU_DEP_2) | instskip(NEXT) | instid1(VALU_DEP_1)
	v_cndmask_b32_e32 v183, v45, v183, vcc_lo
	v_lshlrev_b32_e32 v183, 20, v183
	s_delay_alu instid0(VALU_DEP_1)
	v_or3_b32 v179, v179, v160, v183
.LBB6_6372:                             ;   in Loop: Header=BB6_4903 Depth=2
	s_or_b32 exec_lo, exec_lo, s23
	v_lshrrev_b32_e32 v160, 24, v16
	s_mov_b32 s7, 0
	s_mov_b32 s24, exec_lo
                                        ; implicit-def: $sgpr23
	s_delay_alu instid0(VALU_DEP_1)
	v_cmpx_lt_i16_e64 0x7f, v160
	s_xor_b32 s24, exec_lo, s24
	s_cbranch_execnz .LBB6_7306
; %bb.6373:                             ;   in Loop: Header=BB6_4903 Depth=2
	s_or_saveexec_b32 s24, s24
	v_mov_b32_e32 v183, s23
	s_xor_b32 exec_lo, exec_lo, s24
	s_cbranch_execnz .LBB6_7309
.LBB6_6374:                             ;   in Loop: Header=BB6_4903 Depth=2
	s_or_b32 exec_lo, exec_lo, s24
	s_and_saveexec_b32 s23, s7
	s_cbranch_execz .LBB6_6376
.LBB6_6375:                             ;   in Loop: Header=BB6_4903 Depth=2
	v_bfe_u32 v183, v16, 24, 3
	s_delay_alu instid0(VALU_DEP_1) | instskip(NEXT) | instid1(VALU_DEP_1)
	v_clz_i32_u32_e32 v45, v183
	v_min_u32_e32 v45, 32, v45
	s_delay_alu instid0(VALU_DEP_1) | instskip(SKIP_1) | instid1(VALU_DEP_2)
	v_subrev_nc_u32_e32 v56, 28, v45
	v_sub_nc_u32_e32 v45, 29, v45
	v_lshlrev_b32_e32 v160, v56, v160
	v_bfe_u32 v56, v16, 27, 4
	v_and_b32_e32 v16, 0x80000000, v16
	s_delay_alu instid0(VALU_DEP_2) | instskip(NEXT) | instid1(VALU_DEP_4)
	v_cmp_eq_u32_e32 vcc_lo, 0, v56
	v_dual_cndmask_b32 v45, v56, v45 :: v_dual_and_b32 v160, 7, v160
	s_delay_alu instid0(VALU_DEP_1) | instskip(NEXT) | instid1(VALU_DEP_2)
	v_cndmask_b32_e32 v160, v183, v160, vcc_lo
	v_lshl_add_u32 v183, v45, 23, 0x3b800000
	s_delay_alu instid0(VALU_DEP_2) | instskip(NEXT) | instid1(VALU_DEP_1)
	v_lshlrev_b32_e32 v160, 20, v160
	v_or3_b32 v183, v16, v183, v160
.LBB6_6376:                             ;   in Loop: Header=BB6_4903 Depth=2
	s_or_b32 exec_lo, exec_lo, s23
	s_delay_alu instid0(VALU_DEP_1) | instskip(NEXT) | instid1(VALU_DEP_1)
	v_add_f32_e32 v160, v179, v183
	v_and_b32_e32 v16, 0x7f800000, v160
	s_delay_alu instid0(VALU_DEP_1)
	v_cmp_ne_u32_e32 vcc_lo, 0x7f800000, v16
	v_mov_b32_e32 v16, 0x80
	s_and_saveexec_b32 s23, vcc_lo
	s_cbranch_execz .LBB6_6384
; %bb.6377:                             ;   in Loop: Header=BB6_4903 Depth=2
	v_mov_b32_e32 v16, 0
	s_mov_b32 s24, exec_lo
	v_cmpx_ne_u32_e32 0, v160
	s_cbranch_execz .LBB6_6383
; %bb.6378:                             ;   in Loop: Header=BB6_4903 Depth=2
	v_bfe_u32 v16, v160, 23, 8
	v_and_b32_e32 v179, 0x7fffff, v160
	s_delay_alu instid0(VALU_DEP_2) | instskip(SKIP_1) | instid1(VALU_DEP_3)
	v_sub_nc_u32_e32 v183, 0x78, v16
	v_cmp_gt_u32_e32 vcc_lo, 0x79, v16
	v_or_b32_e32 v45, 0x800000, v179
	s_delay_alu instid0(VALU_DEP_3) | instskip(SKIP_2) | instid1(VALU_DEP_3)
	v_cndmask_b32_e32 v183, 0, v183, vcc_lo
	v_cmp_eq_u32_e32 vcc_lo, 0, v16
	v_add_nc_u32_e32 v16, 0xffffff89, v16
	v_cndmask_b32_e64 v183, v183, 0x77, vcc_lo
	v_cndmask_b32_e32 v179, v45, v179, vcc_lo
	s_delay_alu instid0(VALU_DEP_3) | instskip(NEXT) | instid1(VALU_DEP_3)
	v_cndmask_b32_e64 v16, v16, 0xffffff8a, vcc_lo
	v_lshl_add_u32 v45, 0x100000, v183, -1
	s_delay_alu instid0(VALU_DEP_3) | instskip(SKIP_1) | instid1(VALU_DEP_4)
	v_lshrrev_b32_e32 v56, v183, v179
	v_lshlrev_b32_e64 v74, v183, 0x80000
	v_add_nc_u32_e32 v183, v183, v16
	s_delay_alu instid0(VALU_DEP_4) | instskip(NEXT) | instid1(VALU_DEP_4)
	v_and_b32_e32 v179, v45, v179
	v_bfe_u32 v63, v56, 20, 1
	s_delay_alu instid0(VALU_DEP_2) | instskip(NEXT) | instid1(VALU_DEP_2)
	v_cmp_eq_u32_e64 s7, v179, v74
	v_add_nc_u32_e32 v45, -1, v63
	s_delay_alu instid0(VALU_DEP_1) | instskip(SKIP_2) | instid1(VALU_DEP_2)
	v_cndmask_b32_e64 v179, 0, v45, s7
	v_lshrrev_b32_e32 v45, 23, v56
	s_mov_b32 s7, exec_lo
	v_add_nc_u32_e32 v179, v179, v56
	s_delay_alu instid0(VALU_DEP_2) | instskip(NEXT) | instid1(VALU_DEP_2)
	v_xor_b32_e32 v45, 1, v45
	v_and_b32_e32 v16, 0xfffff, v179
	s_delay_alu instid0(VALU_DEP_1) | instskip(NEXT) | instid1(VALU_DEP_3)
	v_add_nc_u32_e32 v179, v16, v56
                                        ; implicit-def: $vgpr16
	v_cmpx_ne_u32_e64 v183, v45
	s_xor_b32 s7, exec_lo, s7
; %bb.6379:                             ;   in Loop: Header=BB6_4903 Depth=2
	s_delay_alu instid0(VALU_DEP_2) | instskip(SKIP_2) | instid1(VALU_DEP_2)
	v_cmp_lt_u32_e32 vcc_lo, 0xffffff, v179
	v_sub_nc_u32_e32 v16, v183, v45
	v_cndmask_b32_e64 v183, 0, 1, vcc_lo
	v_add_co_ci_u32_e32 v16, vcc_lo, 0, v16, vcc_lo
	s_delay_alu instid0(VALU_DEP_2)
	v_lshrrev_b32_e32 v179, v183, v179
; %bb.6380:                             ;   in Loop: Header=BB6_4903 Depth=2
	s_and_not1_saveexec_b32 s7, s7
; %bb.6381:                             ;   in Loop: Header=BB6_4903 Depth=2
	s_delay_alu instid0(VALU_DEP_1)
	v_bfe_u32 v16, v179, 23, 1
; %bb.6382:                             ;   in Loop: Header=BB6_4903 Depth=2
	s_or_b32 exec_lo, exec_lo, s7
	v_lshrrev_b32_e32 v179, 20, v179
	s_delay_alu instid0(VALU_DEP_2) | instskip(SKIP_2) | instid1(VALU_DEP_2)
	v_cmp_gt_i32_e32 vcc_lo, 16, v16
	v_lshrrev_b32_e32 v160, 24, v160
	v_min_i32_e32 v183, 15, v16
	v_dual_cndmask_b32 v179, 7, v179 :: v_dual_and_b32 v160, 0x80, v160
	s_delay_alu instid0(VALU_DEP_2) | instskip(NEXT) | instid1(VALU_DEP_2)
	v_lshlrev_b32_e32 v183, 3, v183
	v_or_b32_e32 v16, v16, v179
	s_delay_alu instid0(VALU_DEP_1) | instskip(SKIP_1) | instid1(VALU_DEP_1)
	v_cmp_ne_u32_e32 vcc_lo, 0, v16
	v_and_b32_e32 v45, 7, v179
	v_or3_b32 v160, v183, v160, v45
	s_delay_alu instid0(VALU_DEP_1)
	v_cndmask_b32_e32 v16, 0, v160, vcc_lo
.LBB6_6383:                             ;   in Loop: Header=BB6_4903 Depth=2
	s_or_b32 exec_lo, exec_lo, s24
.LBB6_6384:                             ;   in Loop: Header=BB6_4903 Depth=2
	s_delay_alu instid0(SALU_CYCLE_1) | instskip(SKIP_3) | instid1(VALU_DEP_1)
	s_or_b32 exec_lo, exec_lo, s23
	v_or_b32_e32 v165, v165, v151
	s_mov_b32 s7, 0
	s_mov_b32 s24, exec_lo
                                        ; implicit-def: $sgpr23
	v_and_b32_e32 v160, 0xff, v165
	s_delay_alu instid0(VALU_DEP_1)
	v_cmpx_lt_i16_e64 0x7f, v160
	s_xor_b32 s24, exec_lo, s24
	s_cbranch_execnz .LBB6_7310
; %bb.6385:                             ;   in Loop: Header=BB6_4903 Depth=2
	s_or_saveexec_b32 s24, s24
	v_mov_b32_e32 v151, s23
	s_xor_b32 exec_lo, exec_lo, s24
	s_cbranch_execnz .LBB6_7313
.LBB6_6386:                             ;   in Loop: Header=BB6_4903 Depth=2
	s_or_b32 exec_lo, exec_lo, s24
	s_and_saveexec_b32 s23, s7
	s_cbranch_execz .LBB6_6388
.LBB6_6387:                             ;   in Loop: Header=BB6_4903 Depth=2
	v_bfe_u32 v183, v165, 3, 4
	v_lshlrev_b32_e32 v45, 24, v165
	s_delay_alu instid0(VALU_DEP_2) | instskip(SKIP_1) | instid1(VALU_DEP_1)
	v_cmp_eq_u32_e32 vcc_lo, 0, v183
	v_and_b32_e32 v151, 7, v165
	v_clz_i32_u32_e32 v160, v151
	s_delay_alu instid0(VALU_DEP_1) | instskip(NEXT) | instid1(VALU_DEP_1)
	v_min_u32_e32 v160, 32, v160
	v_subrev_nc_u32_e32 v179, 28, v160
	v_sub_nc_u32_e32 v160, 29, v160
	s_delay_alu instid0(VALU_DEP_2) | instskip(NEXT) | instid1(VALU_DEP_1)
	v_lshlrev_b32_e32 v179, v179, v165
	v_dual_cndmask_b32 v160, v183, v160 :: v_dual_and_b32 v179, 7, v179
	s_delay_alu instid0(VALU_DEP_1) | instskip(NEXT) | instid1(VALU_DEP_2)
	v_lshl_add_u32 v160, v160, 23, 0x3b800000
	v_cndmask_b32_e32 v151, v151, v179, vcc_lo
	v_and_b32_e32 v179, 0x80000000, v45
	s_delay_alu instid0(VALU_DEP_2) | instskip(NEXT) | instid1(VALU_DEP_1)
	v_lshlrev_b32_e32 v151, 20, v151
	v_or3_b32 v151, v179, v160, v151
.LBB6_6388:                             ;   in Loop: Header=BB6_4903 Depth=2
	s_or_b32 exec_lo, exec_lo, s23
	v_and_b32_e32 v179, 0xff, v17
	s_mov_b32 s7, 0
	s_mov_b32 s24, exec_lo
                                        ; implicit-def: $sgpr23
	s_delay_alu instid0(VALU_DEP_1)
	v_cmpx_lt_i16_e64 0x7f, v179
	s_xor_b32 s24, exec_lo, s24
	s_cbranch_execnz .LBB6_7314
; %bb.6389:                             ;   in Loop: Header=BB6_4903 Depth=2
	s_or_saveexec_b32 s24, s24
	v_mov_b32_e32 v160, s23
	s_xor_b32 exec_lo, exec_lo, s24
	s_cbranch_execnz .LBB6_7317
.LBB6_6390:                             ;   in Loop: Header=BB6_4903 Depth=2
	s_or_b32 exec_lo, exec_lo, s24
	s_and_saveexec_b32 s23, s7
	s_cbranch_execz .LBB6_6392
.LBB6_6391:                             ;   in Loop: Header=BB6_4903 Depth=2
	v_bfe_u32 v45, v17, 3, 4
	v_lshlrev_b32_e32 v56, 24, v17
	s_delay_alu instid0(VALU_DEP_2) | instskip(SKIP_1) | instid1(VALU_DEP_1)
	v_cmp_eq_u32_e32 vcc_lo, 0, v45
	v_and_b32_e32 v160, 7, v17
	v_clz_i32_u32_e32 v179, v160
	s_delay_alu instid0(VALU_DEP_1) | instskip(NEXT) | instid1(VALU_DEP_1)
	v_min_u32_e32 v179, 32, v179
	v_subrev_nc_u32_e32 v183, 28, v179
	v_sub_nc_u32_e32 v179, 29, v179
	s_delay_alu instid0(VALU_DEP_2) | instskip(NEXT) | instid1(VALU_DEP_2)
	v_lshlrev_b32_e32 v183, v183, v17
	v_cndmask_b32_e32 v179, v45, v179, vcc_lo
	s_delay_alu instid0(VALU_DEP_2) | instskip(NEXT) | instid1(VALU_DEP_2)
	v_and_b32_e32 v183, 7, v183
	v_lshl_add_u32 v179, v179, 23, 0x3b800000
	s_delay_alu instid0(VALU_DEP_2) | instskip(NEXT) | instid1(VALU_DEP_1)
	v_dual_cndmask_b32 v160, v160, v183 :: v_dual_and_b32 v183, 0x80000000, v56
	v_lshlrev_b32_e32 v160, 20, v160
	s_delay_alu instid0(VALU_DEP_1)
	v_or3_b32 v160, v183, v179, v160
.LBB6_6392:                             ;   in Loop: Header=BB6_4903 Depth=2
	s_or_b32 exec_lo, exec_lo, s23
	s_delay_alu instid0(VALU_DEP_1) | instskip(NEXT) | instid1(VALU_DEP_1)
	v_add_f32_e32 v160, v151, v160
	v_and_b32_e32 v151, 0x7f800000, v160
	s_delay_alu instid0(VALU_DEP_1)
	v_cmp_ne_u32_e32 vcc_lo, 0x7f800000, v151
	v_mov_b32_e32 v151, 0x80
	s_and_saveexec_b32 s23, vcc_lo
	s_cbranch_execz .LBB6_6400
; %bb.6393:                             ;   in Loop: Header=BB6_4903 Depth=2
	v_mov_b32_e32 v151, 0
	s_mov_b32 s24, exec_lo
	v_cmpx_ne_u32_e32 0, v160
	s_cbranch_execz .LBB6_6399
; %bb.6394:                             ;   in Loop: Header=BB6_4903 Depth=2
	v_bfe_u32 v151, v160, 23, 8
	v_and_b32_e32 v179, 0x7fffff, v160
	s_delay_alu instid0(VALU_DEP_2) | instskip(SKIP_1) | instid1(VALU_DEP_3)
	v_sub_nc_u32_e32 v183, 0x78, v151
	v_cmp_gt_u32_e32 vcc_lo, 0x79, v151
	v_or_b32_e32 v45, 0x800000, v179
	s_delay_alu instid0(VALU_DEP_3) | instskip(SKIP_2) | instid1(VALU_DEP_3)
	v_cndmask_b32_e32 v183, 0, v183, vcc_lo
	v_cmp_eq_u32_e32 vcc_lo, 0, v151
	v_add_nc_u32_e32 v151, 0xffffff89, v151
	v_cndmask_b32_e64 v183, v183, 0x77, vcc_lo
	v_cndmask_b32_e32 v179, v45, v179, vcc_lo
	s_delay_alu instid0(VALU_DEP_3) | instskip(NEXT) | instid1(VALU_DEP_3)
	v_cndmask_b32_e64 v151, v151, 0xffffff8a, vcc_lo
	v_lshl_add_u32 v45, 0x100000, v183, -1
	s_delay_alu instid0(VALU_DEP_3) | instskip(SKIP_1) | instid1(VALU_DEP_4)
	v_lshrrev_b32_e32 v56, v183, v179
	v_lshlrev_b32_e64 v74, v183, 0x80000
	v_add_nc_u32_e32 v183, v183, v151
	s_delay_alu instid0(VALU_DEP_4) | instskip(NEXT) | instid1(VALU_DEP_4)
	v_and_b32_e32 v179, v45, v179
	v_bfe_u32 v63, v56, 20, 1
	s_delay_alu instid0(VALU_DEP_2) | instskip(NEXT) | instid1(VALU_DEP_2)
	v_cmp_eq_u32_e64 s7, v179, v74
	v_add_nc_u32_e32 v45, -1, v63
	s_delay_alu instid0(VALU_DEP_1) | instskip(SKIP_2) | instid1(VALU_DEP_2)
	v_cndmask_b32_e64 v179, 0, v45, s7
	v_lshrrev_b32_e32 v45, 23, v56
	s_mov_b32 s7, exec_lo
	v_add_nc_u32_e32 v179, v179, v56
	s_delay_alu instid0(VALU_DEP_2) | instskip(NEXT) | instid1(VALU_DEP_2)
	v_xor_b32_e32 v45, 1, v45
	v_and_b32_e32 v151, 0xfffff, v179
	s_delay_alu instid0(VALU_DEP_1) | instskip(NEXT) | instid1(VALU_DEP_3)
	v_add_nc_u32_e32 v179, v151, v56
                                        ; implicit-def: $vgpr151
	v_cmpx_ne_u32_e64 v183, v45
	s_xor_b32 s7, exec_lo, s7
; %bb.6395:                             ;   in Loop: Header=BB6_4903 Depth=2
	s_delay_alu instid0(VALU_DEP_2) | instskip(SKIP_2) | instid1(VALU_DEP_2)
	v_cmp_lt_u32_e32 vcc_lo, 0xffffff, v179
	v_sub_nc_u32_e32 v151, v183, v45
	v_cndmask_b32_e64 v183, 0, 1, vcc_lo
	v_add_co_ci_u32_e32 v151, vcc_lo, 0, v151, vcc_lo
	s_delay_alu instid0(VALU_DEP_2)
	v_lshrrev_b32_e32 v179, v183, v179
; %bb.6396:                             ;   in Loop: Header=BB6_4903 Depth=2
	s_and_not1_saveexec_b32 s7, s7
; %bb.6397:                             ;   in Loop: Header=BB6_4903 Depth=2
	s_delay_alu instid0(VALU_DEP_1)
	v_bfe_u32 v151, v179, 23, 1
; %bb.6398:                             ;   in Loop: Header=BB6_4903 Depth=2
	s_or_b32 exec_lo, exec_lo, s7
	v_lshrrev_b32_e32 v179, 20, v179
	s_delay_alu instid0(VALU_DEP_2) | instskip(SKIP_2) | instid1(VALU_DEP_2)
	v_cmp_gt_i32_e32 vcc_lo, 16, v151
	v_lshrrev_b32_e32 v160, 24, v160
	v_min_i32_e32 v183, 15, v151
	v_dual_cndmask_b32 v179, 7, v179 :: v_dual_and_b32 v160, 0x80, v160
	s_delay_alu instid0(VALU_DEP_2) | instskip(NEXT) | instid1(VALU_DEP_2)
	v_lshlrev_b32_e32 v183, 3, v183
	v_and_b32_e32 v45, 7, v179
	v_or_b32_e32 v151, v151, v179
	s_delay_alu instid0(VALU_DEP_2) | instskip(NEXT) | instid1(VALU_DEP_2)
	v_or3_b32 v160, v183, v160, v45
	v_cmp_ne_u32_e32 vcc_lo, 0, v151
	s_delay_alu instid0(VALU_DEP_2)
	v_cndmask_b32_e32 v151, 0, v160, vcc_lo
.LBB6_6399:                             ;   in Loop: Header=BB6_4903 Depth=2
	s_or_b32 exec_lo, exec_lo, s24
.LBB6_6400:                             ;   in Loop: Header=BB6_4903 Depth=2
	s_delay_alu instid0(SALU_CYCLE_1) | instskip(SKIP_3) | instid1(VALU_DEP_1)
	s_or_b32 exec_lo, exec_lo, s23
	v_lshrrev_b16 v179, 8, v165
	s_mov_b32 s7, 0
	s_mov_b32 s24, exec_lo
                                        ; implicit-def: $sgpr23
	v_cmpx_lt_i16_e64 0x7f, v179
	s_xor_b32 s24, exec_lo, s24
	s_cbranch_execnz .LBB6_7318
; %bb.6401:                             ;   in Loop: Header=BB6_4903 Depth=2
	s_or_saveexec_b32 s24, s24
	v_mov_b32_e32 v160, s23
	s_xor_b32 exec_lo, exec_lo, s24
	s_cbranch_execnz .LBB6_7321
.LBB6_6402:                             ;   in Loop: Header=BB6_4903 Depth=2
	s_or_b32 exec_lo, exec_lo, s24
	s_and_saveexec_b32 s23, s7
	s_cbranch_execz .LBB6_6404
.LBB6_6403:                             ;   in Loop: Header=BB6_4903 Depth=2
	v_and_b32_e32 v160, 0xffff, v179
	v_lshlrev_b32_e32 v179, 24, v179
	s_delay_alu instid0(VALU_DEP_2) | instskip(NEXT) | instid1(VALU_DEP_2)
	v_and_b32_e32 v183, 7, v160
	v_and_b32_e32 v179, 0x80000000, v179
	s_delay_alu instid0(VALU_DEP_2) | instskip(NEXT) | instid1(VALU_DEP_1)
	v_clz_i32_u32_e32 v45, v183
	v_min_u32_e32 v45, 32, v45
	s_delay_alu instid0(VALU_DEP_1) | instskip(SKIP_1) | instid1(VALU_DEP_2)
	v_subrev_nc_u32_e32 v56, 28, v45
	v_sub_nc_u32_e32 v45, 29, v45
	v_lshlrev_b32_e32 v56, v56, v160
	v_bfe_u32 v160, v160, 3, 4
	s_delay_alu instid0(VALU_DEP_2) | instskip(NEXT) | instid1(VALU_DEP_2)
	v_and_b32_e32 v56, 7, v56
	v_cmp_eq_u32_e32 vcc_lo, 0, v160
	s_delay_alu instid0(VALU_DEP_2) | instskip(NEXT) | instid1(VALU_DEP_1)
	v_dual_cndmask_b32 v160, v160, v45 :: v_dual_cndmask_b32 v183, v183, v56
	v_lshl_add_u32 v160, v160, 23, 0x3b800000
	s_delay_alu instid0(VALU_DEP_2) | instskip(NEXT) | instid1(VALU_DEP_1)
	v_lshlrev_b32_e32 v183, 20, v183
	v_or3_b32 v160, v179, v160, v183
.LBB6_6404:                             ;   in Loop: Header=BB6_4903 Depth=2
	s_or_b32 exec_lo, exec_lo, s23
	v_lshrrev_b16 v179, 8, v17
	s_mov_b32 s7, 0
	s_mov_b32 s24, exec_lo
                                        ; implicit-def: $sgpr23
	s_delay_alu instid0(VALU_DEP_1)
	v_cmpx_lt_i16_e64 0x7f, v179
	s_xor_b32 s24, exec_lo, s24
	s_cbranch_execnz .LBB6_7322
; %bb.6405:                             ;   in Loop: Header=BB6_4903 Depth=2
	s_or_saveexec_b32 s24, s24
	v_mov_b32_e32 v183, s23
	s_xor_b32 exec_lo, exec_lo, s24
	s_cbranch_execnz .LBB6_7325
.LBB6_6406:                             ;   in Loop: Header=BB6_4903 Depth=2
	s_or_b32 exec_lo, exec_lo, s24
	s_and_saveexec_b32 s23, s7
	s_cbranch_execz .LBB6_6408
.LBB6_6407:                             ;   in Loop: Header=BB6_4903 Depth=2
	v_and_b32_e32 v183, 0xffff, v179
	v_lshlrev_b32_e32 v179, 24, v179
	s_delay_alu instid0(VALU_DEP_2) | instskip(NEXT) | instid1(VALU_DEP_2)
	v_and_b32_e32 v45, 7, v183
	v_and_b32_e32 v179, 0x80000000, v179
	s_delay_alu instid0(VALU_DEP_2) | instskip(NEXT) | instid1(VALU_DEP_1)
	v_clz_i32_u32_e32 v56, v45
	v_min_u32_e32 v56, 32, v56
	s_delay_alu instid0(VALU_DEP_1) | instskip(SKIP_1) | instid1(VALU_DEP_2)
	v_subrev_nc_u32_e32 v63, 28, v56
	v_sub_nc_u32_e32 v56, 29, v56
	v_lshlrev_b32_e32 v63, v63, v183
	v_bfe_u32 v183, v183, 3, 4
	s_delay_alu instid0(VALU_DEP_2) | instskip(NEXT) | instid1(VALU_DEP_2)
	v_and_b32_e32 v63, 7, v63
	v_cmp_eq_u32_e32 vcc_lo, 0, v183
	v_cndmask_b32_e32 v183, v183, v56, vcc_lo
	s_delay_alu instid0(VALU_DEP_3) | instskip(NEXT) | instid1(VALU_DEP_2)
	v_cndmask_b32_e32 v45, v45, v63, vcc_lo
	v_lshl_add_u32 v183, v183, 23, 0x3b800000
	s_delay_alu instid0(VALU_DEP_2) | instskip(NEXT) | instid1(VALU_DEP_1)
	v_lshlrev_b32_e32 v45, 20, v45
	v_or3_b32 v183, v179, v183, v45
.LBB6_6408:                             ;   in Loop: Header=BB6_4903 Depth=2
	s_or_b32 exec_lo, exec_lo, s23
	s_delay_alu instid0(VALU_DEP_1) | instskip(NEXT) | instid1(VALU_DEP_1)
	v_add_f32_e32 v179, v160, v183
	v_and_b32_e32 v160, 0x7f800000, v179
	s_delay_alu instid0(VALU_DEP_1)
	v_cmp_ne_u32_e32 vcc_lo, 0x7f800000, v160
	v_mov_b32_e32 v160, 0x8000
	s_and_saveexec_b32 s23, vcc_lo
	s_cbranch_execz .LBB6_6416
; %bb.6409:                             ;   in Loop: Header=BB6_4903 Depth=2
	v_mov_b32_e32 v160, 0
	s_mov_b32 s24, exec_lo
	v_cmpx_ne_u32_e32 0, v179
	s_cbranch_execz .LBB6_6415
; %bb.6410:                             ;   in Loop: Header=BB6_4903 Depth=2
	v_bfe_u32 v160, v179, 23, 8
	v_and_b32_e32 v183, 0x7fffff, v179
	s_delay_alu instid0(VALU_DEP_2) | instskip(SKIP_1) | instid1(VALU_DEP_3)
	v_sub_nc_u32_e32 v45, 0x78, v160
	v_cmp_gt_u32_e32 vcc_lo, 0x79, v160
	v_or_b32_e32 v56, 0x800000, v183
	s_delay_alu instid0(VALU_DEP_3) | instskip(SKIP_2) | instid1(VALU_DEP_3)
	v_cndmask_b32_e32 v45, 0, v45, vcc_lo
	v_cmp_eq_u32_e32 vcc_lo, 0, v160
	v_add_nc_u32_e32 v160, 0xffffff89, v160
	v_cndmask_b32_e64 v45, v45, 0x77, vcc_lo
	v_cndmask_b32_e32 v183, v56, v183, vcc_lo
	s_delay_alu instid0(VALU_DEP_3) | instskip(NEXT) | instid1(VALU_DEP_3)
	v_cndmask_b32_e64 v160, v160, 0xffffff8a, vcc_lo
	v_lshl_add_u32 v56, 0x100000, v45, -1
	s_delay_alu instid0(VALU_DEP_3) | instskip(SKIP_1) | instid1(VALU_DEP_4)
	v_lshrrev_b32_e32 v63, v45, v183
	v_lshlrev_b32_e64 v77, v45, 0x80000
	v_add_nc_u32_e32 v45, v45, v160
	s_delay_alu instid0(VALU_DEP_4) | instskip(NEXT) | instid1(VALU_DEP_4)
	v_and_b32_e32 v183, v56, v183
	v_bfe_u32 v74, v63, 20, 1
	s_delay_alu instid0(VALU_DEP_2) | instskip(NEXT) | instid1(VALU_DEP_2)
	v_cmp_eq_u32_e64 s7, v183, v77
	v_add_nc_u32_e32 v56, -1, v74
	s_delay_alu instid0(VALU_DEP_1) | instskip(SKIP_2) | instid1(VALU_DEP_2)
	v_cndmask_b32_e64 v183, 0, v56, s7
	v_lshrrev_b32_e32 v56, 23, v63
	s_mov_b32 s7, exec_lo
	v_add_nc_u32_e32 v183, v183, v63
	s_delay_alu instid0(VALU_DEP_2) | instskip(NEXT) | instid1(VALU_DEP_2)
	v_xor_b32_e32 v56, 1, v56
	v_and_b32_e32 v160, 0xfffff, v183
	s_delay_alu instid0(VALU_DEP_1) | instskip(NEXT) | instid1(VALU_DEP_3)
	v_add_nc_u32_e32 v183, v160, v63
                                        ; implicit-def: $vgpr160
	v_cmpx_ne_u32_e64 v45, v56
	s_xor_b32 s7, exec_lo, s7
; %bb.6411:                             ;   in Loop: Header=BB6_4903 Depth=2
	s_delay_alu instid0(VALU_DEP_2) | instskip(SKIP_2) | instid1(VALU_DEP_2)
	v_cmp_lt_u32_e32 vcc_lo, 0xffffff, v183
	v_sub_nc_u32_e32 v160, v45, v56
	v_cndmask_b32_e64 v45, 0, 1, vcc_lo
	v_add_co_ci_u32_e32 v160, vcc_lo, 0, v160, vcc_lo
	s_delay_alu instid0(VALU_DEP_2)
	v_lshrrev_b32_e32 v183, v45, v183
; %bb.6412:                             ;   in Loop: Header=BB6_4903 Depth=2
	s_and_not1_saveexec_b32 s7, s7
; %bb.6413:                             ;   in Loop: Header=BB6_4903 Depth=2
	s_delay_alu instid0(VALU_DEP_1)
	v_bfe_u32 v160, v183, 23, 1
; %bb.6414:                             ;   in Loop: Header=BB6_4903 Depth=2
	s_or_b32 exec_lo, exec_lo, s7
	v_lshrrev_b32_e32 v183, 20, v183
	s_delay_alu instid0(VALU_DEP_2) | instskip(SKIP_2) | instid1(VALU_DEP_4)
	v_cmp_gt_i32_e32 vcc_lo, 16, v160
	v_min_i32_e32 v45, 15, v160
	v_lshrrev_b32_e32 v179, 24, v179
	v_cndmask_b32_e32 v183, 7, v183, vcc_lo
	s_delay_alu instid0(VALU_DEP_2) | instskip(NEXT) | instid1(VALU_DEP_2)
	v_and_b32_e32 v179, 0x80, v179
	v_or_b32_e32 v160, v160, v183
	v_and_b32_e32 v56, 7, v183
	s_delay_alu instid0(VALU_DEP_2) | instskip(SKIP_1) | instid1(VALU_DEP_1)
	v_cmp_ne_u32_e32 vcc_lo, 0, v160
	v_lshlrev_b32_e32 v45, 3, v45
	v_and_b32_e32 v45, 0xf8, v45
	s_delay_alu instid0(VALU_DEP_1) | instskip(NEXT) | instid1(VALU_DEP_1)
	v_or3_b32 v179, v179, v45, v56
	v_lshlrev_b32_e32 v179, 8, v179
	s_delay_alu instid0(VALU_DEP_1)
	v_cndmask_b32_e32 v160, 0, v179, vcc_lo
.LBB6_6415:                             ;   in Loop: Header=BB6_4903 Depth=2
	s_or_b32 exec_lo, exec_lo, s24
.LBB6_6416:                             ;   in Loop: Header=BB6_4903 Depth=2
	s_delay_alu instid0(SALU_CYCLE_1) | instskip(SKIP_3) | instid1(VALU_DEP_1)
	s_or_b32 exec_lo, exec_lo, s23
	v_or_b32_e32 v161, v161, v150
	s_mov_b32 s7, 0
	s_mov_b32 s24, exec_lo
                                        ; implicit-def: $sgpr23
	v_and_b32_e32 v179, 0xff, v161
	s_delay_alu instid0(VALU_DEP_1)
	v_cmpx_lt_i16_e64 0x7f, v179
	s_xor_b32 s24, exec_lo, s24
	s_cbranch_execnz .LBB6_7326
; %bb.6417:                             ;   in Loop: Header=BB6_4903 Depth=2
	s_or_saveexec_b32 s24, s24
	v_mov_b32_e32 v150, s23
	s_xor_b32 exec_lo, exec_lo, s24
	s_cbranch_execnz .LBB6_7329
.LBB6_6418:                             ;   in Loop: Header=BB6_4903 Depth=2
	s_or_b32 exec_lo, exec_lo, s24
	v_lshl_or_b32 v161, v161, 16, v165
	s_and_saveexec_b32 s23, s7
	s_cbranch_execz .LBB6_6420
.LBB6_6419:                             ;   in Loop: Header=BB6_4903 Depth=2
	s_delay_alu instid0(VALU_DEP_1) | instskip(SKIP_1) | instid1(VALU_DEP_2)
	v_bfe_u32 v150, v161, 16, 3
	v_lshrrev_b32_e32 v179, 16, v161
	v_clz_i32_u32_e32 v165, v150
	s_delay_alu instid0(VALU_DEP_1) | instskip(NEXT) | instid1(VALU_DEP_1)
	v_min_u32_e32 v165, 32, v165
	v_subrev_nc_u32_e32 v183, 28, v165
	v_sub_nc_u32_e32 v165, 29, v165
	s_delay_alu instid0(VALU_DEP_2) | instskip(SKIP_1) | instid1(VALU_DEP_2)
	v_lshlrev_b32_e32 v179, v183, v179
	v_bfe_u32 v183, v161, 19, 4
	v_and_b32_e32 v179, 7, v179
	s_delay_alu instid0(VALU_DEP_2) | instskip(NEXT) | instid1(VALU_DEP_2)
	v_cmp_eq_u32_e32 vcc_lo, 0, v183
	v_dual_cndmask_b32 v150, v150, v179 :: v_dual_lshlrev_b32 v45, 8, v161
	v_cndmask_b32_e32 v165, v183, v165, vcc_lo
	s_delay_alu instid0(VALU_DEP_2) | instskip(NEXT) | instid1(VALU_DEP_3)
	v_and_b32_e32 v179, 0x80000000, v45
	v_lshlrev_b32_e32 v150, 20, v150
	s_delay_alu instid0(VALU_DEP_3) | instskip(NEXT) | instid1(VALU_DEP_1)
	v_lshl_add_u32 v165, v165, 23, 0x3b800000
	v_or3_b32 v150, v179, v165, v150
.LBB6_6420:                             ;   in Loop: Header=BB6_4903 Depth=2
	s_or_b32 exec_lo, exec_lo, s23
	v_lshrrev_b32_e32 v165, 16, v17
	s_mov_b32 s7, 0
	s_mov_b32 s24, exec_lo
                                        ; implicit-def: $sgpr23
	s_delay_alu instid0(VALU_DEP_1) | instskip(NEXT) | instid1(VALU_DEP_1)
	v_and_b32_e32 v183, 0xff, v165
	v_cmpx_lt_i16_e64 0x7f, v183
	s_xor_b32 s24, exec_lo, s24
	s_cbranch_execnz .LBB6_7330
; %bb.6421:                             ;   in Loop: Header=BB6_4903 Depth=2
	s_or_saveexec_b32 s24, s24
	v_mov_b32_e32 v179, s23
	s_xor_b32 exec_lo, exec_lo, s24
	s_cbranch_execnz .LBB6_7333
.LBB6_6422:                             ;   in Loop: Header=BB6_4903 Depth=2
	s_or_b32 exec_lo, exec_lo, s24
	s_and_saveexec_b32 s23, s7
	s_cbranch_execz .LBB6_6424
.LBB6_6423:                             ;   in Loop: Header=BB6_4903 Depth=2
	v_bfe_u32 v179, v17, 16, 3
	s_delay_alu instid0(VALU_DEP_1) | instskip(NEXT) | instid1(VALU_DEP_1)
	v_clz_i32_u32_e32 v183, v179
	v_min_u32_e32 v183, 32, v183
	s_delay_alu instid0(VALU_DEP_1) | instskip(SKIP_1) | instid1(VALU_DEP_2)
	v_subrev_nc_u32_e32 v45, 28, v183
	v_sub_nc_u32_e32 v183, 29, v183
	v_lshlrev_b32_e32 v165, v45, v165
	v_bfe_u32 v45, v17, 19, 4
	s_delay_alu instid0(VALU_DEP_2) | instskip(NEXT) | instid1(VALU_DEP_2)
	v_and_b32_e32 v165, 7, v165
	v_cmp_eq_u32_e32 vcc_lo, 0, v45
	v_dual_cndmask_b32 v183, v45, v183 :: v_dual_lshlrev_b32 v56, 8, v17
	s_delay_alu instid0(VALU_DEP_3) | instskip(NEXT) | instid1(VALU_DEP_2)
	v_cndmask_b32_e32 v165, v179, v165, vcc_lo
	v_and_b32_e32 v179, 0x80000000, v56
	s_delay_alu instid0(VALU_DEP_3) | instskip(NEXT) | instid1(VALU_DEP_3)
	v_lshl_add_u32 v183, v183, 23, 0x3b800000
	v_lshlrev_b32_e32 v165, 20, v165
	s_delay_alu instid0(VALU_DEP_1)
	v_or3_b32 v179, v179, v183, v165
.LBB6_6424:                             ;   in Loop: Header=BB6_4903 Depth=2
	s_or_b32 exec_lo, exec_lo, s23
	s_delay_alu instid0(VALU_DEP_1) | instskip(NEXT) | instid1(VALU_DEP_1)
	v_add_f32_e32 v165, v150, v179
	v_and_b32_e32 v150, 0x7f800000, v165
	s_delay_alu instid0(VALU_DEP_1)
	v_cmp_ne_u32_e32 vcc_lo, 0x7f800000, v150
	v_mov_b32_e32 v150, 0x80
	s_and_saveexec_b32 s23, vcc_lo
	s_cbranch_execz .LBB6_6432
; %bb.6425:                             ;   in Loop: Header=BB6_4903 Depth=2
	v_mov_b32_e32 v150, 0
	s_mov_b32 s24, exec_lo
	v_cmpx_ne_u32_e32 0, v165
	s_cbranch_execz .LBB6_6431
; %bb.6426:                             ;   in Loop: Header=BB6_4903 Depth=2
	v_bfe_u32 v150, v165, 23, 8
	v_and_b32_e32 v179, 0x7fffff, v165
	s_delay_alu instid0(VALU_DEP_2) | instskip(SKIP_1) | instid1(VALU_DEP_3)
	v_sub_nc_u32_e32 v183, 0x78, v150
	v_cmp_gt_u32_e32 vcc_lo, 0x79, v150
	v_or_b32_e32 v45, 0x800000, v179
	s_delay_alu instid0(VALU_DEP_3) | instskip(SKIP_2) | instid1(VALU_DEP_3)
	v_cndmask_b32_e32 v183, 0, v183, vcc_lo
	v_cmp_eq_u32_e32 vcc_lo, 0, v150
	v_add_nc_u32_e32 v150, 0xffffff89, v150
	v_cndmask_b32_e64 v183, v183, 0x77, vcc_lo
	v_cndmask_b32_e32 v179, v45, v179, vcc_lo
	s_delay_alu instid0(VALU_DEP_3) | instskip(NEXT) | instid1(VALU_DEP_3)
	v_cndmask_b32_e64 v150, v150, 0xffffff8a, vcc_lo
	v_lshl_add_u32 v45, 0x100000, v183, -1
	s_delay_alu instid0(VALU_DEP_3) | instskip(SKIP_1) | instid1(VALU_DEP_4)
	v_lshrrev_b32_e32 v56, v183, v179
	v_lshlrev_b32_e64 v74, v183, 0x80000
	v_add_nc_u32_e32 v183, v183, v150
	s_delay_alu instid0(VALU_DEP_4) | instskip(NEXT) | instid1(VALU_DEP_4)
	v_and_b32_e32 v179, v45, v179
	v_bfe_u32 v63, v56, 20, 1
	s_delay_alu instid0(VALU_DEP_2) | instskip(NEXT) | instid1(VALU_DEP_2)
	v_cmp_eq_u32_e64 s7, v179, v74
	v_add_nc_u32_e32 v45, -1, v63
	s_delay_alu instid0(VALU_DEP_1) | instskip(SKIP_2) | instid1(VALU_DEP_2)
	v_cndmask_b32_e64 v179, 0, v45, s7
	v_lshrrev_b32_e32 v45, 23, v56
	s_mov_b32 s7, exec_lo
	v_add_nc_u32_e32 v179, v179, v56
	s_delay_alu instid0(VALU_DEP_2) | instskip(NEXT) | instid1(VALU_DEP_2)
	v_xor_b32_e32 v45, 1, v45
	v_and_b32_e32 v150, 0xfffff, v179
	s_delay_alu instid0(VALU_DEP_1) | instskip(NEXT) | instid1(VALU_DEP_3)
	v_add_nc_u32_e32 v179, v150, v56
                                        ; implicit-def: $vgpr150
	v_cmpx_ne_u32_e64 v183, v45
	s_xor_b32 s7, exec_lo, s7
; %bb.6427:                             ;   in Loop: Header=BB6_4903 Depth=2
	s_delay_alu instid0(VALU_DEP_2) | instskip(SKIP_2) | instid1(VALU_DEP_2)
	v_cmp_lt_u32_e32 vcc_lo, 0xffffff, v179
	v_sub_nc_u32_e32 v150, v183, v45
	v_cndmask_b32_e64 v183, 0, 1, vcc_lo
	v_add_co_ci_u32_e32 v150, vcc_lo, 0, v150, vcc_lo
	s_delay_alu instid0(VALU_DEP_2)
	v_lshrrev_b32_e32 v179, v183, v179
; %bb.6428:                             ;   in Loop: Header=BB6_4903 Depth=2
	s_and_not1_saveexec_b32 s7, s7
; %bb.6429:                             ;   in Loop: Header=BB6_4903 Depth=2
	s_delay_alu instid0(VALU_DEP_1)
	v_bfe_u32 v150, v179, 23, 1
; %bb.6430:                             ;   in Loop: Header=BB6_4903 Depth=2
	s_or_b32 exec_lo, exec_lo, s7
	v_lshrrev_b32_e32 v179, 20, v179
	s_delay_alu instid0(VALU_DEP_2) | instskip(SKIP_2) | instid1(VALU_DEP_3)
	v_min_i32_e32 v183, 15, v150
	v_cmp_gt_i32_e32 vcc_lo, 16, v150
	v_lshrrev_b32_e32 v165, 24, v165
	v_lshlrev_b32_e32 v183, 3, v183
	v_cndmask_b32_e32 v179, 7, v179, vcc_lo
	s_delay_alu instid0(VALU_DEP_3) | instskip(NEXT) | instid1(VALU_DEP_3)
	v_and_b32_e32 v165, 0x80, v165
	v_and_b32_e32 v183, 0xf8, v183
	s_delay_alu instid0(VALU_DEP_3) | instskip(SKIP_1) | instid1(VALU_DEP_2)
	v_and_b32_e32 v45, 7, v179
	v_or_b32_e32 v150, v150, v179
	v_or3_b32 v165, v183, v165, v45
	s_delay_alu instid0(VALU_DEP_2) | instskip(NEXT) | instid1(VALU_DEP_2)
	v_cmp_ne_u32_e32 vcc_lo, 0, v150
	v_cndmask_b32_e32 v150, 0, v165, vcc_lo
.LBB6_6431:                             ;   in Loop: Header=BB6_4903 Depth=2
	s_or_b32 exec_lo, exec_lo, s24
.LBB6_6432:                             ;   in Loop: Header=BB6_4903 Depth=2
	s_delay_alu instid0(SALU_CYCLE_1) | instskip(SKIP_3) | instid1(VALU_DEP_1)
	s_or_b32 exec_lo, exec_lo, s23
	v_lshrrev_b32_e32 v179, 24, v161
	s_mov_b32 s7, 0
	s_mov_b32 s24, exec_lo
                                        ; implicit-def: $sgpr23
	v_cmpx_lt_i16_e64 0x7f, v179
	s_xor_b32 s24, exec_lo, s24
	s_cbranch_execnz .LBB6_7334
; %bb.6433:                             ;   in Loop: Header=BB6_4903 Depth=2
	s_or_saveexec_b32 s24, s24
	v_mov_b32_e32 v165, s23
	s_xor_b32 exec_lo, exec_lo, s24
	s_cbranch_execnz .LBB6_7337
.LBB6_6434:                             ;   in Loop: Header=BB6_4903 Depth=2
	s_or_b32 exec_lo, exec_lo, s24
	s_and_saveexec_b32 s23, s7
	s_cbranch_execz .LBB6_6436
.LBB6_6435:                             ;   in Loop: Header=BB6_4903 Depth=2
	v_bfe_u32 v165, v161, 24, 3
	s_delay_alu instid0(VALU_DEP_1) | instskip(NEXT) | instid1(VALU_DEP_1)
	v_clz_i32_u32_e32 v183, v165
	v_min_u32_e32 v183, 32, v183
	s_delay_alu instid0(VALU_DEP_1) | instskip(SKIP_1) | instid1(VALU_DEP_2)
	v_subrev_nc_u32_e32 v45, 28, v183
	v_sub_nc_u32_e32 v183, 29, v183
	v_lshlrev_b32_e32 v179, v45, v179
	v_bfe_u32 v45, v161, 27, 4
	v_and_b32_e32 v161, 0x80000000, v161
	s_delay_alu instid0(VALU_DEP_3) | instskip(NEXT) | instid1(VALU_DEP_3)
	v_and_b32_e32 v179, 7, v179
	v_cmp_eq_u32_e32 vcc_lo, 0, v45
	v_cndmask_b32_e32 v183, v45, v183, vcc_lo
	s_delay_alu instid0(VALU_DEP_3) | instskip(NEXT) | instid1(VALU_DEP_2)
	v_cndmask_b32_e32 v165, v165, v179, vcc_lo
	v_lshl_add_u32 v179, v183, 23, 0x3b800000
	s_delay_alu instid0(VALU_DEP_2) | instskip(NEXT) | instid1(VALU_DEP_1)
	v_lshlrev_b32_e32 v165, 20, v165
	v_or3_b32 v165, v161, v179, v165
.LBB6_6436:                             ;   in Loop: Header=BB6_4903 Depth=2
	s_or_b32 exec_lo, exec_lo, s23
	v_lshrrev_b32_e32 v161, 24, v17
	s_mov_b32 s7, 0
	s_mov_b32 s24, exec_lo
                                        ; implicit-def: $sgpr23
	s_delay_alu instid0(VALU_DEP_1)
	v_cmpx_lt_i16_e64 0x7f, v161
	s_xor_b32 s24, exec_lo, s24
	s_cbranch_execnz .LBB6_7338
; %bb.6437:                             ;   in Loop: Header=BB6_4903 Depth=2
	s_or_saveexec_b32 s24, s24
	v_mov_b32_e32 v179, s23
	s_xor_b32 exec_lo, exec_lo, s24
	s_cbranch_execnz .LBB6_7341
.LBB6_6438:                             ;   in Loop: Header=BB6_4903 Depth=2
	s_or_b32 exec_lo, exec_lo, s24
	s_and_saveexec_b32 s23, s7
	s_cbranch_execz .LBB6_6440
.LBB6_6439:                             ;   in Loop: Header=BB6_4903 Depth=2
	v_bfe_u32 v179, v17, 24, 3
	s_delay_alu instid0(VALU_DEP_1) | instskip(NEXT) | instid1(VALU_DEP_1)
	v_clz_i32_u32_e32 v183, v179
	v_min_u32_e32 v183, 32, v183
	s_delay_alu instid0(VALU_DEP_1) | instskip(SKIP_1) | instid1(VALU_DEP_2)
	v_subrev_nc_u32_e32 v45, 28, v183
	v_sub_nc_u32_e32 v183, 29, v183
	v_lshlrev_b32_e32 v161, v45, v161
	v_bfe_u32 v45, v17, 27, 4
	v_and_b32_e32 v17, 0x80000000, v17
	s_delay_alu instid0(VALU_DEP_3) | instskip(NEXT) | instid1(VALU_DEP_3)
	v_and_b32_e32 v161, 7, v161
	v_cmp_eq_u32_e32 vcc_lo, 0, v45
	v_cndmask_b32_e32 v183, v45, v183, vcc_lo
	s_delay_alu instid0(VALU_DEP_3) | instskip(NEXT) | instid1(VALU_DEP_2)
	v_cndmask_b32_e32 v161, v179, v161, vcc_lo
	v_lshl_add_u32 v179, v183, 23, 0x3b800000
	s_delay_alu instid0(VALU_DEP_2) | instskip(NEXT) | instid1(VALU_DEP_1)
	v_lshlrev_b32_e32 v161, 20, v161
	v_or3_b32 v179, v17, v179, v161
.LBB6_6440:                             ;   in Loop: Header=BB6_4903 Depth=2
	s_or_b32 exec_lo, exec_lo, s23
	s_delay_alu instid0(VALU_DEP_1) | instskip(NEXT) | instid1(VALU_DEP_1)
	v_add_f32_e32 v161, v165, v179
	v_and_b32_e32 v17, 0x7f800000, v161
	s_delay_alu instid0(VALU_DEP_1)
	v_cmp_ne_u32_e32 vcc_lo, 0x7f800000, v17
	v_mov_b32_e32 v17, 0x8000
	s_and_saveexec_b32 s23, vcc_lo
	s_cbranch_execz .LBB6_6448
; %bb.6441:                             ;   in Loop: Header=BB6_4903 Depth=2
	v_mov_b32_e32 v17, 0
	s_mov_b32 s24, exec_lo
	v_cmpx_ne_u32_e32 0, v161
	s_cbranch_execz .LBB6_6447
; %bb.6442:                             ;   in Loop: Header=BB6_4903 Depth=2
	v_bfe_u32 v17, v161, 23, 8
	v_and_b32_e32 v165, 0x7fffff, v161
	s_delay_alu instid0(VALU_DEP_2) | instskip(SKIP_1) | instid1(VALU_DEP_3)
	v_sub_nc_u32_e32 v179, 0x78, v17
	v_cmp_gt_u32_e32 vcc_lo, 0x79, v17
	v_or_b32_e32 v183, 0x800000, v165
	s_delay_alu instid0(VALU_DEP_3) | instskip(SKIP_2) | instid1(VALU_DEP_3)
	v_cndmask_b32_e32 v179, 0, v179, vcc_lo
	v_cmp_eq_u32_e32 vcc_lo, 0, v17
	v_add_nc_u32_e32 v17, 0xffffff89, v17
	v_cndmask_b32_e64 v179, v179, 0x77, vcc_lo
	v_cndmask_b32_e32 v165, v183, v165, vcc_lo
	s_delay_alu instid0(VALU_DEP_3) | instskip(NEXT) | instid1(VALU_DEP_3)
	v_cndmask_b32_e64 v17, v17, 0xffffff8a, vcc_lo
	v_lshl_add_u32 v183, 0x100000, v179, -1
	s_delay_alu instid0(VALU_DEP_3) | instskip(SKIP_1) | instid1(VALU_DEP_4)
	v_lshrrev_b32_e32 v45, v179, v165
	v_lshlrev_b32_e64 v63, v179, 0x80000
	v_add_nc_u32_e32 v179, v179, v17
	s_delay_alu instid0(VALU_DEP_4) | instskip(NEXT) | instid1(VALU_DEP_4)
	v_and_b32_e32 v165, v183, v165
	v_bfe_u32 v56, v45, 20, 1
	s_delay_alu instid0(VALU_DEP_2) | instskip(NEXT) | instid1(VALU_DEP_2)
	v_cmp_eq_u32_e64 s7, v165, v63
	v_add_nc_u32_e32 v183, -1, v56
	s_delay_alu instid0(VALU_DEP_1) | instskip(SKIP_2) | instid1(VALU_DEP_2)
	v_cndmask_b32_e64 v165, 0, v183, s7
	v_lshrrev_b32_e32 v183, 23, v45
	s_mov_b32 s7, exec_lo
	v_add_nc_u32_e32 v165, v165, v45
	s_delay_alu instid0(VALU_DEP_2) | instskip(NEXT) | instid1(VALU_DEP_2)
	v_xor_b32_e32 v183, 1, v183
	v_and_b32_e32 v17, 0xfffff, v165
	s_delay_alu instid0(VALU_DEP_1) | instskip(NEXT) | instid1(VALU_DEP_3)
	v_add_nc_u32_e32 v165, v17, v45
                                        ; implicit-def: $vgpr17
	v_cmpx_ne_u32_e64 v179, v183
	s_xor_b32 s7, exec_lo, s7
; %bb.6443:                             ;   in Loop: Header=BB6_4903 Depth=2
	s_delay_alu instid0(VALU_DEP_2) | instskip(SKIP_2) | instid1(VALU_DEP_2)
	v_cmp_lt_u32_e32 vcc_lo, 0xffffff, v165
	v_sub_nc_u32_e32 v17, v179, v183
	v_cndmask_b32_e64 v179, 0, 1, vcc_lo
	v_add_co_ci_u32_e32 v17, vcc_lo, 0, v17, vcc_lo
	s_delay_alu instid0(VALU_DEP_2)
	v_lshrrev_b32_e32 v165, v179, v165
; %bb.6444:                             ;   in Loop: Header=BB6_4903 Depth=2
	s_and_not1_saveexec_b32 s7, s7
; %bb.6445:                             ;   in Loop: Header=BB6_4903 Depth=2
	s_delay_alu instid0(VALU_DEP_1)
	v_bfe_u32 v17, v165, 23, 1
; %bb.6446:                             ;   in Loop: Header=BB6_4903 Depth=2
	s_or_b32 exec_lo, exec_lo, s7
	v_lshrrev_b32_e32 v165, 20, v165
	s_delay_alu instid0(VALU_DEP_2) | instskip(SKIP_2) | instid1(VALU_DEP_3)
	v_min_i32_e32 v179, 15, v17
	v_cmp_gt_i32_e32 vcc_lo, 16, v17
	v_lshrrev_b32_e32 v161, 24, v161
	v_lshlrev_b32_e32 v179, 3, v179
	v_cndmask_b32_e32 v165, 7, v165, vcc_lo
	s_delay_alu instid0(VALU_DEP_3) | instskip(NEXT) | instid1(VALU_DEP_3)
	v_and_b32_e32 v161, 0x80, v161
	v_and_b32_e32 v179, 0xf8, v179
	s_delay_alu instid0(VALU_DEP_3) | instskip(SKIP_1) | instid1(VALU_DEP_2)
	v_and_b32_e32 v183, 7, v165
	v_or_b32_e32 v17, v17, v165
	v_or3_b32 v161, v161, v179, v183
	s_delay_alu instid0(VALU_DEP_2) | instskip(NEXT) | instid1(VALU_DEP_2)
	v_cmp_ne_u32_e32 vcc_lo, 0, v17
	v_lshlrev_b32_e32 v161, 8, v161
	s_delay_alu instid0(VALU_DEP_1)
	v_cndmask_b32_e32 v17, 0, v161, vcc_lo
.LBB6_6447:                             ;   in Loop: Header=BB6_4903 Depth=2
	s_or_b32 exec_lo, exec_lo, s24
.LBB6_6448:                             ;   in Loop: Header=BB6_4903 Depth=2
	s_delay_alu instid0(SALU_CYCLE_1) | instskip(SKIP_3) | instid1(VALU_DEP_1)
	s_or_b32 exec_lo, exec_lo, s23
	v_and_b32_e32 v165, 0xff, v148
	s_mov_b32 s7, 0
	s_mov_b32 s24, exec_lo
                                        ; implicit-def: $sgpr23
	v_cmpx_lt_i16_e64 0x7f, v165
	s_xor_b32 s24, exec_lo, s24
	s_cbranch_execnz .LBB6_7342
; %bb.6449:                             ;   in Loop: Header=BB6_4903 Depth=2
	s_or_saveexec_b32 s24, s24
	v_mov_b32_e32 v161, s23
	s_xor_b32 exec_lo, exec_lo, s24
	s_cbranch_execnz .LBB6_7345
.LBB6_6450:                             ;   in Loop: Header=BB6_4903 Depth=2
	s_or_b32 exec_lo, exec_lo, s24
	s_and_saveexec_b32 s23, s7
	s_cbranch_execz .LBB6_6452
.LBB6_6451:                             ;   in Loop: Header=BB6_4903 Depth=2
	v_and_b32_e32 v161, 7, v148
	v_bfe_u32 v183, v148, 3, 4
	s_delay_alu instid0(VALU_DEP_2) | instskip(NEXT) | instid1(VALU_DEP_2)
	v_clz_i32_u32_e32 v165, v161
	v_cmp_eq_u32_e32 vcc_lo, 0, v183
	s_delay_alu instid0(VALU_DEP_2) | instskip(NEXT) | instid1(VALU_DEP_1)
	v_min_u32_e32 v165, 32, v165
	v_subrev_nc_u32_e32 v179, 28, v165
	v_sub_nc_u32_e32 v165, 29, v165
	s_delay_alu instid0(VALU_DEP_2) | instskip(NEXT) | instid1(VALU_DEP_2)
	v_lshlrev_b32_e32 v179, v179, v148
	v_dual_cndmask_b32 v165, v183, v165 :: v_dual_lshlrev_b32 v148, 24, v148
	s_delay_alu instid0(VALU_DEP_2) | instskip(NEXT) | instid1(VALU_DEP_2)
	v_and_b32_e32 v179, 7, v179
	v_and_b32_e32 v148, 0x80000000, v148
	s_delay_alu instid0(VALU_DEP_3) | instskip(NEXT) | instid1(VALU_DEP_3)
	v_lshl_add_u32 v165, v165, 23, 0x3b800000
	v_cndmask_b32_e32 v161, v161, v179, vcc_lo
	s_delay_alu instid0(VALU_DEP_1) | instskip(NEXT) | instid1(VALU_DEP_1)
	v_lshlrev_b32_e32 v161, 20, v161
	v_or3_b32 v161, v148, v165, v161
.LBB6_6452:                             ;   in Loop: Header=BB6_4903 Depth=2
	s_or_b32 exec_lo, exec_lo, s23
	s_waitcnt vmcnt(0)
	v_and_b32_e32 v165, 0xff, v10
	s_mov_b32 s7, 0
	s_mov_b32 s24, exec_lo
                                        ; implicit-def: $sgpr23
	s_delay_alu instid0(VALU_DEP_1)
	v_cmpx_lt_i16_e64 0x7f, v165
	s_xor_b32 s24, exec_lo, s24
	s_cbranch_execnz .LBB6_7346
; %bb.6453:                             ;   in Loop: Header=BB6_4903 Depth=2
	s_or_saveexec_b32 s24, s24
	v_mov_b32_e32 v148, s23
	s_xor_b32 exec_lo, exec_lo, s24
	s_cbranch_execnz .LBB6_7349
.LBB6_6454:                             ;   in Loop: Header=BB6_4903 Depth=2
	s_or_b32 exec_lo, exec_lo, s24
	s_and_saveexec_b32 s23, s7
	s_cbranch_execz .LBB6_6456
.LBB6_6455:                             ;   in Loop: Header=BB6_4903 Depth=2
	v_bfe_u32 v183, v10, 3, 4
	s_delay_alu instid0(VALU_DEP_1) | instskip(SKIP_1) | instid1(VALU_DEP_1)
	v_cmp_eq_u32_e32 vcc_lo, 0, v183
	v_and_b32_e32 v148, 7, v10
	v_clz_i32_u32_e32 v165, v148
	s_delay_alu instid0(VALU_DEP_1) | instskip(NEXT) | instid1(VALU_DEP_1)
	v_min_u32_e32 v165, 32, v165
	v_subrev_nc_u32_e32 v179, 28, v165
	v_sub_nc_u32_e32 v165, 29, v165
	s_delay_alu instid0(VALU_DEP_2) | instskip(NEXT) | instid1(VALU_DEP_2)
	v_lshlrev_b32_e32 v179, v179, v10
	v_cndmask_b32_e32 v165, v183, v165, vcc_lo
	s_delay_alu instid0(VALU_DEP_2) | instskip(SKIP_1) | instid1(VALU_DEP_3)
	v_and_b32_e32 v179, 7, v179
	v_lshlrev_b32_e32 v45, 24, v10
	v_lshl_add_u32 v165, v165, 23, 0x3b800000
	s_delay_alu instid0(VALU_DEP_2) | instskip(NEXT) | instid1(VALU_DEP_1)
	v_dual_cndmask_b32 v148, v148, v179 :: v_dual_and_b32 v179, 0x80000000, v45
	v_lshlrev_b32_e32 v148, 20, v148
	s_delay_alu instid0(VALU_DEP_1)
	v_or3_b32 v148, v179, v165, v148
.LBB6_6456:                             ;   in Loop: Header=BB6_4903 Depth=2
	s_or_b32 exec_lo, exec_lo, s23
	s_delay_alu instid0(VALU_DEP_1) | instskip(NEXT) | instid1(VALU_DEP_1)
	v_add_f32_e32 v161, v161, v148
	v_and_b32_e32 v148, 0x7f800000, v161
	s_delay_alu instid0(VALU_DEP_1)
	v_cmp_ne_u32_e32 vcc_lo, 0x7f800000, v148
	v_mov_b32_e32 v148, 0x80
	s_and_saveexec_b32 s23, vcc_lo
	s_cbranch_execz .LBB6_6464
; %bb.6457:                             ;   in Loop: Header=BB6_4903 Depth=2
	v_mov_b32_e32 v148, 0
	s_mov_b32 s24, exec_lo
	v_cmpx_ne_u32_e32 0, v161
	s_cbranch_execz .LBB6_6463
; %bb.6458:                             ;   in Loop: Header=BB6_4903 Depth=2
	v_bfe_u32 v148, v161, 23, 8
	v_and_b32_e32 v165, 0x7fffff, v161
	s_delay_alu instid0(VALU_DEP_2) | instskip(SKIP_1) | instid1(VALU_DEP_3)
	v_sub_nc_u32_e32 v179, 0x78, v148
	v_cmp_gt_u32_e32 vcc_lo, 0x79, v148
	v_or_b32_e32 v183, 0x800000, v165
	s_delay_alu instid0(VALU_DEP_3) | instskip(SKIP_2) | instid1(VALU_DEP_3)
	v_cndmask_b32_e32 v179, 0, v179, vcc_lo
	v_cmp_eq_u32_e32 vcc_lo, 0, v148
	v_add_nc_u32_e32 v148, 0xffffff89, v148
	v_cndmask_b32_e64 v179, v179, 0x77, vcc_lo
	v_cndmask_b32_e32 v165, v183, v165, vcc_lo
	s_delay_alu instid0(VALU_DEP_3) | instskip(NEXT) | instid1(VALU_DEP_3)
	v_cndmask_b32_e64 v148, v148, 0xffffff8a, vcc_lo
	v_lshl_add_u32 v183, 0x100000, v179, -1
	s_delay_alu instid0(VALU_DEP_3) | instskip(SKIP_1) | instid1(VALU_DEP_4)
	v_lshrrev_b32_e32 v45, v179, v165
	v_lshlrev_b32_e64 v63, v179, 0x80000
	v_add_nc_u32_e32 v179, v179, v148
	s_delay_alu instid0(VALU_DEP_4) | instskip(NEXT) | instid1(VALU_DEP_4)
	v_and_b32_e32 v165, v183, v165
	v_bfe_u32 v56, v45, 20, 1
	s_delay_alu instid0(VALU_DEP_2) | instskip(NEXT) | instid1(VALU_DEP_2)
	v_cmp_eq_u32_e64 s7, v165, v63
	v_add_nc_u32_e32 v183, -1, v56
	s_delay_alu instid0(VALU_DEP_1) | instskip(SKIP_2) | instid1(VALU_DEP_2)
	v_cndmask_b32_e64 v165, 0, v183, s7
	v_lshrrev_b32_e32 v183, 23, v45
	s_mov_b32 s7, exec_lo
	v_add_nc_u32_e32 v165, v165, v45
	s_delay_alu instid0(VALU_DEP_2) | instskip(NEXT) | instid1(VALU_DEP_2)
	v_xor_b32_e32 v183, 1, v183
	v_and_b32_e32 v148, 0xfffff, v165
	s_delay_alu instid0(VALU_DEP_1) | instskip(NEXT) | instid1(VALU_DEP_3)
	v_add_nc_u32_e32 v165, v148, v45
                                        ; implicit-def: $vgpr148
	v_cmpx_ne_u32_e64 v179, v183
	s_xor_b32 s7, exec_lo, s7
; %bb.6459:                             ;   in Loop: Header=BB6_4903 Depth=2
	s_delay_alu instid0(VALU_DEP_2) | instskip(SKIP_2) | instid1(VALU_DEP_2)
	v_cmp_lt_u32_e32 vcc_lo, 0xffffff, v165
	v_sub_nc_u32_e32 v148, v179, v183
	v_cndmask_b32_e64 v179, 0, 1, vcc_lo
	v_add_co_ci_u32_e32 v148, vcc_lo, 0, v148, vcc_lo
	s_delay_alu instid0(VALU_DEP_2)
	v_lshrrev_b32_e32 v165, v179, v165
; %bb.6460:                             ;   in Loop: Header=BB6_4903 Depth=2
	s_and_not1_saveexec_b32 s7, s7
; %bb.6461:                             ;   in Loop: Header=BB6_4903 Depth=2
	s_delay_alu instid0(VALU_DEP_1)
	v_bfe_u32 v148, v165, 23, 1
; %bb.6462:                             ;   in Loop: Header=BB6_4903 Depth=2
	s_or_b32 exec_lo, exec_lo, s7
	v_lshrrev_b32_e32 v165, 20, v165
	s_delay_alu instid0(VALU_DEP_2) | instskip(SKIP_2) | instid1(VALU_DEP_4)
	v_cmp_gt_i32_e32 vcc_lo, 16, v148
	v_lshrrev_b32_e32 v161, 24, v161
	v_min_i32_e32 v179, 15, v148
	v_cndmask_b32_e32 v165, 7, v165, vcc_lo
	s_delay_alu instid0(VALU_DEP_3) | instskip(NEXT) | instid1(VALU_DEP_2)
	v_and_b32_e32 v161, 0x80, v161
	v_or_b32_e32 v148, v148, v165
	v_and_b32_e32 v183, 7, v165
	s_delay_alu instid0(VALU_DEP_2) | instskip(SKIP_1) | instid1(VALU_DEP_1)
	v_cmp_ne_u32_e32 vcc_lo, 0, v148
	v_lshlrev_b32_e32 v179, 3, v179
	v_or3_b32 v161, v179, v161, v183
	s_delay_alu instid0(VALU_DEP_1)
	v_cndmask_b32_e32 v148, 0, v161, vcc_lo
.LBB6_6463:                             ;   in Loop: Header=BB6_4903 Depth=2
	s_or_b32 exec_lo, exec_lo, s24
.LBB6_6464:                             ;   in Loop: Header=BB6_4903 Depth=2
	s_delay_alu instid0(SALU_CYCLE_1) | instskip(SKIP_3) | instid1(VALU_DEP_1)
	s_or_b32 exec_lo, exec_lo, s23
	v_and_b32_e32 v165, 0xff, v146
	s_mov_b32 s7, 0
	s_mov_b32 s24, exec_lo
                                        ; implicit-def: $sgpr23
	v_cmpx_lt_i16_e64 0x7f, v165
	s_xor_b32 s24, exec_lo, s24
	s_cbranch_execnz .LBB6_7350
; %bb.6465:                             ;   in Loop: Header=BB6_4903 Depth=2
	s_or_saveexec_b32 s24, s24
	v_mov_b32_e32 v161, s23
	s_xor_b32 exec_lo, exec_lo, s24
	s_cbranch_execnz .LBB6_7353
.LBB6_6466:                             ;   in Loop: Header=BB6_4903 Depth=2
	s_or_b32 exec_lo, exec_lo, s24
	s_and_saveexec_b32 s23, s7
	s_cbranch_execz .LBB6_6468
.LBB6_6467:                             ;   in Loop: Header=BB6_4903 Depth=2
	v_and_b32_e32 v161, 7, v146
	v_bfe_u32 v183, v146, 3, 4
	s_delay_alu instid0(VALU_DEP_2) | instskip(NEXT) | instid1(VALU_DEP_2)
	v_clz_i32_u32_e32 v165, v161
	v_cmp_eq_u32_e32 vcc_lo, 0, v183
	s_delay_alu instid0(VALU_DEP_2) | instskip(NEXT) | instid1(VALU_DEP_1)
	v_min_u32_e32 v165, 32, v165
	v_subrev_nc_u32_e32 v179, 28, v165
	v_sub_nc_u32_e32 v165, 29, v165
	s_delay_alu instid0(VALU_DEP_2) | instskip(NEXT) | instid1(VALU_DEP_2)
	v_lshlrev_b32_e32 v179, v179, v146
	v_dual_cndmask_b32 v165, v183, v165 :: v_dual_lshlrev_b32 v146, 24, v146
	s_delay_alu instid0(VALU_DEP_2) | instskip(NEXT) | instid1(VALU_DEP_2)
	v_and_b32_e32 v179, 7, v179
	v_and_b32_e32 v146, 0x80000000, v146
	s_delay_alu instid0(VALU_DEP_3) | instskip(NEXT) | instid1(VALU_DEP_3)
	v_lshl_add_u32 v165, v165, 23, 0x3b800000
	v_cndmask_b32_e32 v161, v161, v179, vcc_lo
	s_delay_alu instid0(VALU_DEP_1) | instskip(NEXT) | instid1(VALU_DEP_1)
	v_lshlrev_b32_e32 v161, 20, v161
	v_or3_b32 v161, v146, v165, v161
.LBB6_6468:                             ;   in Loop: Header=BB6_4903 Depth=2
	s_or_b32 exec_lo, exec_lo, s23
	v_lshrrev_b16 v146, 8, v10
	s_mov_b32 s7, 0
	s_mov_b32 s24, exec_lo
                                        ; implicit-def: $sgpr23
	s_delay_alu instid0(VALU_DEP_1)
	v_cmpx_lt_i16_e64 0x7f, v146
	s_xor_b32 s24, exec_lo, s24
	s_cbranch_execnz .LBB6_7354
; %bb.6469:                             ;   in Loop: Header=BB6_4903 Depth=2
	s_or_saveexec_b32 s24, s24
	v_mov_b32_e32 v165, s23
	s_xor_b32 exec_lo, exec_lo, s24
	s_cbranch_execnz .LBB6_7357
.LBB6_6470:                             ;   in Loop: Header=BB6_4903 Depth=2
	s_or_b32 exec_lo, exec_lo, s24
	s_and_saveexec_b32 s23, s7
	s_cbranch_execz .LBB6_6472
.LBB6_6471:                             ;   in Loop: Header=BB6_4903 Depth=2
	v_and_b32_e32 v165, 0xffff, v146
	s_delay_alu instid0(VALU_DEP_1) | instskip(NEXT) | instid1(VALU_DEP_1)
	v_and_b32_e32 v179, 7, v165
	v_clz_i32_u32_e32 v183, v179
	s_delay_alu instid0(VALU_DEP_1) | instskip(NEXT) | instid1(VALU_DEP_1)
	v_min_u32_e32 v183, 32, v183
	v_subrev_nc_u32_e32 v45, 28, v183
	v_sub_nc_u32_e32 v183, 29, v183
	s_delay_alu instid0(VALU_DEP_2) | instskip(SKIP_1) | instid1(VALU_DEP_2)
	v_lshlrev_b32_e32 v45, v45, v165
	v_bfe_u32 v165, v165, 3, 4
	v_and_b32_e32 v45, 7, v45
	s_delay_alu instid0(VALU_DEP_2) | instskip(SKIP_1) | instid1(VALU_DEP_1)
	v_cmp_eq_u32_e32 vcc_lo, 0, v165
	v_dual_cndmask_b32 v165, v165, v183 :: v_dual_lshlrev_b32 v146, 24, v146
	v_dual_cndmask_b32 v179, v179, v45 :: v_dual_and_b32 v146, 0x80000000, v146
	s_delay_alu instid0(VALU_DEP_2) | instskip(NEXT) | instid1(VALU_DEP_2)
	v_lshl_add_u32 v165, v165, 23, 0x3b800000
	v_lshlrev_b32_e32 v179, 20, v179
	s_delay_alu instid0(VALU_DEP_1)
	v_or3_b32 v165, v146, v165, v179
.LBB6_6472:                             ;   in Loop: Header=BB6_4903 Depth=2
	s_or_b32 exec_lo, exec_lo, s23
	s_delay_alu instid0(VALU_DEP_1) | instskip(NEXT) | instid1(VALU_DEP_1)
	v_add_f32_e32 v161, v161, v165
	v_and_b32_e32 v146, 0x7f800000, v161
	s_delay_alu instid0(VALU_DEP_1)
	v_cmp_ne_u32_e32 vcc_lo, 0x7f800000, v146
	v_mov_b32_e32 v146, 0x80
	s_and_saveexec_b32 s23, vcc_lo
	s_cbranch_execz .LBB6_6480
; %bb.6473:                             ;   in Loop: Header=BB6_4903 Depth=2
	v_mov_b32_e32 v146, 0
	s_mov_b32 s24, exec_lo
	v_cmpx_ne_u32_e32 0, v161
	s_cbranch_execz .LBB6_6479
; %bb.6474:                             ;   in Loop: Header=BB6_4903 Depth=2
	v_bfe_u32 v146, v161, 23, 8
	v_and_b32_e32 v165, 0x7fffff, v161
	s_delay_alu instid0(VALU_DEP_2) | instskip(SKIP_1) | instid1(VALU_DEP_3)
	v_sub_nc_u32_e32 v179, 0x78, v146
	v_cmp_gt_u32_e32 vcc_lo, 0x79, v146
	v_or_b32_e32 v183, 0x800000, v165
	s_delay_alu instid0(VALU_DEP_3) | instskip(SKIP_2) | instid1(VALU_DEP_3)
	v_cndmask_b32_e32 v179, 0, v179, vcc_lo
	v_cmp_eq_u32_e32 vcc_lo, 0, v146
	v_add_nc_u32_e32 v146, 0xffffff89, v146
	v_cndmask_b32_e64 v179, v179, 0x77, vcc_lo
	v_cndmask_b32_e32 v165, v183, v165, vcc_lo
	s_delay_alu instid0(VALU_DEP_3) | instskip(NEXT) | instid1(VALU_DEP_3)
	v_cndmask_b32_e64 v146, v146, 0xffffff8a, vcc_lo
	v_lshl_add_u32 v183, 0x100000, v179, -1
	s_delay_alu instid0(VALU_DEP_3) | instskip(SKIP_1) | instid1(VALU_DEP_4)
	v_lshrrev_b32_e32 v45, v179, v165
	v_lshlrev_b32_e64 v63, v179, 0x80000
	v_add_nc_u32_e32 v179, v179, v146
	s_delay_alu instid0(VALU_DEP_4) | instskip(NEXT) | instid1(VALU_DEP_4)
	v_and_b32_e32 v165, v183, v165
	v_bfe_u32 v56, v45, 20, 1
	s_delay_alu instid0(VALU_DEP_2) | instskip(NEXT) | instid1(VALU_DEP_2)
	v_cmp_eq_u32_e64 s7, v165, v63
	v_add_nc_u32_e32 v183, -1, v56
	s_delay_alu instid0(VALU_DEP_1) | instskip(SKIP_2) | instid1(VALU_DEP_2)
	v_cndmask_b32_e64 v165, 0, v183, s7
	v_lshrrev_b32_e32 v183, 23, v45
	s_mov_b32 s7, exec_lo
	v_add_nc_u32_e32 v165, v165, v45
	s_delay_alu instid0(VALU_DEP_2) | instskip(NEXT) | instid1(VALU_DEP_2)
	v_xor_b32_e32 v183, 1, v183
	v_and_b32_e32 v146, 0xfffff, v165
	s_delay_alu instid0(VALU_DEP_1) | instskip(NEXT) | instid1(VALU_DEP_3)
	v_add_nc_u32_e32 v165, v146, v45
                                        ; implicit-def: $vgpr146
	v_cmpx_ne_u32_e64 v179, v183
	s_xor_b32 s7, exec_lo, s7
; %bb.6475:                             ;   in Loop: Header=BB6_4903 Depth=2
	s_delay_alu instid0(VALU_DEP_2) | instskip(SKIP_2) | instid1(VALU_DEP_2)
	v_cmp_lt_u32_e32 vcc_lo, 0xffffff, v165
	v_sub_nc_u32_e32 v146, v179, v183
	v_cndmask_b32_e64 v179, 0, 1, vcc_lo
	v_add_co_ci_u32_e32 v146, vcc_lo, 0, v146, vcc_lo
	s_delay_alu instid0(VALU_DEP_2)
	v_lshrrev_b32_e32 v165, v179, v165
; %bb.6476:                             ;   in Loop: Header=BB6_4903 Depth=2
	s_and_not1_saveexec_b32 s7, s7
; %bb.6477:                             ;   in Loop: Header=BB6_4903 Depth=2
	s_delay_alu instid0(VALU_DEP_1)
	v_bfe_u32 v146, v165, 23, 1
; %bb.6478:                             ;   in Loop: Header=BB6_4903 Depth=2
	s_or_b32 exec_lo, exec_lo, s7
	v_lshrrev_b32_e32 v165, 20, v165
	s_delay_alu instid0(VALU_DEP_2) | instskip(SKIP_2) | instid1(VALU_DEP_4)
	v_cmp_gt_i32_e32 vcc_lo, 16, v146
	v_lshrrev_b32_e32 v161, 24, v161
	v_min_i32_e32 v179, 15, v146
	v_cndmask_b32_e32 v165, 7, v165, vcc_lo
	s_delay_alu instid0(VALU_DEP_3) | instskip(NEXT) | instid1(VALU_DEP_2)
	v_and_b32_e32 v161, 0x80, v161
	v_or_b32_e32 v146, v146, v165
	v_and_b32_e32 v183, 7, v165
	s_delay_alu instid0(VALU_DEP_2) | instskip(SKIP_1) | instid1(VALU_DEP_1)
	v_cmp_ne_u32_e32 vcc_lo, 0, v146
	v_lshlrev_b32_e32 v179, 3, v179
	v_or3_b32 v161, v179, v161, v183
	s_delay_alu instid0(VALU_DEP_1)
	v_cndmask_b32_e32 v146, 0, v161, vcc_lo
.LBB6_6479:                             ;   in Loop: Header=BB6_4903 Depth=2
	s_or_b32 exec_lo, exec_lo, s24
.LBB6_6480:                             ;   in Loop: Header=BB6_4903 Depth=2
	s_delay_alu instid0(SALU_CYCLE_1) | instskip(SKIP_3) | instid1(VALU_DEP_1)
	s_or_b32 exec_lo, exec_lo, s23
	v_and_b32_e32 v165, 0xff, v144
	s_mov_b32 s7, 0
	s_mov_b32 s24, exec_lo
                                        ; implicit-def: $sgpr23
	v_cmpx_lt_i16_e64 0x7f, v165
	s_xor_b32 s24, exec_lo, s24
	s_cbranch_execnz .LBB6_7358
; %bb.6481:                             ;   in Loop: Header=BB6_4903 Depth=2
	s_or_saveexec_b32 s24, s24
	v_mov_b32_e32 v161, s23
	s_xor_b32 exec_lo, exec_lo, s24
	s_cbranch_execnz .LBB6_7361
.LBB6_6482:                             ;   in Loop: Header=BB6_4903 Depth=2
	s_or_b32 exec_lo, exec_lo, s24
	s_and_saveexec_b32 s23, s7
	s_cbranch_execz .LBB6_6484
.LBB6_6483:                             ;   in Loop: Header=BB6_4903 Depth=2
	v_and_b32_e32 v161, 7, v144
	v_bfe_u32 v183, v144, 3, 4
	s_delay_alu instid0(VALU_DEP_2) | instskip(NEXT) | instid1(VALU_DEP_2)
	v_clz_i32_u32_e32 v165, v161
	v_cmp_eq_u32_e32 vcc_lo, 0, v183
	s_delay_alu instid0(VALU_DEP_2) | instskip(NEXT) | instid1(VALU_DEP_1)
	v_min_u32_e32 v165, 32, v165
	v_subrev_nc_u32_e32 v179, 28, v165
	v_sub_nc_u32_e32 v165, 29, v165
	s_delay_alu instid0(VALU_DEP_2) | instskip(NEXT) | instid1(VALU_DEP_2)
	v_lshlrev_b32_e32 v179, v179, v144
	v_dual_cndmask_b32 v165, v183, v165 :: v_dual_lshlrev_b32 v144, 24, v144
	s_delay_alu instid0(VALU_DEP_2) | instskip(NEXT) | instid1(VALU_DEP_2)
	v_and_b32_e32 v179, 7, v179
	v_and_b32_e32 v144, 0x80000000, v144
	s_delay_alu instid0(VALU_DEP_3) | instskip(NEXT) | instid1(VALU_DEP_3)
	v_lshl_add_u32 v165, v165, 23, 0x3b800000
	v_cndmask_b32_e32 v161, v161, v179, vcc_lo
	s_delay_alu instid0(VALU_DEP_1) | instskip(NEXT) | instid1(VALU_DEP_1)
	v_lshlrev_b32_e32 v161, 20, v161
	v_or3_b32 v161, v144, v165, v161
.LBB6_6484:                             ;   in Loop: Header=BB6_4903 Depth=2
	s_or_b32 exec_lo, exec_lo, s23
	v_lshrrev_b32_e32 v144, 16, v10
	s_mov_b32 s7, 0
	s_mov_b32 s24, exec_lo
                                        ; implicit-def: $sgpr23
	s_delay_alu instid0(VALU_DEP_1) | instskip(NEXT) | instid1(VALU_DEP_1)
	v_and_b32_e32 v179, 0xff, v144
	v_cmpx_lt_i16_e64 0x7f, v179
	s_xor_b32 s24, exec_lo, s24
	s_cbranch_execnz .LBB6_7362
; %bb.6485:                             ;   in Loop: Header=BB6_4903 Depth=2
	s_or_saveexec_b32 s24, s24
	v_mov_b32_e32 v165, s23
	s_xor_b32 exec_lo, exec_lo, s24
	s_cbranch_execnz .LBB6_7365
.LBB6_6486:                             ;   in Loop: Header=BB6_4903 Depth=2
	s_or_b32 exec_lo, exec_lo, s24
	s_and_saveexec_b32 s23, s7
	s_cbranch_execz .LBB6_6488
.LBB6_6487:                             ;   in Loop: Header=BB6_4903 Depth=2
	v_bfe_u32 v165, v10, 16, 3
	s_delay_alu instid0(VALU_DEP_1) | instskip(NEXT) | instid1(VALU_DEP_1)
	v_clz_i32_u32_e32 v179, v165
	v_min_u32_e32 v179, 32, v179
	s_delay_alu instid0(VALU_DEP_1) | instskip(SKIP_1) | instid1(VALU_DEP_2)
	v_subrev_nc_u32_e32 v183, 28, v179
	v_sub_nc_u32_e32 v179, 29, v179
	v_lshlrev_b32_e32 v144, v183, v144
	v_bfe_u32 v183, v10, 19, 4
	s_delay_alu instid0(VALU_DEP_1) | instskip(NEXT) | instid1(VALU_DEP_3)
	v_cmp_eq_u32_e32 vcc_lo, 0, v183
	v_dual_cndmask_b32 v179, v183, v179 :: v_dual_and_b32 v144, 7, v144
	s_delay_alu instid0(VALU_DEP_1) | instskip(NEXT) | instid1(VALU_DEP_2)
	v_dual_cndmask_b32 v144, v165, v144 :: v_dual_lshlrev_b32 v45, 8, v10
	v_lshl_add_u32 v179, v179, 23, 0x3b800000
	s_delay_alu instid0(VALU_DEP_2) | instskip(NEXT) | instid1(VALU_DEP_3)
	v_and_b32_e32 v165, 0x80000000, v45
	v_lshlrev_b32_e32 v144, 20, v144
	s_delay_alu instid0(VALU_DEP_1)
	v_or3_b32 v165, v165, v179, v144
.LBB6_6488:                             ;   in Loop: Header=BB6_4903 Depth=2
	s_or_b32 exec_lo, exec_lo, s23
	s_delay_alu instid0(VALU_DEP_1) | instskip(NEXT) | instid1(VALU_DEP_1)
	v_add_f32_e32 v161, v161, v165
	v_and_b32_e32 v144, 0x7f800000, v161
	s_delay_alu instid0(VALU_DEP_1)
	v_cmp_ne_u32_e32 vcc_lo, 0x7f800000, v144
	v_mov_b32_e32 v144, 0x80
	s_and_saveexec_b32 s23, vcc_lo
	s_cbranch_execz .LBB6_6496
; %bb.6489:                             ;   in Loop: Header=BB6_4903 Depth=2
	v_mov_b32_e32 v144, 0
	s_mov_b32 s24, exec_lo
	v_cmpx_ne_u32_e32 0, v161
	s_cbranch_execz .LBB6_6495
; %bb.6490:                             ;   in Loop: Header=BB6_4903 Depth=2
	v_bfe_u32 v144, v161, 23, 8
	v_and_b32_e32 v165, 0x7fffff, v161
	s_delay_alu instid0(VALU_DEP_2) | instskip(SKIP_1) | instid1(VALU_DEP_3)
	v_sub_nc_u32_e32 v179, 0x78, v144
	v_cmp_gt_u32_e32 vcc_lo, 0x79, v144
	v_or_b32_e32 v183, 0x800000, v165
	s_delay_alu instid0(VALU_DEP_3) | instskip(SKIP_2) | instid1(VALU_DEP_3)
	v_cndmask_b32_e32 v179, 0, v179, vcc_lo
	v_cmp_eq_u32_e32 vcc_lo, 0, v144
	v_add_nc_u32_e32 v144, 0xffffff89, v144
	v_cndmask_b32_e64 v179, v179, 0x77, vcc_lo
	v_cndmask_b32_e32 v165, v183, v165, vcc_lo
	s_delay_alu instid0(VALU_DEP_3) | instskip(NEXT) | instid1(VALU_DEP_3)
	v_cndmask_b32_e64 v144, v144, 0xffffff8a, vcc_lo
	v_lshl_add_u32 v183, 0x100000, v179, -1
	s_delay_alu instid0(VALU_DEP_3) | instskip(SKIP_1) | instid1(VALU_DEP_4)
	v_lshrrev_b32_e32 v45, v179, v165
	v_lshlrev_b32_e64 v63, v179, 0x80000
	v_add_nc_u32_e32 v179, v179, v144
	s_delay_alu instid0(VALU_DEP_4) | instskip(NEXT) | instid1(VALU_DEP_4)
	v_and_b32_e32 v165, v183, v165
	v_bfe_u32 v56, v45, 20, 1
	s_delay_alu instid0(VALU_DEP_2) | instskip(NEXT) | instid1(VALU_DEP_2)
	v_cmp_eq_u32_e64 s7, v165, v63
	v_add_nc_u32_e32 v183, -1, v56
	s_delay_alu instid0(VALU_DEP_1) | instskip(SKIP_2) | instid1(VALU_DEP_2)
	v_cndmask_b32_e64 v165, 0, v183, s7
	v_lshrrev_b32_e32 v183, 23, v45
	s_mov_b32 s7, exec_lo
	v_add_nc_u32_e32 v165, v165, v45
	s_delay_alu instid0(VALU_DEP_2) | instskip(NEXT) | instid1(VALU_DEP_2)
	v_xor_b32_e32 v183, 1, v183
	v_and_b32_e32 v144, 0xfffff, v165
	s_delay_alu instid0(VALU_DEP_1) | instskip(NEXT) | instid1(VALU_DEP_3)
	v_add_nc_u32_e32 v165, v144, v45
                                        ; implicit-def: $vgpr144
	v_cmpx_ne_u32_e64 v179, v183
	s_xor_b32 s7, exec_lo, s7
; %bb.6491:                             ;   in Loop: Header=BB6_4903 Depth=2
	s_delay_alu instid0(VALU_DEP_2) | instskip(SKIP_2) | instid1(VALU_DEP_2)
	v_cmp_lt_u32_e32 vcc_lo, 0xffffff, v165
	v_sub_nc_u32_e32 v144, v179, v183
	v_cndmask_b32_e64 v179, 0, 1, vcc_lo
	v_add_co_ci_u32_e32 v144, vcc_lo, 0, v144, vcc_lo
	s_delay_alu instid0(VALU_DEP_2)
	v_lshrrev_b32_e32 v165, v179, v165
; %bb.6492:                             ;   in Loop: Header=BB6_4903 Depth=2
	s_and_not1_saveexec_b32 s7, s7
; %bb.6493:                             ;   in Loop: Header=BB6_4903 Depth=2
	s_delay_alu instid0(VALU_DEP_1)
	v_bfe_u32 v144, v165, 23, 1
; %bb.6494:                             ;   in Loop: Header=BB6_4903 Depth=2
	s_or_b32 exec_lo, exec_lo, s7
	v_lshrrev_b32_e32 v165, 20, v165
	s_delay_alu instid0(VALU_DEP_2) | instskip(SKIP_2) | instid1(VALU_DEP_4)
	v_cmp_gt_i32_e32 vcc_lo, 16, v144
	v_lshrrev_b32_e32 v161, 24, v161
	v_min_i32_e32 v179, 15, v144
	v_cndmask_b32_e32 v165, 7, v165, vcc_lo
	s_delay_alu instid0(VALU_DEP_3) | instskip(NEXT) | instid1(VALU_DEP_2)
	v_and_b32_e32 v161, 0x80, v161
	v_or_b32_e32 v144, v144, v165
	v_and_b32_e32 v183, 7, v165
	s_delay_alu instid0(VALU_DEP_2) | instskip(SKIP_1) | instid1(VALU_DEP_1)
	v_cmp_ne_u32_e32 vcc_lo, 0, v144
	v_lshlrev_b32_e32 v179, 3, v179
	v_or3_b32 v161, v179, v161, v183
	s_delay_alu instid0(VALU_DEP_1)
	v_cndmask_b32_e32 v144, 0, v161, vcc_lo
.LBB6_6495:                             ;   in Loop: Header=BB6_4903 Depth=2
	s_or_b32 exec_lo, exec_lo, s24
.LBB6_6496:                             ;   in Loop: Header=BB6_4903 Depth=2
	s_delay_alu instid0(SALU_CYCLE_1) | instskip(SKIP_3) | instid1(VALU_DEP_1)
	s_or_b32 exec_lo, exec_lo, s23
	v_and_b32_e32 v165, 0xff, v134
	s_mov_b32 s7, 0
	s_mov_b32 s24, exec_lo
                                        ; implicit-def: $sgpr23
	v_cmpx_lt_i16_e64 0x7f, v165
	s_xor_b32 s24, exec_lo, s24
	s_cbranch_execnz .LBB6_7366
; %bb.6497:                             ;   in Loop: Header=BB6_4903 Depth=2
	s_or_saveexec_b32 s24, s24
	v_mov_b32_e32 v161, s23
	s_xor_b32 exec_lo, exec_lo, s24
	s_cbranch_execnz .LBB6_7369
.LBB6_6498:                             ;   in Loop: Header=BB6_4903 Depth=2
	s_or_b32 exec_lo, exec_lo, s24
	s_and_saveexec_b32 s23, s7
	s_cbranch_execz .LBB6_6500
.LBB6_6499:                             ;   in Loop: Header=BB6_4903 Depth=2
	v_lshlrev_b32_e32 v134, 8, v134
	s_delay_alu instid0(VALU_DEP_1) | instskip(SKIP_1) | instid1(VALU_DEP_2)
	v_and_b32_e32 v161, 0xff00, v134
	v_bfe_u32 v134, v134, 11, 4
	v_bfe_u32 v179, v161, 8, 3
	s_delay_alu instid0(VALU_DEP_2) | instskip(NEXT) | instid1(VALU_DEP_2)
	v_cmp_eq_u32_e32 vcc_lo, 0, v134
	v_clz_i32_u32_e32 v183, v179
	s_delay_alu instid0(VALU_DEP_1) | instskip(NEXT) | instid1(VALU_DEP_1)
	v_min_u32_e32 v183, 32, v183
	v_subrev_nc_u32_e32 v45, 28, v183
	v_sub_nc_u32_e32 v183, 29, v183
	s_delay_alu instid0(VALU_DEP_1) | instskip(SKIP_1) | instid1(VALU_DEP_2)
	v_dual_cndmask_b32 v134, v134, v183 :: v_dual_lshlrev_b32 v165, v45, v165
	v_lshlrev_b32_e32 v161, 16, v161
	v_and_b32_e32 v165, 7, v165
	s_delay_alu instid0(VALU_DEP_3) | instskip(NEXT) | instid1(VALU_DEP_3)
	v_lshl_add_u32 v134, v134, 23, 0x3b800000
	v_and_b32_e32 v161, 0x80000000, v161
	s_delay_alu instid0(VALU_DEP_3) | instskip(NEXT) | instid1(VALU_DEP_1)
	v_cndmask_b32_e32 v165, v179, v165, vcc_lo
	v_lshlrev_b32_e32 v165, 20, v165
	s_delay_alu instid0(VALU_DEP_1)
	v_or3_b32 v161, v161, v134, v165
.LBB6_6500:                             ;   in Loop: Header=BB6_4903 Depth=2
	s_or_b32 exec_lo, exec_lo, s23
	v_lshrrev_b32_e32 v134, 24, v10
	s_mov_b32 s7, 0
	s_mov_b32 s24, exec_lo
                                        ; implicit-def: $sgpr23
	s_delay_alu instid0(VALU_DEP_1)
	v_cmpx_lt_i16_e64 0x7f, v134
	s_xor_b32 s24, exec_lo, s24
	s_cbranch_execnz .LBB6_7370
; %bb.6501:                             ;   in Loop: Header=BB6_4903 Depth=2
	s_or_saveexec_b32 s24, s24
	v_mov_b32_e32 v165, s23
	s_xor_b32 exec_lo, exec_lo, s24
	s_cbranch_execnz .LBB6_7373
.LBB6_6502:                             ;   in Loop: Header=BB6_4903 Depth=2
	s_or_b32 exec_lo, exec_lo, s24
	s_and_saveexec_b32 s23, s7
	s_cbranch_execz .LBB6_6504
.LBB6_6503:                             ;   in Loop: Header=BB6_4903 Depth=2
	v_bfe_u32 v165, v10, 24, 3
	s_delay_alu instid0(VALU_DEP_1) | instskip(NEXT) | instid1(VALU_DEP_1)
	v_clz_i32_u32_e32 v179, v165
	v_min_u32_e32 v179, 32, v179
	s_delay_alu instid0(VALU_DEP_1) | instskip(SKIP_1) | instid1(VALU_DEP_2)
	v_subrev_nc_u32_e32 v183, 28, v179
	v_sub_nc_u32_e32 v179, 29, v179
	v_lshlrev_b32_e32 v134, v183, v134
	v_bfe_u32 v183, v10, 27, 4
	v_and_b32_e32 v10, 0x80000000, v10
	s_delay_alu instid0(VALU_DEP_2) | instskip(NEXT) | instid1(VALU_DEP_4)
	v_cmp_eq_u32_e32 vcc_lo, 0, v183
	v_dual_cndmask_b32 v179, v183, v179 :: v_dual_and_b32 v134, 7, v134
	s_delay_alu instid0(VALU_DEP_1) | instskip(NEXT) | instid1(VALU_DEP_2)
	v_cndmask_b32_e32 v134, v165, v134, vcc_lo
	v_lshl_add_u32 v165, v179, 23, 0x3b800000
	s_delay_alu instid0(VALU_DEP_2) | instskip(NEXT) | instid1(VALU_DEP_1)
	v_lshlrev_b32_e32 v134, 20, v134
	v_or3_b32 v165, v10, v165, v134
.LBB6_6504:                             ;   in Loop: Header=BB6_4903 Depth=2
	s_or_b32 exec_lo, exec_lo, s23
	s_delay_alu instid0(VALU_DEP_1) | instskip(NEXT) | instid1(VALU_DEP_1)
	v_add_f32_e32 v134, v161, v165
	v_and_b32_e32 v10, 0x7f800000, v134
	s_delay_alu instid0(VALU_DEP_1)
	v_cmp_ne_u32_e32 vcc_lo, 0x7f800000, v10
	v_mov_b32_e32 v10, 0x80
	s_and_saveexec_b32 s23, vcc_lo
	s_cbranch_execz .LBB6_6512
; %bb.6505:                             ;   in Loop: Header=BB6_4903 Depth=2
	v_mov_b32_e32 v10, 0
	s_mov_b32 s24, exec_lo
	v_cmpx_ne_u32_e32 0, v134
	s_cbranch_execz .LBB6_6511
; %bb.6506:                             ;   in Loop: Header=BB6_4903 Depth=2
	v_bfe_u32 v10, v134, 23, 8
	v_and_b32_e32 v161, 0x7fffff, v134
	s_delay_alu instid0(VALU_DEP_2) | instskip(SKIP_1) | instid1(VALU_DEP_3)
	v_sub_nc_u32_e32 v165, 0x78, v10
	v_cmp_gt_u32_e32 vcc_lo, 0x79, v10
	v_or_b32_e32 v179, 0x800000, v161
	s_delay_alu instid0(VALU_DEP_3) | instskip(SKIP_2) | instid1(VALU_DEP_3)
	v_cndmask_b32_e32 v165, 0, v165, vcc_lo
	v_cmp_eq_u32_e32 vcc_lo, 0, v10
	v_add_nc_u32_e32 v10, 0xffffff89, v10
	v_cndmask_b32_e64 v165, v165, 0x77, vcc_lo
	v_cndmask_b32_e32 v161, v179, v161, vcc_lo
	s_delay_alu instid0(VALU_DEP_3) | instskip(NEXT) | instid1(VALU_DEP_3)
	v_cndmask_b32_e64 v10, v10, 0xffffff8a, vcc_lo
	v_lshl_add_u32 v179, 0x100000, v165, -1
	s_delay_alu instid0(VALU_DEP_3) | instskip(SKIP_1) | instid1(VALU_DEP_4)
	v_lshrrev_b32_e32 v183, v165, v161
	v_lshlrev_b32_e64 v56, v165, 0x80000
	v_add_nc_u32_e32 v165, v165, v10
	s_delay_alu instid0(VALU_DEP_4) | instskip(NEXT) | instid1(VALU_DEP_4)
	v_and_b32_e32 v161, v179, v161
	v_bfe_u32 v45, v183, 20, 1
	s_delay_alu instid0(VALU_DEP_2) | instskip(NEXT) | instid1(VALU_DEP_2)
	v_cmp_eq_u32_e64 s7, v161, v56
	v_add_nc_u32_e32 v179, -1, v45
	s_delay_alu instid0(VALU_DEP_1) | instskip(SKIP_2) | instid1(VALU_DEP_2)
	v_cndmask_b32_e64 v161, 0, v179, s7
	v_lshrrev_b32_e32 v179, 23, v183
	s_mov_b32 s7, exec_lo
	v_add_nc_u32_e32 v161, v161, v183
	s_delay_alu instid0(VALU_DEP_2) | instskip(NEXT) | instid1(VALU_DEP_2)
	v_xor_b32_e32 v179, 1, v179
	v_and_b32_e32 v10, 0xfffff, v161
	s_delay_alu instid0(VALU_DEP_1) | instskip(NEXT) | instid1(VALU_DEP_3)
	v_add_nc_u32_e32 v161, v10, v183
                                        ; implicit-def: $vgpr10
	v_cmpx_ne_u32_e64 v165, v179
	s_xor_b32 s7, exec_lo, s7
; %bb.6507:                             ;   in Loop: Header=BB6_4903 Depth=2
	s_delay_alu instid0(VALU_DEP_2) | instskip(SKIP_2) | instid1(VALU_DEP_2)
	v_cmp_lt_u32_e32 vcc_lo, 0xffffff, v161
	v_sub_nc_u32_e32 v10, v165, v179
	v_cndmask_b32_e64 v165, 0, 1, vcc_lo
	v_add_co_ci_u32_e32 v10, vcc_lo, 0, v10, vcc_lo
	s_delay_alu instid0(VALU_DEP_2)
	v_lshrrev_b32_e32 v161, v165, v161
; %bb.6508:                             ;   in Loop: Header=BB6_4903 Depth=2
	s_and_not1_saveexec_b32 s7, s7
; %bb.6509:                             ;   in Loop: Header=BB6_4903 Depth=2
	s_delay_alu instid0(VALU_DEP_1)
	v_bfe_u32 v10, v161, 23, 1
; %bb.6510:                             ;   in Loop: Header=BB6_4903 Depth=2
	s_or_b32 exec_lo, exec_lo, s7
	v_lshrrev_b32_e32 v161, 20, v161
	s_delay_alu instid0(VALU_DEP_2) | instskip(SKIP_2) | instid1(VALU_DEP_2)
	v_cmp_gt_i32_e32 vcc_lo, 16, v10
	v_lshrrev_b32_e32 v134, 24, v134
	v_min_i32_e32 v165, 15, v10
	v_dual_cndmask_b32 v161, 7, v161 :: v_dual_and_b32 v134, 0x80, v134
	s_delay_alu instid0(VALU_DEP_2) | instskip(NEXT) | instid1(VALU_DEP_2)
	v_lshlrev_b32_e32 v165, 3, v165
	v_or_b32_e32 v10, v10, v161
	s_delay_alu instid0(VALU_DEP_1) | instskip(SKIP_1) | instid1(VALU_DEP_1)
	v_cmp_ne_u32_e32 vcc_lo, 0, v10
	v_and_b32_e32 v179, 7, v161
	v_or3_b32 v134, v165, v134, v179
	s_delay_alu instid0(VALU_DEP_1)
	v_cndmask_b32_e32 v10, 0, v134, vcc_lo
.LBB6_6511:                             ;   in Loop: Header=BB6_4903 Depth=2
	s_or_b32 exec_lo, exec_lo, s24
.LBB6_6512:                             ;   in Loop: Header=BB6_4903 Depth=2
	s_delay_alu instid0(SALU_CYCLE_1) | instskip(SKIP_3) | instid1(VALU_DEP_1)
	s_or_b32 exec_lo, exec_lo, s23
	v_or_b32_e32 v147, v147, v133
	s_mov_b32 s7, 0
	s_mov_b32 s24, exec_lo
                                        ; implicit-def: $sgpr23
	v_and_b32_e32 v134, 0xff, v147
	s_delay_alu instid0(VALU_DEP_1)
	v_cmpx_lt_i16_e64 0x7f, v134
	s_xor_b32 s24, exec_lo, s24
	s_cbranch_execnz .LBB6_7374
; %bb.6513:                             ;   in Loop: Header=BB6_4903 Depth=2
	s_or_saveexec_b32 s24, s24
	v_mov_b32_e32 v133, s23
	s_xor_b32 exec_lo, exec_lo, s24
	s_cbranch_execnz .LBB6_7377
.LBB6_6514:                             ;   in Loop: Header=BB6_4903 Depth=2
	s_or_b32 exec_lo, exec_lo, s24
	s_and_saveexec_b32 s23, s7
	s_cbranch_execz .LBB6_6516
.LBB6_6515:                             ;   in Loop: Header=BB6_4903 Depth=2
	v_bfe_u32 v165, v147, 3, 4
	v_lshlrev_b32_e32 v179, 24, v147
	s_delay_alu instid0(VALU_DEP_2) | instskip(SKIP_1) | instid1(VALU_DEP_1)
	v_cmp_eq_u32_e32 vcc_lo, 0, v165
	v_and_b32_e32 v133, 7, v147
	v_clz_i32_u32_e32 v134, v133
	s_delay_alu instid0(VALU_DEP_1) | instskip(NEXT) | instid1(VALU_DEP_1)
	v_min_u32_e32 v134, 32, v134
	v_subrev_nc_u32_e32 v161, 28, v134
	v_sub_nc_u32_e32 v134, 29, v134
	s_delay_alu instid0(VALU_DEP_2) | instskip(NEXT) | instid1(VALU_DEP_1)
	v_lshlrev_b32_e32 v161, v161, v147
	v_dual_cndmask_b32 v134, v165, v134 :: v_dual_and_b32 v161, 7, v161
	s_delay_alu instid0(VALU_DEP_1) | instskip(NEXT) | instid1(VALU_DEP_2)
	v_lshl_add_u32 v134, v134, 23, 0x3b800000
	v_cndmask_b32_e32 v133, v133, v161, vcc_lo
	v_and_b32_e32 v161, 0x80000000, v179
	s_delay_alu instid0(VALU_DEP_2) | instskip(NEXT) | instid1(VALU_DEP_1)
	v_lshlrev_b32_e32 v133, 20, v133
	v_or3_b32 v133, v161, v134, v133
.LBB6_6516:                             ;   in Loop: Header=BB6_4903 Depth=2
	s_or_b32 exec_lo, exec_lo, s23
	v_and_b32_e32 v161, 0xff, v11
	s_mov_b32 s7, 0
	s_mov_b32 s24, exec_lo
                                        ; implicit-def: $sgpr23
	s_delay_alu instid0(VALU_DEP_1)
	v_cmpx_lt_i16_e64 0x7f, v161
	s_xor_b32 s24, exec_lo, s24
	s_cbranch_execnz .LBB6_7378
; %bb.6517:                             ;   in Loop: Header=BB6_4903 Depth=2
	s_or_saveexec_b32 s24, s24
	v_mov_b32_e32 v134, s23
	s_xor_b32 exec_lo, exec_lo, s24
	s_cbranch_execnz .LBB6_7381
.LBB6_6518:                             ;   in Loop: Header=BB6_4903 Depth=2
	s_or_b32 exec_lo, exec_lo, s24
	s_and_saveexec_b32 s23, s7
	s_cbranch_execz .LBB6_6520
.LBB6_6519:                             ;   in Loop: Header=BB6_4903 Depth=2
	v_bfe_u32 v179, v11, 3, 4
	s_delay_alu instid0(VALU_DEP_1) | instskip(SKIP_1) | instid1(VALU_DEP_1)
	v_cmp_eq_u32_e32 vcc_lo, 0, v179
	v_and_b32_e32 v134, 7, v11
	v_clz_i32_u32_e32 v161, v134
	s_delay_alu instid0(VALU_DEP_1) | instskip(NEXT) | instid1(VALU_DEP_1)
	v_min_u32_e32 v161, 32, v161
	v_subrev_nc_u32_e32 v165, 28, v161
	v_sub_nc_u32_e32 v161, 29, v161
	s_delay_alu instid0(VALU_DEP_2) | instskip(NEXT) | instid1(VALU_DEP_2)
	v_lshlrev_b32_e32 v165, v165, v11
	v_cndmask_b32_e32 v161, v179, v161, vcc_lo
	s_delay_alu instid0(VALU_DEP_2) | instskip(SKIP_1) | instid1(VALU_DEP_3)
	v_and_b32_e32 v165, 7, v165
	v_lshlrev_b32_e32 v183, 24, v11
	v_lshl_add_u32 v161, v161, 23, 0x3b800000
	s_delay_alu instid0(VALU_DEP_2) | instskip(NEXT) | instid1(VALU_DEP_1)
	v_dual_cndmask_b32 v134, v134, v165 :: v_dual_and_b32 v165, 0x80000000, v183
	v_lshlrev_b32_e32 v134, 20, v134
	s_delay_alu instid0(VALU_DEP_1)
	v_or3_b32 v134, v165, v161, v134
.LBB6_6520:                             ;   in Loop: Header=BB6_4903 Depth=2
	s_or_b32 exec_lo, exec_lo, s23
	s_delay_alu instid0(VALU_DEP_1) | instskip(NEXT) | instid1(VALU_DEP_1)
	v_add_f32_e32 v134, v133, v134
	v_and_b32_e32 v133, 0x7f800000, v134
	s_delay_alu instid0(VALU_DEP_1)
	v_cmp_ne_u32_e32 vcc_lo, 0x7f800000, v133
	v_mov_b32_e32 v133, 0x80
	s_and_saveexec_b32 s23, vcc_lo
	s_cbranch_execz .LBB6_6528
; %bb.6521:                             ;   in Loop: Header=BB6_4903 Depth=2
	v_mov_b32_e32 v133, 0
	s_mov_b32 s24, exec_lo
	v_cmpx_ne_u32_e32 0, v134
	s_cbranch_execz .LBB6_6527
; %bb.6522:                             ;   in Loop: Header=BB6_4903 Depth=2
	v_bfe_u32 v133, v134, 23, 8
	v_and_b32_e32 v161, 0x7fffff, v134
	s_delay_alu instid0(VALU_DEP_2) | instskip(SKIP_1) | instid1(VALU_DEP_3)
	v_sub_nc_u32_e32 v165, 0x78, v133
	v_cmp_gt_u32_e32 vcc_lo, 0x79, v133
	v_or_b32_e32 v179, 0x800000, v161
	s_delay_alu instid0(VALU_DEP_3) | instskip(SKIP_2) | instid1(VALU_DEP_3)
	v_cndmask_b32_e32 v165, 0, v165, vcc_lo
	v_cmp_eq_u32_e32 vcc_lo, 0, v133
	v_add_nc_u32_e32 v133, 0xffffff89, v133
	v_cndmask_b32_e64 v165, v165, 0x77, vcc_lo
	v_cndmask_b32_e32 v161, v179, v161, vcc_lo
	s_delay_alu instid0(VALU_DEP_3) | instskip(NEXT) | instid1(VALU_DEP_3)
	v_cndmask_b32_e64 v133, v133, 0xffffff8a, vcc_lo
	v_lshl_add_u32 v179, 0x100000, v165, -1
	s_delay_alu instid0(VALU_DEP_3) | instskip(SKIP_1) | instid1(VALU_DEP_4)
	v_lshrrev_b32_e32 v183, v165, v161
	v_lshlrev_b32_e64 v56, v165, 0x80000
	v_add_nc_u32_e32 v165, v165, v133
	s_delay_alu instid0(VALU_DEP_4) | instskip(NEXT) | instid1(VALU_DEP_4)
	v_and_b32_e32 v161, v179, v161
	v_bfe_u32 v45, v183, 20, 1
	s_delay_alu instid0(VALU_DEP_2) | instskip(NEXT) | instid1(VALU_DEP_2)
	v_cmp_eq_u32_e64 s7, v161, v56
	v_add_nc_u32_e32 v179, -1, v45
	s_delay_alu instid0(VALU_DEP_1) | instskip(SKIP_2) | instid1(VALU_DEP_2)
	v_cndmask_b32_e64 v161, 0, v179, s7
	v_lshrrev_b32_e32 v179, 23, v183
	s_mov_b32 s7, exec_lo
	v_add_nc_u32_e32 v161, v161, v183
	s_delay_alu instid0(VALU_DEP_2) | instskip(NEXT) | instid1(VALU_DEP_2)
	v_xor_b32_e32 v179, 1, v179
	v_and_b32_e32 v133, 0xfffff, v161
	s_delay_alu instid0(VALU_DEP_1) | instskip(NEXT) | instid1(VALU_DEP_3)
	v_add_nc_u32_e32 v161, v133, v183
                                        ; implicit-def: $vgpr133
	v_cmpx_ne_u32_e64 v165, v179
	s_xor_b32 s7, exec_lo, s7
; %bb.6523:                             ;   in Loop: Header=BB6_4903 Depth=2
	s_delay_alu instid0(VALU_DEP_2) | instskip(SKIP_2) | instid1(VALU_DEP_2)
	v_cmp_lt_u32_e32 vcc_lo, 0xffffff, v161
	v_sub_nc_u32_e32 v133, v165, v179
	v_cndmask_b32_e64 v165, 0, 1, vcc_lo
	v_add_co_ci_u32_e32 v133, vcc_lo, 0, v133, vcc_lo
	s_delay_alu instid0(VALU_DEP_2)
	v_lshrrev_b32_e32 v161, v165, v161
; %bb.6524:                             ;   in Loop: Header=BB6_4903 Depth=2
	s_and_not1_saveexec_b32 s7, s7
; %bb.6525:                             ;   in Loop: Header=BB6_4903 Depth=2
	s_delay_alu instid0(VALU_DEP_1)
	v_bfe_u32 v133, v161, 23, 1
; %bb.6526:                             ;   in Loop: Header=BB6_4903 Depth=2
	s_or_b32 exec_lo, exec_lo, s7
	v_lshrrev_b32_e32 v161, 20, v161
	s_delay_alu instid0(VALU_DEP_2) | instskip(SKIP_2) | instid1(VALU_DEP_2)
	v_cmp_gt_i32_e32 vcc_lo, 16, v133
	v_lshrrev_b32_e32 v134, 24, v134
	v_min_i32_e32 v165, 15, v133
	v_dual_cndmask_b32 v161, 7, v161 :: v_dual_and_b32 v134, 0x80, v134
	s_delay_alu instid0(VALU_DEP_2) | instskip(NEXT) | instid1(VALU_DEP_2)
	v_lshlrev_b32_e32 v165, 3, v165
	v_and_b32_e32 v179, 7, v161
	v_or_b32_e32 v133, v133, v161
	s_delay_alu instid0(VALU_DEP_2) | instskip(NEXT) | instid1(VALU_DEP_2)
	v_or3_b32 v134, v165, v134, v179
	v_cmp_ne_u32_e32 vcc_lo, 0, v133
	s_delay_alu instid0(VALU_DEP_2)
	v_cndmask_b32_e32 v133, 0, v134, vcc_lo
.LBB6_6527:                             ;   in Loop: Header=BB6_4903 Depth=2
	s_or_b32 exec_lo, exec_lo, s24
.LBB6_6528:                             ;   in Loop: Header=BB6_4903 Depth=2
	s_delay_alu instid0(SALU_CYCLE_1) | instskip(SKIP_3) | instid1(VALU_DEP_1)
	s_or_b32 exec_lo, exec_lo, s23
	v_lshrrev_b16 v161, 8, v147
	s_mov_b32 s7, 0
	s_mov_b32 s24, exec_lo
                                        ; implicit-def: $sgpr23
	v_cmpx_lt_i16_e64 0x7f, v161
	s_xor_b32 s24, exec_lo, s24
	s_cbranch_execnz .LBB6_7382
; %bb.6529:                             ;   in Loop: Header=BB6_4903 Depth=2
	s_or_saveexec_b32 s24, s24
	v_mov_b32_e32 v134, s23
	s_xor_b32 exec_lo, exec_lo, s24
	s_cbranch_execnz .LBB6_7385
.LBB6_6530:                             ;   in Loop: Header=BB6_4903 Depth=2
	s_or_b32 exec_lo, exec_lo, s24
	s_and_saveexec_b32 s23, s7
	s_cbranch_execz .LBB6_6532
.LBB6_6531:                             ;   in Loop: Header=BB6_4903 Depth=2
	v_and_b32_e32 v134, 0xffff, v161
	v_lshlrev_b32_e32 v161, 24, v161
	s_delay_alu instid0(VALU_DEP_2) | instskip(NEXT) | instid1(VALU_DEP_2)
	v_and_b32_e32 v165, 7, v134
	v_and_b32_e32 v161, 0x80000000, v161
	s_delay_alu instid0(VALU_DEP_2) | instskip(NEXT) | instid1(VALU_DEP_1)
	v_clz_i32_u32_e32 v179, v165
	v_min_u32_e32 v179, 32, v179
	s_delay_alu instid0(VALU_DEP_1) | instskip(SKIP_1) | instid1(VALU_DEP_2)
	v_subrev_nc_u32_e32 v183, 28, v179
	v_sub_nc_u32_e32 v179, 29, v179
	v_lshlrev_b32_e32 v183, v183, v134
	v_bfe_u32 v134, v134, 3, 4
	s_delay_alu instid0(VALU_DEP_2) | instskip(NEXT) | instid1(VALU_DEP_2)
	v_and_b32_e32 v183, 7, v183
	v_cmp_eq_u32_e32 vcc_lo, 0, v134
	v_cndmask_b32_e32 v134, v134, v179, vcc_lo
	s_delay_alu instid0(VALU_DEP_3) | instskip(NEXT) | instid1(VALU_DEP_2)
	v_cndmask_b32_e32 v165, v165, v183, vcc_lo
	v_lshl_add_u32 v134, v134, 23, 0x3b800000
	s_delay_alu instid0(VALU_DEP_2) | instskip(NEXT) | instid1(VALU_DEP_1)
	v_lshlrev_b32_e32 v165, 20, v165
	v_or3_b32 v134, v161, v134, v165
.LBB6_6532:                             ;   in Loop: Header=BB6_4903 Depth=2
	s_or_b32 exec_lo, exec_lo, s23
	v_lshrrev_b16 v161, 8, v11
	s_mov_b32 s7, 0
	s_mov_b32 s24, exec_lo
                                        ; implicit-def: $sgpr23
	s_delay_alu instid0(VALU_DEP_1)
	v_cmpx_lt_i16_e64 0x7f, v161
	s_xor_b32 s24, exec_lo, s24
	s_cbranch_execnz .LBB6_7386
; %bb.6533:                             ;   in Loop: Header=BB6_4903 Depth=2
	s_or_saveexec_b32 s24, s24
	v_mov_b32_e32 v165, s23
	s_xor_b32 exec_lo, exec_lo, s24
	s_cbranch_execnz .LBB6_7389
.LBB6_6534:                             ;   in Loop: Header=BB6_4903 Depth=2
	s_or_b32 exec_lo, exec_lo, s24
	s_and_saveexec_b32 s23, s7
	s_cbranch_execz .LBB6_6536
.LBB6_6535:                             ;   in Loop: Header=BB6_4903 Depth=2
	v_and_b32_e32 v165, 0xffff, v161
	v_lshlrev_b32_e32 v161, 24, v161
	s_delay_alu instid0(VALU_DEP_2) | instskip(NEXT) | instid1(VALU_DEP_2)
	v_and_b32_e32 v179, 7, v165
	v_and_b32_e32 v161, 0x80000000, v161
	s_delay_alu instid0(VALU_DEP_2) | instskip(NEXT) | instid1(VALU_DEP_1)
	v_clz_i32_u32_e32 v183, v179
	v_min_u32_e32 v183, 32, v183
	s_delay_alu instid0(VALU_DEP_1) | instskip(SKIP_1) | instid1(VALU_DEP_2)
	v_subrev_nc_u32_e32 v45, 28, v183
	v_sub_nc_u32_e32 v183, 29, v183
	v_lshlrev_b32_e32 v45, v45, v165
	v_bfe_u32 v165, v165, 3, 4
	s_delay_alu instid0(VALU_DEP_2) | instskip(NEXT) | instid1(VALU_DEP_2)
	v_and_b32_e32 v45, 7, v45
	v_cmp_eq_u32_e32 vcc_lo, 0, v165
	v_cndmask_b32_e32 v165, v165, v183, vcc_lo
	s_delay_alu instid0(VALU_DEP_3) | instskip(NEXT) | instid1(VALU_DEP_2)
	v_cndmask_b32_e32 v179, v179, v45, vcc_lo
	v_lshl_add_u32 v165, v165, 23, 0x3b800000
	s_delay_alu instid0(VALU_DEP_2) | instskip(NEXT) | instid1(VALU_DEP_1)
	v_lshlrev_b32_e32 v179, 20, v179
	v_or3_b32 v165, v161, v165, v179
.LBB6_6536:                             ;   in Loop: Header=BB6_4903 Depth=2
	s_or_b32 exec_lo, exec_lo, s23
	s_delay_alu instid0(VALU_DEP_1) | instskip(NEXT) | instid1(VALU_DEP_1)
	v_add_f32_e32 v161, v134, v165
	v_and_b32_e32 v134, 0x7f800000, v161
	s_delay_alu instid0(VALU_DEP_1)
	v_cmp_ne_u32_e32 vcc_lo, 0x7f800000, v134
	v_mov_b32_e32 v134, 0x8000
	s_and_saveexec_b32 s23, vcc_lo
	s_cbranch_execz .LBB6_6544
; %bb.6537:                             ;   in Loop: Header=BB6_4903 Depth=2
	v_mov_b32_e32 v134, 0
	s_mov_b32 s24, exec_lo
	v_cmpx_ne_u32_e32 0, v161
	s_cbranch_execz .LBB6_6543
; %bb.6538:                             ;   in Loop: Header=BB6_4903 Depth=2
	v_bfe_u32 v134, v161, 23, 8
	v_and_b32_e32 v165, 0x7fffff, v161
	s_delay_alu instid0(VALU_DEP_2) | instskip(SKIP_1) | instid1(VALU_DEP_3)
	v_sub_nc_u32_e32 v179, 0x78, v134
	v_cmp_gt_u32_e32 vcc_lo, 0x79, v134
	v_or_b32_e32 v183, 0x800000, v165
	s_delay_alu instid0(VALU_DEP_3) | instskip(SKIP_2) | instid1(VALU_DEP_3)
	v_cndmask_b32_e32 v179, 0, v179, vcc_lo
	v_cmp_eq_u32_e32 vcc_lo, 0, v134
	v_add_nc_u32_e32 v134, 0xffffff89, v134
	v_cndmask_b32_e64 v179, v179, 0x77, vcc_lo
	v_cndmask_b32_e32 v165, v183, v165, vcc_lo
	s_delay_alu instid0(VALU_DEP_3) | instskip(NEXT) | instid1(VALU_DEP_3)
	v_cndmask_b32_e64 v134, v134, 0xffffff8a, vcc_lo
	v_lshl_add_u32 v183, 0x100000, v179, -1
	s_delay_alu instid0(VALU_DEP_3) | instskip(SKIP_1) | instid1(VALU_DEP_4)
	v_lshrrev_b32_e32 v45, v179, v165
	v_lshlrev_b32_e64 v63, v179, 0x80000
	v_add_nc_u32_e32 v179, v179, v134
	s_delay_alu instid0(VALU_DEP_4) | instskip(NEXT) | instid1(VALU_DEP_4)
	v_and_b32_e32 v165, v183, v165
	v_bfe_u32 v56, v45, 20, 1
	s_delay_alu instid0(VALU_DEP_2) | instskip(NEXT) | instid1(VALU_DEP_2)
	v_cmp_eq_u32_e64 s7, v165, v63
	v_add_nc_u32_e32 v183, -1, v56
	s_delay_alu instid0(VALU_DEP_1) | instskip(SKIP_2) | instid1(VALU_DEP_2)
	v_cndmask_b32_e64 v165, 0, v183, s7
	v_lshrrev_b32_e32 v183, 23, v45
	s_mov_b32 s7, exec_lo
	v_add_nc_u32_e32 v165, v165, v45
	s_delay_alu instid0(VALU_DEP_2) | instskip(NEXT) | instid1(VALU_DEP_2)
	v_xor_b32_e32 v183, 1, v183
	v_and_b32_e32 v134, 0xfffff, v165
	s_delay_alu instid0(VALU_DEP_1) | instskip(NEXT) | instid1(VALU_DEP_3)
	v_add_nc_u32_e32 v165, v134, v45
                                        ; implicit-def: $vgpr134
	v_cmpx_ne_u32_e64 v179, v183
	s_xor_b32 s7, exec_lo, s7
; %bb.6539:                             ;   in Loop: Header=BB6_4903 Depth=2
	s_delay_alu instid0(VALU_DEP_2) | instskip(SKIP_2) | instid1(VALU_DEP_2)
	v_cmp_lt_u32_e32 vcc_lo, 0xffffff, v165
	v_sub_nc_u32_e32 v134, v179, v183
	v_cndmask_b32_e64 v179, 0, 1, vcc_lo
	v_add_co_ci_u32_e32 v134, vcc_lo, 0, v134, vcc_lo
	s_delay_alu instid0(VALU_DEP_2)
	v_lshrrev_b32_e32 v165, v179, v165
; %bb.6540:                             ;   in Loop: Header=BB6_4903 Depth=2
	s_and_not1_saveexec_b32 s7, s7
; %bb.6541:                             ;   in Loop: Header=BB6_4903 Depth=2
	s_delay_alu instid0(VALU_DEP_1)
	v_bfe_u32 v134, v165, 23, 1
; %bb.6542:                             ;   in Loop: Header=BB6_4903 Depth=2
	s_or_b32 exec_lo, exec_lo, s7
	v_lshrrev_b32_e32 v165, 20, v165
	s_delay_alu instid0(VALU_DEP_2) | instskip(SKIP_2) | instid1(VALU_DEP_4)
	v_cmp_gt_i32_e32 vcc_lo, 16, v134
	v_min_i32_e32 v179, 15, v134
	v_lshrrev_b32_e32 v161, 24, v161
	v_cndmask_b32_e32 v165, 7, v165, vcc_lo
	s_delay_alu instid0(VALU_DEP_2) | instskip(NEXT) | instid1(VALU_DEP_2)
	v_and_b32_e32 v161, 0x80, v161
	v_or_b32_e32 v134, v134, v165
	v_and_b32_e32 v183, 7, v165
	s_delay_alu instid0(VALU_DEP_2) | instskip(SKIP_1) | instid1(VALU_DEP_1)
	v_cmp_ne_u32_e32 vcc_lo, 0, v134
	v_lshlrev_b32_e32 v179, 3, v179
	v_and_b32_e32 v179, 0xf8, v179
	s_delay_alu instid0(VALU_DEP_1) | instskip(NEXT) | instid1(VALU_DEP_1)
	v_or3_b32 v161, v161, v179, v183
	v_lshlrev_b32_e32 v161, 8, v161
	s_delay_alu instid0(VALU_DEP_1)
	v_cndmask_b32_e32 v134, 0, v161, vcc_lo
.LBB6_6543:                             ;   in Loop: Header=BB6_4903 Depth=2
	s_or_b32 exec_lo, exec_lo, s24
.LBB6_6544:                             ;   in Loop: Header=BB6_4903 Depth=2
	s_delay_alu instid0(SALU_CYCLE_1) | instskip(SKIP_3) | instid1(VALU_DEP_1)
	s_or_b32 exec_lo, exec_lo, s23
	v_or_b32_e32 v135, v135, v132
	s_mov_b32 s7, 0
	s_mov_b32 s24, exec_lo
                                        ; implicit-def: $sgpr23
	v_and_b32_e32 v161, 0xff, v135
	s_delay_alu instid0(VALU_DEP_1)
	v_cmpx_lt_i16_e64 0x7f, v161
	s_xor_b32 s24, exec_lo, s24
	s_cbranch_execnz .LBB6_7390
; %bb.6545:                             ;   in Loop: Header=BB6_4903 Depth=2
	s_or_saveexec_b32 s24, s24
	v_mov_b32_e32 v132, s23
	s_xor_b32 exec_lo, exec_lo, s24
	s_cbranch_execnz .LBB6_7393
.LBB6_6546:                             ;   in Loop: Header=BB6_4903 Depth=2
	s_or_b32 exec_lo, exec_lo, s24
	v_lshl_or_b32 v135, v135, 16, v147
	s_and_saveexec_b32 s23, s7
	s_cbranch_execz .LBB6_6548
.LBB6_6547:                             ;   in Loop: Header=BB6_4903 Depth=2
	s_delay_alu instid0(VALU_DEP_1) | instskip(SKIP_1) | instid1(VALU_DEP_2)
	v_bfe_u32 v132, v135, 16, 3
	v_lshrrev_b32_e32 v161, 16, v135
	v_clz_i32_u32_e32 v147, v132
	s_delay_alu instid0(VALU_DEP_1) | instskip(NEXT) | instid1(VALU_DEP_1)
	v_min_u32_e32 v147, 32, v147
	v_subrev_nc_u32_e32 v165, 28, v147
	v_sub_nc_u32_e32 v147, 29, v147
	s_delay_alu instid0(VALU_DEP_2) | instskip(SKIP_1) | instid1(VALU_DEP_2)
	v_lshlrev_b32_e32 v161, v165, v161
	v_bfe_u32 v165, v135, 19, 4
	v_and_b32_e32 v161, 7, v161
	s_delay_alu instid0(VALU_DEP_2) | instskip(NEXT) | instid1(VALU_DEP_2)
	v_cmp_eq_u32_e32 vcc_lo, 0, v165
	v_dual_cndmask_b32 v132, v132, v161 :: v_dual_lshlrev_b32 v179, 8, v135
	v_cndmask_b32_e32 v147, v165, v147, vcc_lo
	s_delay_alu instid0(VALU_DEP_2) | instskip(NEXT) | instid1(VALU_DEP_3)
	v_and_b32_e32 v161, 0x80000000, v179
	v_lshlrev_b32_e32 v132, 20, v132
	s_delay_alu instid0(VALU_DEP_3) | instskip(NEXT) | instid1(VALU_DEP_1)
	v_lshl_add_u32 v147, v147, 23, 0x3b800000
	v_or3_b32 v132, v161, v147, v132
.LBB6_6548:                             ;   in Loop: Header=BB6_4903 Depth=2
	s_or_b32 exec_lo, exec_lo, s23
	v_lshrrev_b32_e32 v147, 16, v11
	s_mov_b32 s7, 0
	s_mov_b32 s24, exec_lo
                                        ; implicit-def: $sgpr23
	s_delay_alu instid0(VALU_DEP_1) | instskip(NEXT) | instid1(VALU_DEP_1)
	v_and_b32_e32 v165, 0xff, v147
	v_cmpx_lt_i16_e64 0x7f, v165
	s_xor_b32 s24, exec_lo, s24
	s_cbranch_execnz .LBB6_7394
; %bb.6549:                             ;   in Loop: Header=BB6_4903 Depth=2
	s_or_saveexec_b32 s24, s24
	v_mov_b32_e32 v161, s23
	s_xor_b32 exec_lo, exec_lo, s24
	s_cbranch_execnz .LBB6_7397
.LBB6_6550:                             ;   in Loop: Header=BB6_4903 Depth=2
	s_or_b32 exec_lo, exec_lo, s24
	s_and_saveexec_b32 s23, s7
	s_cbranch_execz .LBB6_6552
.LBB6_6551:                             ;   in Loop: Header=BB6_4903 Depth=2
	v_bfe_u32 v161, v11, 16, 3
	v_lshlrev_b32_e32 v183, 8, v11
	s_delay_alu instid0(VALU_DEP_2) | instskip(NEXT) | instid1(VALU_DEP_1)
	v_clz_i32_u32_e32 v165, v161
	v_min_u32_e32 v165, 32, v165
	s_delay_alu instid0(VALU_DEP_1) | instskip(SKIP_1) | instid1(VALU_DEP_2)
	v_subrev_nc_u32_e32 v179, 28, v165
	v_sub_nc_u32_e32 v165, 29, v165
	v_lshlrev_b32_e32 v147, v179, v147
	v_bfe_u32 v179, v11, 19, 4
	s_delay_alu instid0(VALU_DEP_2) | instskip(NEXT) | instid1(VALU_DEP_2)
	v_and_b32_e32 v147, 7, v147
	v_cmp_eq_u32_e32 vcc_lo, 0, v179
	v_cndmask_b32_e32 v165, v179, v165, vcc_lo
	s_delay_alu instid0(VALU_DEP_3) | instskip(SKIP_1) | instid1(VALU_DEP_3)
	v_cndmask_b32_e32 v147, v161, v147, vcc_lo
	v_and_b32_e32 v161, 0x80000000, v183
	v_lshl_add_u32 v165, v165, 23, 0x3b800000
	s_delay_alu instid0(VALU_DEP_3) | instskip(NEXT) | instid1(VALU_DEP_1)
	v_lshlrev_b32_e32 v147, 20, v147
	v_or3_b32 v161, v161, v165, v147
.LBB6_6552:                             ;   in Loop: Header=BB6_4903 Depth=2
	s_or_b32 exec_lo, exec_lo, s23
	s_delay_alu instid0(VALU_DEP_1) | instskip(NEXT) | instid1(VALU_DEP_1)
	v_add_f32_e32 v147, v132, v161
	v_and_b32_e32 v132, 0x7f800000, v147
	s_delay_alu instid0(VALU_DEP_1)
	v_cmp_ne_u32_e32 vcc_lo, 0x7f800000, v132
	v_mov_b32_e32 v132, 0x80
	s_and_saveexec_b32 s23, vcc_lo
	s_cbranch_execz .LBB6_6560
; %bb.6553:                             ;   in Loop: Header=BB6_4903 Depth=2
	v_mov_b32_e32 v132, 0
	s_mov_b32 s24, exec_lo
	v_cmpx_ne_u32_e32 0, v147
	s_cbranch_execz .LBB6_6559
; %bb.6554:                             ;   in Loop: Header=BB6_4903 Depth=2
	v_bfe_u32 v132, v147, 23, 8
	v_and_b32_e32 v161, 0x7fffff, v147
	s_delay_alu instid0(VALU_DEP_2) | instskip(SKIP_1) | instid1(VALU_DEP_3)
	v_sub_nc_u32_e32 v165, 0x78, v132
	v_cmp_gt_u32_e32 vcc_lo, 0x79, v132
	v_or_b32_e32 v179, 0x800000, v161
	s_delay_alu instid0(VALU_DEP_3) | instskip(SKIP_2) | instid1(VALU_DEP_3)
	v_cndmask_b32_e32 v165, 0, v165, vcc_lo
	v_cmp_eq_u32_e32 vcc_lo, 0, v132
	v_add_nc_u32_e32 v132, 0xffffff89, v132
	v_cndmask_b32_e64 v165, v165, 0x77, vcc_lo
	v_cndmask_b32_e32 v161, v179, v161, vcc_lo
	s_delay_alu instid0(VALU_DEP_3) | instskip(NEXT) | instid1(VALU_DEP_3)
	v_cndmask_b32_e64 v132, v132, 0xffffff8a, vcc_lo
	v_lshl_add_u32 v179, 0x100000, v165, -1
	s_delay_alu instid0(VALU_DEP_3) | instskip(SKIP_1) | instid1(VALU_DEP_4)
	v_lshrrev_b32_e32 v183, v165, v161
	v_lshlrev_b32_e64 v56, v165, 0x80000
	v_add_nc_u32_e32 v165, v165, v132
	s_delay_alu instid0(VALU_DEP_4) | instskip(NEXT) | instid1(VALU_DEP_4)
	v_and_b32_e32 v161, v179, v161
	v_bfe_u32 v45, v183, 20, 1
	s_delay_alu instid0(VALU_DEP_2) | instskip(NEXT) | instid1(VALU_DEP_2)
	v_cmp_eq_u32_e64 s7, v161, v56
	v_add_nc_u32_e32 v179, -1, v45
	s_delay_alu instid0(VALU_DEP_1) | instskip(SKIP_2) | instid1(VALU_DEP_2)
	v_cndmask_b32_e64 v161, 0, v179, s7
	v_lshrrev_b32_e32 v179, 23, v183
	s_mov_b32 s7, exec_lo
	v_add_nc_u32_e32 v161, v161, v183
	s_delay_alu instid0(VALU_DEP_2) | instskip(NEXT) | instid1(VALU_DEP_2)
	v_xor_b32_e32 v179, 1, v179
	v_and_b32_e32 v132, 0xfffff, v161
	s_delay_alu instid0(VALU_DEP_1) | instskip(NEXT) | instid1(VALU_DEP_3)
	v_add_nc_u32_e32 v161, v132, v183
                                        ; implicit-def: $vgpr132
	v_cmpx_ne_u32_e64 v165, v179
	s_xor_b32 s7, exec_lo, s7
; %bb.6555:                             ;   in Loop: Header=BB6_4903 Depth=2
	s_delay_alu instid0(VALU_DEP_2) | instskip(SKIP_2) | instid1(VALU_DEP_2)
	v_cmp_lt_u32_e32 vcc_lo, 0xffffff, v161
	v_sub_nc_u32_e32 v132, v165, v179
	v_cndmask_b32_e64 v165, 0, 1, vcc_lo
	v_add_co_ci_u32_e32 v132, vcc_lo, 0, v132, vcc_lo
	s_delay_alu instid0(VALU_DEP_2)
	v_lshrrev_b32_e32 v161, v165, v161
; %bb.6556:                             ;   in Loop: Header=BB6_4903 Depth=2
	s_and_not1_saveexec_b32 s7, s7
; %bb.6557:                             ;   in Loop: Header=BB6_4903 Depth=2
	s_delay_alu instid0(VALU_DEP_1)
	v_bfe_u32 v132, v161, 23, 1
; %bb.6558:                             ;   in Loop: Header=BB6_4903 Depth=2
	s_or_b32 exec_lo, exec_lo, s7
	v_lshrrev_b32_e32 v161, 20, v161
	s_delay_alu instid0(VALU_DEP_2) | instskip(SKIP_2) | instid1(VALU_DEP_3)
	v_min_i32_e32 v165, 15, v132
	v_cmp_gt_i32_e32 vcc_lo, 16, v132
	v_lshrrev_b32_e32 v147, 24, v147
	v_lshlrev_b32_e32 v165, 3, v165
	v_cndmask_b32_e32 v161, 7, v161, vcc_lo
	s_delay_alu instid0(VALU_DEP_3) | instskip(NEXT) | instid1(VALU_DEP_3)
	v_and_b32_e32 v147, 0x80, v147
	v_and_b32_e32 v165, 0xf8, v165
	s_delay_alu instid0(VALU_DEP_3) | instskip(SKIP_1) | instid1(VALU_DEP_2)
	v_and_b32_e32 v179, 7, v161
	v_or_b32_e32 v132, v132, v161
	v_or3_b32 v147, v165, v147, v179
	s_delay_alu instid0(VALU_DEP_2) | instskip(NEXT) | instid1(VALU_DEP_2)
	v_cmp_ne_u32_e32 vcc_lo, 0, v132
	v_cndmask_b32_e32 v132, 0, v147, vcc_lo
.LBB6_6559:                             ;   in Loop: Header=BB6_4903 Depth=2
	s_or_b32 exec_lo, exec_lo, s24
.LBB6_6560:                             ;   in Loop: Header=BB6_4903 Depth=2
	s_delay_alu instid0(SALU_CYCLE_1) | instskip(SKIP_3) | instid1(VALU_DEP_1)
	s_or_b32 exec_lo, exec_lo, s23
	v_lshrrev_b32_e32 v161, 24, v135
	s_mov_b32 s7, 0
	s_mov_b32 s24, exec_lo
                                        ; implicit-def: $sgpr23
	v_cmpx_lt_i16_e64 0x7f, v161
	s_xor_b32 s24, exec_lo, s24
	s_cbranch_execnz .LBB6_7398
; %bb.6561:                             ;   in Loop: Header=BB6_4903 Depth=2
	s_or_saveexec_b32 s24, s24
	v_mov_b32_e32 v147, s23
	s_xor_b32 exec_lo, exec_lo, s24
	s_cbranch_execnz .LBB6_7401
.LBB6_6562:                             ;   in Loop: Header=BB6_4903 Depth=2
	s_or_b32 exec_lo, exec_lo, s24
	s_and_saveexec_b32 s23, s7
	s_cbranch_execz .LBB6_6564
.LBB6_6563:                             ;   in Loop: Header=BB6_4903 Depth=2
	v_bfe_u32 v147, v135, 24, 3
	s_delay_alu instid0(VALU_DEP_1) | instskip(NEXT) | instid1(VALU_DEP_1)
	v_clz_i32_u32_e32 v165, v147
	v_min_u32_e32 v165, 32, v165
	s_delay_alu instid0(VALU_DEP_1) | instskip(SKIP_1) | instid1(VALU_DEP_2)
	v_subrev_nc_u32_e32 v179, 28, v165
	v_sub_nc_u32_e32 v165, 29, v165
	v_lshlrev_b32_e32 v161, v179, v161
	v_bfe_u32 v179, v135, 27, 4
	v_and_b32_e32 v135, 0x80000000, v135
	s_delay_alu instid0(VALU_DEP_3) | instskip(NEXT) | instid1(VALU_DEP_3)
	v_and_b32_e32 v161, 7, v161
	v_cmp_eq_u32_e32 vcc_lo, 0, v179
	v_cndmask_b32_e32 v165, v179, v165, vcc_lo
	s_delay_alu instid0(VALU_DEP_3) | instskip(NEXT) | instid1(VALU_DEP_2)
	v_cndmask_b32_e32 v147, v147, v161, vcc_lo
	v_lshl_add_u32 v161, v165, 23, 0x3b800000
	s_delay_alu instid0(VALU_DEP_2) | instskip(NEXT) | instid1(VALU_DEP_1)
	v_lshlrev_b32_e32 v147, 20, v147
	v_or3_b32 v147, v135, v161, v147
.LBB6_6564:                             ;   in Loop: Header=BB6_4903 Depth=2
	s_or_b32 exec_lo, exec_lo, s23
	v_lshrrev_b32_e32 v135, 24, v11
	s_mov_b32 s7, 0
	s_mov_b32 s24, exec_lo
                                        ; implicit-def: $sgpr23
	s_delay_alu instid0(VALU_DEP_1)
	v_cmpx_lt_i16_e64 0x7f, v135
	s_xor_b32 s24, exec_lo, s24
	s_cbranch_execnz .LBB6_7402
; %bb.6565:                             ;   in Loop: Header=BB6_4903 Depth=2
	s_or_saveexec_b32 s24, s24
	v_mov_b32_e32 v161, s23
	s_xor_b32 exec_lo, exec_lo, s24
	s_cbranch_execnz .LBB6_7405
.LBB6_6566:                             ;   in Loop: Header=BB6_4903 Depth=2
	s_or_b32 exec_lo, exec_lo, s24
	s_and_saveexec_b32 s23, s7
	s_cbranch_execz .LBB6_6568
.LBB6_6567:                             ;   in Loop: Header=BB6_4903 Depth=2
	v_bfe_u32 v161, v11, 24, 3
	s_delay_alu instid0(VALU_DEP_1) | instskip(NEXT) | instid1(VALU_DEP_1)
	v_clz_i32_u32_e32 v165, v161
	v_min_u32_e32 v165, 32, v165
	s_delay_alu instid0(VALU_DEP_1) | instskip(SKIP_1) | instid1(VALU_DEP_2)
	v_subrev_nc_u32_e32 v179, 28, v165
	v_sub_nc_u32_e32 v165, 29, v165
	v_lshlrev_b32_e32 v135, v179, v135
	v_bfe_u32 v179, v11, 27, 4
	v_and_b32_e32 v11, 0x80000000, v11
	s_delay_alu instid0(VALU_DEP_3) | instskip(NEXT) | instid1(VALU_DEP_3)
	v_and_b32_e32 v135, 7, v135
	v_cmp_eq_u32_e32 vcc_lo, 0, v179
	v_cndmask_b32_e32 v165, v179, v165, vcc_lo
	s_delay_alu instid0(VALU_DEP_3) | instskip(NEXT) | instid1(VALU_DEP_2)
	v_cndmask_b32_e32 v135, v161, v135, vcc_lo
	v_lshl_add_u32 v161, v165, 23, 0x3b800000
	s_delay_alu instid0(VALU_DEP_2) | instskip(NEXT) | instid1(VALU_DEP_1)
	v_lshlrev_b32_e32 v135, 20, v135
	v_or3_b32 v161, v11, v161, v135
.LBB6_6568:                             ;   in Loop: Header=BB6_4903 Depth=2
	s_or_b32 exec_lo, exec_lo, s23
	s_delay_alu instid0(VALU_DEP_1) | instskip(NEXT) | instid1(VALU_DEP_1)
	v_add_f32_e32 v135, v147, v161
	v_and_b32_e32 v11, 0x7f800000, v135
	s_delay_alu instid0(VALU_DEP_1)
	v_cmp_ne_u32_e32 vcc_lo, 0x7f800000, v11
	v_mov_b32_e32 v11, 0x8000
	s_and_saveexec_b32 s23, vcc_lo
	s_cbranch_execz .LBB6_6576
; %bb.6569:                             ;   in Loop: Header=BB6_4903 Depth=2
	v_mov_b32_e32 v11, 0
	s_mov_b32 s24, exec_lo
	v_cmpx_ne_u32_e32 0, v135
	s_cbranch_execz .LBB6_6575
; %bb.6570:                             ;   in Loop: Header=BB6_4903 Depth=2
	v_bfe_u32 v11, v135, 23, 8
	v_and_b32_e32 v147, 0x7fffff, v135
	s_delay_alu instid0(VALU_DEP_2) | instskip(SKIP_1) | instid1(VALU_DEP_3)
	v_sub_nc_u32_e32 v161, 0x78, v11
	v_cmp_gt_u32_e32 vcc_lo, 0x79, v11
	v_or_b32_e32 v165, 0x800000, v147
	s_delay_alu instid0(VALU_DEP_3) | instskip(SKIP_2) | instid1(VALU_DEP_3)
	v_cndmask_b32_e32 v161, 0, v161, vcc_lo
	v_cmp_eq_u32_e32 vcc_lo, 0, v11
	v_add_nc_u32_e32 v11, 0xffffff89, v11
	v_cndmask_b32_e64 v161, v161, 0x77, vcc_lo
	v_cndmask_b32_e32 v147, v165, v147, vcc_lo
	s_delay_alu instid0(VALU_DEP_3) | instskip(NEXT) | instid1(VALU_DEP_3)
	v_cndmask_b32_e64 v11, v11, 0xffffff8a, vcc_lo
	v_lshl_add_u32 v165, 0x100000, v161, -1
	s_delay_alu instid0(VALU_DEP_3) | instskip(SKIP_1) | instid1(VALU_DEP_4)
	v_lshrrev_b32_e32 v179, v161, v147
	v_lshlrev_b32_e64 v45, v161, 0x80000
	v_add_nc_u32_e32 v161, v161, v11
	s_delay_alu instid0(VALU_DEP_4) | instskip(NEXT) | instid1(VALU_DEP_4)
	v_and_b32_e32 v147, v165, v147
	v_bfe_u32 v183, v179, 20, 1
	s_delay_alu instid0(VALU_DEP_2) | instskip(NEXT) | instid1(VALU_DEP_2)
	v_cmp_eq_u32_e64 s7, v147, v45
	v_add_nc_u32_e32 v165, -1, v183
	s_delay_alu instid0(VALU_DEP_1) | instskip(SKIP_2) | instid1(VALU_DEP_2)
	v_cndmask_b32_e64 v147, 0, v165, s7
	v_lshrrev_b32_e32 v165, 23, v179
	s_mov_b32 s7, exec_lo
	v_add_nc_u32_e32 v147, v147, v179
	s_delay_alu instid0(VALU_DEP_2) | instskip(NEXT) | instid1(VALU_DEP_2)
	v_xor_b32_e32 v165, 1, v165
	v_and_b32_e32 v11, 0xfffff, v147
	s_delay_alu instid0(VALU_DEP_1) | instskip(NEXT) | instid1(VALU_DEP_3)
	v_add_nc_u32_e32 v147, v11, v179
                                        ; implicit-def: $vgpr11
	v_cmpx_ne_u32_e64 v161, v165
	s_xor_b32 s7, exec_lo, s7
; %bb.6571:                             ;   in Loop: Header=BB6_4903 Depth=2
	s_delay_alu instid0(VALU_DEP_2) | instskip(SKIP_2) | instid1(VALU_DEP_2)
	v_cmp_lt_u32_e32 vcc_lo, 0xffffff, v147
	v_sub_nc_u32_e32 v11, v161, v165
	v_cndmask_b32_e64 v161, 0, 1, vcc_lo
	v_add_co_ci_u32_e32 v11, vcc_lo, 0, v11, vcc_lo
	s_delay_alu instid0(VALU_DEP_2)
	v_lshrrev_b32_e32 v147, v161, v147
; %bb.6572:                             ;   in Loop: Header=BB6_4903 Depth=2
	s_and_not1_saveexec_b32 s7, s7
; %bb.6573:                             ;   in Loop: Header=BB6_4903 Depth=2
	s_delay_alu instid0(VALU_DEP_1)
	v_bfe_u32 v11, v147, 23, 1
; %bb.6574:                             ;   in Loop: Header=BB6_4903 Depth=2
	s_or_b32 exec_lo, exec_lo, s7
	v_lshrrev_b32_e32 v147, 20, v147
	s_delay_alu instid0(VALU_DEP_2) | instskip(SKIP_2) | instid1(VALU_DEP_3)
	v_min_i32_e32 v161, 15, v11
	v_cmp_gt_i32_e32 vcc_lo, 16, v11
	v_lshrrev_b32_e32 v135, 24, v135
	v_lshlrev_b32_e32 v161, 3, v161
	v_cndmask_b32_e32 v147, 7, v147, vcc_lo
	s_delay_alu instid0(VALU_DEP_3) | instskip(NEXT) | instid1(VALU_DEP_3)
	v_and_b32_e32 v135, 0x80, v135
	v_and_b32_e32 v161, 0xf8, v161
	s_delay_alu instid0(VALU_DEP_3) | instskip(SKIP_1) | instid1(VALU_DEP_2)
	v_and_b32_e32 v165, 7, v147
	v_or_b32_e32 v11, v11, v147
	v_or3_b32 v135, v135, v161, v165
	s_delay_alu instid0(VALU_DEP_2) | instskip(NEXT) | instid1(VALU_DEP_2)
	v_cmp_ne_u32_e32 vcc_lo, 0, v11
	v_lshlrev_b32_e32 v135, 8, v135
	s_delay_alu instid0(VALU_DEP_1)
	v_cndmask_b32_e32 v11, 0, v135, vcc_lo
.LBB6_6575:                             ;   in Loop: Header=BB6_4903 Depth=2
	s_or_b32 exec_lo, exec_lo, s24
.LBB6_6576:                             ;   in Loop: Header=BB6_4903 Depth=2
	s_delay_alu instid0(SALU_CYCLE_1) | instskip(SKIP_3) | instid1(VALU_DEP_1)
	s_or_b32 exec_lo, exec_lo, s23
	v_and_b32_e32 v147, 0xff, v131
	s_mov_b32 s7, 0
	s_mov_b32 s24, exec_lo
                                        ; implicit-def: $sgpr23
	v_cmpx_lt_i16_e64 0x7f, v147
	s_xor_b32 s24, exec_lo, s24
	s_cbranch_execnz .LBB6_7406
; %bb.6577:                             ;   in Loop: Header=BB6_4903 Depth=2
	s_or_saveexec_b32 s24, s24
	v_mov_b32_e32 v135, s23
	s_xor_b32 exec_lo, exec_lo, s24
	s_cbranch_execnz .LBB6_7409
.LBB6_6578:                             ;   in Loop: Header=BB6_4903 Depth=2
	s_or_b32 exec_lo, exec_lo, s24
	s_and_saveexec_b32 s23, s7
	s_cbranch_execz .LBB6_6580
.LBB6_6579:                             ;   in Loop: Header=BB6_4903 Depth=2
	v_and_b32_e32 v135, 7, v131
	v_bfe_u32 v165, v131, 3, 4
	s_delay_alu instid0(VALU_DEP_2) | instskip(NEXT) | instid1(VALU_DEP_2)
	v_clz_i32_u32_e32 v147, v135
	v_cmp_eq_u32_e32 vcc_lo, 0, v165
	s_delay_alu instid0(VALU_DEP_2) | instskip(NEXT) | instid1(VALU_DEP_1)
	v_min_u32_e32 v147, 32, v147
	v_subrev_nc_u32_e32 v161, 28, v147
	v_sub_nc_u32_e32 v147, 29, v147
	s_delay_alu instid0(VALU_DEP_2) | instskip(SKIP_1) | instid1(VALU_DEP_3)
	v_lshlrev_b32_e32 v161, v161, v131
	v_lshlrev_b32_e32 v131, 24, v131
	v_cndmask_b32_e32 v147, v165, v147, vcc_lo
	s_delay_alu instid0(VALU_DEP_3) | instskip(NEXT) | instid1(VALU_DEP_3)
	v_and_b32_e32 v161, 7, v161
	v_and_b32_e32 v131, 0x80000000, v131
	s_delay_alu instid0(VALU_DEP_3) | instskip(NEXT) | instid1(VALU_DEP_3)
	v_lshl_add_u32 v147, v147, 23, 0x3b800000
	v_cndmask_b32_e32 v135, v135, v161, vcc_lo
	s_delay_alu instid0(VALU_DEP_1) | instskip(NEXT) | instid1(VALU_DEP_1)
	v_lshlrev_b32_e32 v135, 20, v135
	v_or3_b32 v135, v131, v147, v135
.LBB6_6580:                             ;   in Loop: Header=BB6_4903 Depth=2
	s_or_b32 exec_lo, exec_lo, s23
	v_and_b32_e32 v147, 0xff, v12
	s_mov_b32 s7, 0
	s_mov_b32 s24, exec_lo
                                        ; implicit-def: $sgpr23
	s_delay_alu instid0(VALU_DEP_1)
	v_cmpx_lt_i16_e64 0x7f, v147
	s_xor_b32 s24, exec_lo, s24
	s_cbranch_execnz .LBB6_7410
; %bb.6581:                             ;   in Loop: Header=BB6_4903 Depth=2
	s_or_saveexec_b32 s24, s24
	v_mov_b32_e32 v131, s23
	s_xor_b32 exec_lo, exec_lo, s24
	s_cbranch_execnz .LBB6_7413
.LBB6_6582:                             ;   in Loop: Header=BB6_4903 Depth=2
	s_or_b32 exec_lo, exec_lo, s24
	s_and_saveexec_b32 s23, s7
	s_cbranch_execz .LBB6_6584
.LBB6_6583:                             ;   in Loop: Header=BB6_4903 Depth=2
	v_and_b32_e32 v131, 7, v12
	v_bfe_u32 v165, v12, 3, 4
	v_lshlrev_b32_e32 v179, 24, v12
	s_delay_alu instid0(VALU_DEP_3) | instskip(NEXT) | instid1(VALU_DEP_3)
	v_clz_i32_u32_e32 v147, v131
	v_cmp_eq_u32_e32 vcc_lo, 0, v165
	s_delay_alu instid0(VALU_DEP_2) | instskip(NEXT) | instid1(VALU_DEP_1)
	v_min_u32_e32 v147, 32, v147
	v_subrev_nc_u32_e32 v161, 28, v147
	v_sub_nc_u32_e32 v147, 29, v147
	s_delay_alu instid0(VALU_DEP_2) | instskip(NEXT) | instid1(VALU_DEP_2)
	v_lshlrev_b32_e32 v161, v161, v12
	v_cndmask_b32_e32 v147, v165, v147, vcc_lo
	s_delay_alu instid0(VALU_DEP_2) | instskip(NEXT) | instid1(VALU_DEP_2)
	v_and_b32_e32 v161, 7, v161
	v_lshl_add_u32 v147, v147, 23, 0x3b800000
	s_delay_alu instid0(VALU_DEP_2) | instskip(SKIP_1) | instid1(VALU_DEP_2)
	v_cndmask_b32_e32 v131, v131, v161, vcc_lo
	v_and_b32_e32 v161, 0x80000000, v179
	v_lshlrev_b32_e32 v131, 20, v131
	s_delay_alu instid0(VALU_DEP_1)
	v_or3_b32 v131, v161, v147, v131
.LBB6_6584:                             ;   in Loop: Header=BB6_4903 Depth=2
	s_or_b32 exec_lo, exec_lo, s23
	s_delay_alu instid0(VALU_DEP_1) | instskip(NEXT) | instid1(VALU_DEP_1)
	v_add_f32_e32 v135, v135, v131
	v_and_b32_e32 v131, 0x7f800000, v135
	s_delay_alu instid0(VALU_DEP_1)
	v_cmp_ne_u32_e32 vcc_lo, 0x7f800000, v131
	v_mov_b32_e32 v131, 0x80
	s_and_saveexec_b32 s23, vcc_lo
	s_cbranch_execz .LBB6_6592
; %bb.6585:                             ;   in Loop: Header=BB6_4903 Depth=2
	v_mov_b32_e32 v131, 0
	s_mov_b32 s24, exec_lo
	v_cmpx_ne_u32_e32 0, v135
	s_cbranch_execz .LBB6_6591
; %bb.6586:                             ;   in Loop: Header=BB6_4903 Depth=2
	v_bfe_u32 v131, v135, 23, 8
	v_and_b32_e32 v147, 0x7fffff, v135
	s_delay_alu instid0(VALU_DEP_2) | instskip(SKIP_1) | instid1(VALU_DEP_3)
	v_sub_nc_u32_e32 v161, 0x78, v131
	v_cmp_gt_u32_e32 vcc_lo, 0x79, v131
	v_or_b32_e32 v165, 0x800000, v147
	s_delay_alu instid0(VALU_DEP_3) | instskip(SKIP_2) | instid1(VALU_DEP_3)
	v_cndmask_b32_e32 v161, 0, v161, vcc_lo
	v_cmp_eq_u32_e32 vcc_lo, 0, v131
	v_add_nc_u32_e32 v131, 0xffffff89, v131
	v_cndmask_b32_e64 v161, v161, 0x77, vcc_lo
	v_cndmask_b32_e32 v147, v165, v147, vcc_lo
	s_delay_alu instid0(VALU_DEP_3) | instskip(NEXT) | instid1(VALU_DEP_3)
	v_cndmask_b32_e64 v131, v131, 0xffffff8a, vcc_lo
	v_lshl_add_u32 v165, 0x100000, v161, -1
	s_delay_alu instid0(VALU_DEP_3) | instskip(SKIP_1) | instid1(VALU_DEP_4)
	v_lshrrev_b32_e32 v179, v161, v147
	v_lshlrev_b32_e64 v45, v161, 0x80000
	v_add_nc_u32_e32 v161, v161, v131
	s_delay_alu instid0(VALU_DEP_4) | instskip(NEXT) | instid1(VALU_DEP_4)
	v_and_b32_e32 v147, v165, v147
	v_bfe_u32 v183, v179, 20, 1
	s_delay_alu instid0(VALU_DEP_2) | instskip(NEXT) | instid1(VALU_DEP_2)
	v_cmp_eq_u32_e64 s7, v147, v45
	v_add_nc_u32_e32 v165, -1, v183
	s_delay_alu instid0(VALU_DEP_1) | instskip(SKIP_2) | instid1(VALU_DEP_2)
	v_cndmask_b32_e64 v147, 0, v165, s7
	v_lshrrev_b32_e32 v165, 23, v179
	s_mov_b32 s7, exec_lo
	v_add_nc_u32_e32 v147, v147, v179
	s_delay_alu instid0(VALU_DEP_2) | instskip(NEXT) | instid1(VALU_DEP_2)
	v_xor_b32_e32 v165, 1, v165
	v_and_b32_e32 v131, 0xfffff, v147
	s_delay_alu instid0(VALU_DEP_1) | instskip(NEXT) | instid1(VALU_DEP_3)
	v_add_nc_u32_e32 v147, v131, v179
                                        ; implicit-def: $vgpr131
	v_cmpx_ne_u32_e64 v161, v165
	s_xor_b32 s7, exec_lo, s7
; %bb.6587:                             ;   in Loop: Header=BB6_4903 Depth=2
	s_delay_alu instid0(VALU_DEP_2) | instskip(SKIP_2) | instid1(VALU_DEP_2)
	v_cmp_lt_u32_e32 vcc_lo, 0xffffff, v147
	v_sub_nc_u32_e32 v131, v161, v165
	v_cndmask_b32_e64 v161, 0, 1, vcc_lo
	v_add_co_ci_u32_e32 v131, vcc_lo, 0, v131, vcc_lo
	s_delay_alu instid0(VALU_DEP_2)
	v_lshrrev_b32_e32 v147, v161, v147
; %bb.6588:                             ;   in Loop: Header=BB6_4903 Depth=2
	s_and_not1_saveexec_b32 s7, s7
; %bb.6589:                             ;   in Loop: Header=BB6_4903 Depth=2
	s_delay_alu instid0(VALU_DEP_1)
	v_bfe_u32 v131, v147, 23, 1
; %bb.6590:                             ;   in Loop: Header=BB6_4903 Depth=2
	s_or_b32 exec_lo, exec_lo, s7
	v_lshrrev_b32_e32 v147, 20, v147
	s_delay_alu instid0(VALU_DEP_2) | instskip(SKIP_2) | instid1(VALU_DEP_4)
	v_cmp_gt_i32_e32 vcc_lo, 16, v131
	v_lshrrev_b32_e32 v135, 24, v135
	v_min_i32_e32 v161, 15, v131
	v_cndmask_b32_e32 v147, 7, v147, vcc_lo
	s_delay_alu instid0(VALU_DEP_3) | instskip(NEXT) | instid1(VALU_DEP_3)
	v_and_b32_e32 v135, 0x80, v135
	v_lshlrev_b32_e32 v161, 3, v161
	s_delay_alu instid0(VALU_DEP_3) | instskip(SKIP_1) | instid1(VALU_DEP_2)
	v_and_b32_e32 v165, 7, v147
	v_or_b32_e32 v131, v131, v147
	v_or3_b32 v135, v161, v135, v165
	s_delay_alu instid0(VALU_DEP_2) | instskip(NEXT) | instid1(VALU_DEP_2)
	v_cmp_ne_u32_e32 vcc_lo, 0, v131
	v_cndmask_b32_e32 v131, 0, v135, vcc_lo
.LBB6_6591:                             ;   in Loop: Header=BB6_4903 Depth=2
	s_or_b32 exec_lo, exec_lo, s24
.LBB6_6592:                             ;   in Loop: Header=BB6_4903 Depth=2
	s_delay_alu instid0(SALU_CYCLE_1) | instskip(SKIP_3) | instid1(VALU_DEP_1)
	s_or_b32 exec_lo, exec_lo, s23
	v_and_b32_e32 v147, 0xff, v128
	s_mov_b32 s7, 0
	s_mov_b32 s24, exec_lo
                                        ; implicit-def: $sgpr23
	v_cmpx_lt_i16_e64 0x7f, v147
	s_xor_b32 s24, exec_lo, s24
	s_cbranch_execnz .LBB6_7414
; %bb.6593:                             ;   in Loop: Header=BB6_4903 Depth=2
	s_or_saveexec_b32 s24, s24
	v_mov_b32_e32 v135, s23
	s_xor_b32 exec_lo, exec_lo, s24
	s_cbranch_execnz .LBB6_7417
.LBB6_6594:                             ;   in Loop: Header=BB6_4903 Depth=2
	s_or_b32 exec_lo, exec_lo, s24
	s_and_saveexec_b32 s23, s7
	s_cbranch_execz .LBB6_6596
.LBB6_6595:                             ;   in Loop: Header=BB6_4903 Depth=2
	v_and_b32_e32 v135, 7, v128
	v_bfe_u32 v165, v128, 3, 4
	s_delay_alu instid0(VALU_DEP_2) | instskip(NEXT) | instid1(VALU_DEP_2)
	v_clz_i32_u32_e32 v147, v135
	v_cmp_eq_u32_e32 vcc_lo, 0, v165
	s_delay_alu instid0(VALU_DEP_2) | instskip(NEXT) | instid1(VALU_DEP_1)
	v_min_u32_e32 v147, 32, v147
	v_subrev_nc_u32_e32 v161, 28, v147
	v_sub_nc_u32_e32 v147, 29, v147
	s_delay_alu instid0(VALU_DEP_2) | instskip(NEXT) | instid1(VALU_DEP_2)
	v_lshlrev_b32_e32 v161, v161, v128
	v_dual_cndmask_b32 v147, v165, v147 :: v_dual_lshlrev_b32 v128, 24, v128
	s_delay_alu instid0(VALU_DEP_2) | instskip(NEXT) | instid1(VALU_DEP_2)
	v_and_b32_e32 v161, 7, v161
	v_and_b32_e32 v128, 0x80000000, v128
	s_delay_alu instid0(VALU_DEP_3) | instskip(NEXT) | instid1(VALU_DEP_3)
	v_lshl_add_u32 v147, v147, 23, 0x3b800000
	v_cndmask_b32_e32 v135, v135, v161, vcc_lo
	s_delay_alu instid0(VALU_DEP_1) | instskip(NEXT) | instid1(VALU_DEP_1)
	v_lshlrev_b32_e32 v135, 20, v135
	v_or3_b32 v135, v128, v147, v135
.LBB6_6596:                             ;   in Loop: Header=BB6_4903 Depth=2
	s_or_b32 exec_lo, exec_lo, s23
	v_lshrrev_b16 v128, 8, v12
	s_mov_b32 s7, 0
	s_mov_b32 s24, exec_lo
                                        ; implicit-def: $sgpr23
	s_delay_alu instid0(VALU_DEP_1)
	v_cmpx_lt_i16_e64 0x7f, v128
	s_xor_b32 s24, exec_lo, s24
	s_cbranch_execnz .LBB6_7418
; %bb.6597:                             ;   in Loop: Header=BB6_4903 Depth=2
	s_or_saveexec_b32 s24, s24
	v_mov_b32_e32 v147, s23
	s_xor_b32 exec_lo, exec_lo, s24
	s_cbranch_execnz .LBB6_7421
.LBB6_6598:                             ;   in Loop: Header=BB6_4903 Depth=2
	s_or_b32 exec_lo, exec_lo, s24
	s_and_saveexec_b32 s23, s7
	s_cbranch_execz .LBB6_6600
.LBB6_6599:                             ;   in Loop: Header=BB6_4903 Depth=2
	v_and_b32_e32 v147, 0xffff, v128
	s_delay_alu instid0(VALU_DEP_1) | instskip(NEXT) | instid1(VALU_DEP_1)
	v_and_b32_e32 v161, 7, v147
	v_clz_i32_u32_e32 v165, v161
	s_delay_alu instid0(VALU_DEP_1) | instskip(NEXT) | instid1(VALU_DEP_1)
	v_min_u32_e32 v165, 32, v165
	v_subrev_nc_u32_e32 v179, 28, v165
	v_sub_nc_u32_e32 v165, 29, v165
	s_delay_alu instid0(VALU_DEP_2) | instskip(SKIP_1) | instid1(VALU_DEP_2)
	v_lshlrev_b32_e32 v179, v179, v147
	v_bfe_u32 v147, v147, 3, 4
	v_and_b32_e32 v179, 7, v179
	s_delay_alu instid0(VALU_DEP_2) | instskip(SKIP_1) | instid1(VALU_DEP_1)
	v_cmp_eq_u32_e32 vcc_lo, 0, v147
	v_dual_cndmask_b32 v147, v147, v165 :: v_dual_lshlrev_b32 v128, 24, v128
	v_dual_cndmask_b32 v161, v161, v179 :: v_dual_and_b32 v128, 0x80000000, v128
	s_delay_alu instid0(VALU_DEP_2) | instskip(NEXT) | instid1(VALU_DEP_2)
	v_lshl_add_u32 v147, v147, 23, 0x3b800000
	v_lshlrev_b32_e32 v161, 20, v161
	s_delay_alu instid0(VALU_DEP_1)
	v_or3_b32 v147, v128, v147, v161
.LBB6_6600:                             ;   in Loop: Header=BB6_4903 Depth=2
	s_or_b32 exec_lo, exec_lo, s23
	s_delay_alu instid0(VALU_DEP_1) | instskip(NEXT) | instid1(VALU_DEP_1)
	v_add_f32_e32 v135, v135, v147
	v_and_b32_e32 v128, 0x7f800000, v135
	s_delay_alu instid0(VALU_DEP_1)
	v_cmp_ne_u32_e32 vcc_lo, 0x7f800000, v128
	v_mov_b32_e32 v128, 0x80
	s_and_saveexec_b32 s23, vcc_lo
	s_cbranch_execz .LBB6_6608
; %bb.6601:                             ;   in Loop: Header=BB6_4903 Depth=2
	v_mov_b32_e32 v128, 0
	s_mov_b32 s24, exec_lo
	v_cmpx_ne_u32_e32 0, v135
	s_cbranch_execz .LBB6_6607
; %bb.6602:                             ;   in Loop: Header=BB6_4903 Depth=2
	v_bfe_u32 v128, v135, 23, 8
	v_and_b32_e32 v147, 0x7fffff, v135
	s_delay_alu instid0(VALU_DEP_2) | instskip(SKIP_1) | instid1(VALU_DEP_3)
	v_sub_nc_u32_e32 v161, 0x78, v128
	v_cmp_gt_u32_e32 vcc_lo, 0x79, v128
	v_or_b32_e32 v165, 0x800000, v147
	s_delay_alu instid0(VALU_DEP_3) | instskip(SKIP_2) | instid1(VALU_DEP_3)
	v_cndmask_b32_e32 v161, 0, v161, vcc_lo
	v_cmp_eq_u32_e32 vcc_lo, 0, v128
	v_add_nc_u32_e32 v128, 0xffffff89, v128
	v_cndmask_b32_e64 v161, v161, 0x77, vcc_lo
	v_cndmask_b32_e32 v147, v165, v147, vcc_lo
	s_delay_alu instid0(VALU_DEP_3) | instskip(NEXT) | instid1(VALU_DEP_3)
	v_cndmask_b32_e64 v128, v128, 0xffffff8a, vcc_lo
	v_lshl_add_u32 v165, 0x100000, v161, -1
	s_delay_alu instid0(VALU_DEP_3) | instskip(SKIP_1) | instid1(VALU_DEP_4)
	v_lshrrev_b32_e32 v179, v161, v147
	v_lshlrev_b32_e64 v45, v161, 0x80000
	v_add_nc_u32_e32 v161, v161, v128
	s_delay_alu instid0(VALU_DEP_4) | instskip(NEXT) | instid1(VALU_DEP_4)
	v_and_b32_e32 v147, v165, v147
	v_bfe_u32 v183, v179, 20, 1
	s_delay_alu instid0(VALU_DEP_2) | instskip(NEXT) | instid1(VALU_DEP_2)
	v_cmp_eq_u32_e64 s7, v147, v45
	v_add_nc_u32_e32 v165, -1, v183
	s_delay_alu instid0(VALU_DEP_1) | instskip(SKIP_2) | instid1(VALU_DEP_2)
	v_cndmask_b32_e64 v147, 0, v165, s7
	v_lshrrev_b32_e32 v165, 23, v179
	s_mov_b32 s7, exec_lo
	v_add_nc_u32_e32 v147, v147, v179
	s_delay_alu instid0(VALU_DEP_2) | instskip(NEXT) | instid1(VALU_DEP_2)
	v_xor_b32_e32 v165, 1, v165
	v_and_b32_e32 v128, 0xfffff, v147
	s_delay_alu instid0(VALU_DEP_1) | instskip(NEXT) | instid1(VALU_DEP_3)
	v_add_nc_u32_e32 v147, v128, v179
                                        ; implicit-def: $vgpr128
	v_cmpx_ne_u32_e64 v161, v165
	s_xor_b32 s7, exec_lo, s7
; %bb.6603:                             ;   in Loop: Header=BB6_4903 Depth=2
	s_delay_alu instid0(VALU_DEP_2) | instskip(SKIP_2) | instid1(VALU_DEP_2)
	v_cmp_lt_u32_e32 vcc_lo, 0xffffff, v147
	v_sub_nc_u32_e32 v128, v161, v165
	v_cndmask_b32_e64 v161, 0, 1, vcc_lo
	v_add_co_ci_u32_e32 v128, vcc_lo, 0, v128, vcc_lo
	s_delay_alu instid0(VALU_DEP_2)
	v_lshrrev_b32_e32 v147, v161, v147
; %bb.6604:                             ;   in Loop: Header=BB6_4903 Depth=2
	s_and_not1_saveexec_b32 s7, s7
; %bb.6605:                             ;   in Loop: Header=BB6_4903 Depth=2
	s_delay_alu instid0(VALU_DEP_1)
	v_bfe_u32 v128, v147, 23, 1
; %bb.6606:                             ;   in Loop: Header=BB6_4903 Depth=2
	s_or_b32 exec_lo, exec_lo, s7
	v_lshrrev_b32_e32 v147, 20, v147
	s_delay_alu instid0(VALU_DEP_2) | instskip(SKIP_2) | instid1(VALU_DEP_4)
	v_cmp_gt_i32_e32 vcc_lo, 16, v128
	v_lshrrev_b32_e32 v135, 24, v135
	v_min_i32_e32 v161, 15, v128
	v_cndmask_b32_e32 v147, 7, v147, vcc_lo
	s_delay_alu instid0(VALU_DEP_3) | instskip(NEXT) | instid1(VALU_DEP_2)
	v_and_b32_e32 v135, 0x80, v135
	v_or_b32_e32 v128, v128, v147
	v_and_b32_e32 v165, 7, v147
	s_delay_alu instid0(VALU_DEP_2) | instskip(SKIP_1) | instid1(VALU_DEP_1)
	v_cmp_ne_u32_e32 vcc_lo, 0, v128
	v_lshlrev_b32_e32 v161, 3, v161
	v_or3_b32 v135, v161, v135, v165
	s_delay_alu instid0(VALU_DEP_1)
	v_cndmask_b32_e32 v128, 0, v135, vcc_lo
.LBB6_6607:                             ;   in Loop: Header=BB6_4903 Depth=2
	s_or_b32 exec_lo, exec_lo, s24
.LBB6_6608:                             ;   in Loop: Header=BB6_4903 Depth=2
	s_delay_alu instid0(SALU_CYCLE_1) | instskip(SKIP_3) | instid1(VALU_DEP_1)
	s_or_b32 exec_lo, exec_lo, s23
	v_and_b32_e32 v147, 0xff, v119
	s_mov_b32 s7, 0
	s_mov_b32 s24, exec_lo
                                        ; implicit-def: $sgpr23
	v_cmpx_lt_i16_e64 0x7f, v147
	s_xor_b32 s24, exec_lo, s24
	s_cbranch_execnz .LBB6_7422
; %bb.6609:                             ;   in Loop: Header=BB6_4903 Depth=2
	s_or_saveexec_b32 s24, s24
	v_mov_b32_e32 v135, s23
	s_xor_b32 exec_lo, exec_lo, s24
	s_cbranch_execnz .LBB6_7425
.LBB6_6610:                             ;   in Loop: Header=BB6_4903 Depth=2
	s_or_b32 exec_lo, exec_lo, s24
	s_and_saveexec_b32 s23, s7
	s_cbranch_execz .LBB6_6612
.LBB6_6611:                             ;   in Loop: Header=BB6_4903 Depth=2
	v_and_b32_e32 v135, 7, v119
	v_bfe_u32 v165, v119, 3, 4
	s_delay_alu instid0(VALU_DEP_2) | instskip(NEXT) | instid1(VALU_DEP_2)
	v_clz_i32_u32_e32 v147, v135
	v_cmp_eq_u32_e32 vcc_lo, 0, v165
	s_delay_alu instid0(VALU_DEP_2) | instskip(NEXT) | instid1(VALU_DEP_1)
	v_min_u32_e32 v147, 32, v147
	v_subrev_nc_u32_e32 v161, 28, v147
	v_sub_nc_u32_e32 v147, 29, v147
	s_delay_alu instid0(VALU_DEP_2) | instskip(SKIP_1) | instid1(VALU_DEP_3)
	v_lshlrev_b32_e32 v161, v161, v119
	v_lshlrev_b32_e32 v119, 24, v119
	v_cndmask_b32_e32 v147, v165, v147, vcc_lo
	s_delay_alu instid0(VALU_DEP_3) | instskip(NEXT) | instid1(VALU_DEP_3)
	v_and_b32_e32 v161, 7, v161
	v_and_b32_e32 v119, 0x80000000, v119
	s_delay_alu instid0(VALU_DEP_3) | instskip(NEXT) | instid1(VALU_DEP_3)
	v_lshl_add_u32 v147, v147, 23, 0x3b800000
	v_cndmask_b32_e32 v135, v135, v161, vcc_lo
	s_delay_alu instid0(VALU_DEP_1) | instskip(NEXT) | instid1(VALU_DEP_1)
	v_lshlrev_b32_e32 v135, 20, v135
	v_or3_b32 v135, v119, v147, v135
.LBB6_6612:                             ;   in Loop: Header=BB6_4903 Depth=2
	s_or_b32 exec_lo, exec_lo, s23
	v_lshrrev_b32_e32 v119, 16, v12
	s_mov_b32 s7, 0
	s_mov_b32 s24, exec_lo
                                        ; implicit-def: $sgpr23
	s_delay_alu instid0(VALU_DEP_1) | instskip(NEXT) | instid1(VALU_DEP_1)
	v_and_b32_e32 v161, 0xff, v119
	v_cmpx_lt_i16_e64 0x7f, v161
	s_xor_b32 s24, exec_lo, s24
	s_cbranch_execnz .LBB6_7426
; %bb.6613:                             ;   in Loop: Header=BB6_4903 Depth=2
	s_or_saveexec_b32 s24, s24
	v_mov_b32_e32 v147, s23
	s_xor_b32 exec_lo, exec_lo, s24
	s_cbranch_execnz .LBB6_7429
.LBB6_6614:                             ;   in Loop: Header=BB6_4903 Depth=2
	s_or_b32 exec_lo, exec_lo, s24
	s_and_saveexec_b32 s23, s7
	s_cbranch_execz .LBB6_6616
.LBB6_6615:                             ;   in Loop: Header=BB6_4903 Depth=2
	v_bfe_u32 v147, v12, 16, 3
	v_lshlrev_b32_e32 v179, 8, v12
	s_delay_alu instid0(VALU_DEP_2) | instskip(NEXT) | instid1(VALU_DEP_1)
	v_clz_i32_u32_e32 v161, v147
	v_min_u32_e32 v161, 32, v161
	s_delay_alu instid0(VALU_DEP_1) | instskip(SKIP_1) | instid1(VALU_DEP_2)
	v_subrev_nc_u32_e32 v165, 28, v161
	v_sub_nc_u32_e32 v161, 29, v161
	v_lshlrev_b32_e32 v119, v165, v119
	v_bfe_u32 v165, v12, 19, 4
	s_delay_alu instid0(VALU_DEP_2) | instskip(NEXT) | instid1(VALU_DEP_2)
	v_and_b32_e32 v119, 7, v119
	v_cmp_eq_u32_e32 vcc_lo, 0, v165
	v_cndmask_b32_e32 v161, v165, v161, vcc_lo
	s_delay_alu instid0(VALU_DEP_3) | instskip(SKIP_1) | instid1(VALU_DEP_3)
	v_cndmask_b32_e32 v119, v147, v119, vcc_lo
	v_and_b32_e32 v147, 0x80000000, v179
	v_lshl_add_u32 v161, v161, 23, 0x3b800000
	s_delay_alu instid0(VALU_DEP_3) | instskip(NEXT) | instid1(VALU_DEP_1)
	v_lshlrev_b32_e32 v119, 20, v119
	v_or3_b32 v147, v147, v161, v119
.LBB6_6616:                             ;   in Loop: Header=BB6_4903 Depth=2
	s_or_b32 exec_lo, exec_lo, s23
	s_delay_alu instid0(VALU_DEP_1) | instskip(NEXT) | instid1(VALU_DEP_1)
	v_add_f32_e32 v135, v135, v147
	v_and_b32_e32 v119, 0x7f800000, v135
	s_delay_alu instid0(VALU_DEP_1)
	v_cmp_ne_u32_e32 vcc_lo, 0x7f800000, v119
	v_mov_b32_e32 v119, 0x80
	s_and_saveexec_b32 s23, vcc_lo
	s_cbranch_execz .LBB6_6624
; %bb.6617:                             ;   in Loop: Header=BB6_4903 Depth=2
	v_mov_b32_e32 v119, 0
	s_mov_b32 s24, exec_lo
	v_cmpx_ne_u32_e32 0, v135
	s_cbranch_execz .LBB6_6623
; %bb.6618:                             ;   in Loop: Header=BB6_4903 Depth=2
	v_bfe_u32 v119, v135, 23, 8
	v_and_b32_e32 v147, 0x7fffff, v135
	s_delay_alu instid0(VALU_DEP_2) | instskip(SKIP_1) | instid1(VALU_DEP_3)
	v_sub_nc_u32_e32 v161, 0x78, v119
	v_cmp_gt_u32_e32 vcc_lo, 0x79, v119
	v_or_b32_e32 v165, 0x800000, v147
	s_delay_alu instid0(VALU_DEP_3) | instskip(SKIP_2) | instid1(VALU_DEP_3)
	v_cndmask_b32_e32 v161, 0, v161, vcc_lo
	v_cmp_eq_u32_e32 vcc_lo, 0, v119
	v_add_nc_u32_e32 v119, 0xffffff89, v119
	v_cndmask_b32_e64 v161, v161, 0x77, vcc_lo
	v_cndmask_b32_e32 v147, v165, v147, vcc_lo
	s_delay_alu instid0(VALU_DEP_3) | instskip(NEXT) | instid1(VALU_DEP_3)
	v_cndmask_b32_e64 v119, v119, 0xffffff8a, vcc_lo
	v_lshl_add_u32 v165, 0x100000, v161, -1
	s_delay_alu instid0(VALU_DEP_3) | instskip(SKIP_1) | instid1(VALU_DEP_4)
	v_lshrrev_b32_e32 v179, v161, v147
	v_lshlrev_b32_e64 v45, v161, 0x80000
	v_add_nc_u32_e32 v161, v161, v119
	s_delay_alu instid0(VALU_DEP_4) | instskip(NEXT) | instid1(VALU_DEP_4)
	v_and_b32_e32 v147, v165, v147
	v_bfe_u32 v183, v179, 20, 1
	s_delay_alu instid0(VALU_DEP_2) | instskip(NEXT) | instid1(VALU_DEP_2)
	v_cmp_eq_u32_e64 s7, v147, v45
	v_add_nc_u32_e32 v165, -1, v183
	s_delay_alu instid0(VALU_DEP_1) | instskip(SKIP_2) | instid1(VALU_DEP_2)
	v_cndmask_b32_e64 v147, 0, v165, s7
	v_lshrrev_b32_e32 v165, 23, v179
	s_mov_b32 s7, exec_lo
	v_add_nc_u32_e32 v147, v147, v179
	s_delay_alu instid0(VALU_DEP_2) | instskip(NEXT) | instid1(VALU_DEP_2)
	v_xor_b32_e32 v165, 1, v165
	v_and_b32_e32 v119, 0xfffff, v147
	s_delay_alu instid0(VALU_DEP_1) | instskip(NEXT) | instid1(VALU_DEP_3)
	v_add_nc_u32_e32 v147, v119, v179
                                        ; implicit-def: $vgpr119
	v_cmpx_ne_u32_e64 v161, v165
	s_xor_b32 s7, exec_lo, s7
; %bb.6619:                             ;   in Loop: Header=BB6_4903 Depth=2
	s_delay_alu instid0(VALU_DEP_2) | instskip(SKIP_2) | instid1(VALU_DEP_2)
	v_cmp_lt_u32_e32 vcc_lo, 0xffffff, v147
	v_sub_nc_u32_e32 v119, v161, v165
	v_cndmask_b32_e64 v161, 0, 1, vcc_lo
	v_add_co_ci_u32_e32 v119, vcc_lo, 0, v119, vcc_lo
	s_delay_alu instid0(VALU_DEP_2)
	v_lshrrev_b32_e32 v147, v161, v147
; %bb.6620:                             ;   in Loop: Header=BB6_4903 Depth=2
	s_and_not1_saveexec_b32 s7, s7
; %bb.6621:                             ;   in Loop: Header=BB6_4903 Depth=2
	s_delay_alu instid0(VALU_DEP_1)
	v_bfe_u32 v119, v147, 23, 1
; %bb.6622:                             ;   in Loop: Header=BB6_4903 Depth=2
	s_or_b32 exec_lo, exec_lo, s7
	v_lshrrev_b32_e32 v147, 20, v147
	s_delay_alu instid0(VALU_DEP_2) | instskip(SKIP_2) | instid1(VALU_DEP_4)
	v_cmp_gt_i32_e32 vcc_lo, 16, v119
	v_lshrrev_b32_e32 v135, 24, v135
	v_min_i32_e32 v161, 15, v119
	v_cndmask_b32_e32 v147, 7, v147, vcc_lo
	s_delay_alu instid0(VALU_DEP_3) | instskip(NEXT) | instid1(VALU_DEP_3)
	v_and_b32_e32 v135, 0x80, v135
	v_lshlrev_b32_e32 v161, 3, v161
	s_delay_alu instid0(VALU_DEP_3) | instskip(SKIP_1) | instid1(VALU_DEP_2)
	v_and_b32_e32 v165, 7, v147
	v_or_b32_e32 v119, v119, v147
	v_or3_b32 v135, v161, v135, v165
	s_delay_alu instid0(VALU_DEP_2) | instskip(NEXT) | instid1(VALU_DEP_2)
	v_cmp_ne_u32_e32 vcc_lo, 0, v119
	v_cndmask_b32_e32 v119, 0, v135, vcc_lo
.LBB6_6623:                             ;   in Loop: Header=BB6_4903 Depth=2
	s_or_b32 exec_lo, exec_lo, s24
.LBB6_6624:                             ;   in Loop: Header=BB6_4903 Depth=2
	s_delay_alu instid0(SALU_CYCLE_1) | instskip(SKIP_3) | instid1(VALU_DEP_1)
	s_or_b32 exec_lo, exec_lo, s23
	v_and_b32_e32 v147, 0xff, v117
	s_mov_b32 s7, 0
	s_mov_b32 s24, exec_lo
                                        ; implicit-def: $sgpr23
	v_cmpx_lt_i16_e64 0x7f, v147
	s_xor_b32 s24, exec_lo, s24
	s_cbranch_execnz .LBB6_7430
; %bb.6625:                             ;   in Loop: Header=BB6_4903 Depth=2
	s_or_saveexec_b32 s24, s24
	v_mov_b32_e32 v135, s23
	s_xor_b32 exec_lo, exec_lo, s24
	s_cbranch_execnz .LBB6_7433
.LBB6_6626:                             ;   in Loop: Header=BB6_4903 Depth=2
	s_or_b32 exec_lo, exec_lo, s24
	s_and_saveexec_b32 s23, s7
	s_cbranch_execz .LBB6_6628
.LBB6_6627:                             ;   in Loop: Header=BB6_4903 Depth=2
	v_lshlrev_b32_e32 v117, 8, v117
	s_delay_alu instid0(VALU_DEP_1) | instskip(SKIP_1) | instid1(VALU_DEP_2)
	v_and_b32_e32 v135, 0xff00, v117
	v_bfe_u32 v117, v117, 11, 4
	v_bfe_u32 v161, v135, 8, 3
	s_delay_alu instid0(VALU_DEP_2) | instskip(SKIP_1) | instid1(VALU_DEP_3)
	v_cmp_eq_u32_e32 vcc_lo, 0, v117
	v_lshlrev_b32_e32 v135, 16, v135
	v_clz_i32_u32_e32 v165, v161
	s_delay_alu instid0(VALU_DEP_2) | instskip(NEXT) | instid1(VALU_DEP_2)
	v_and_b32_e32 v135, 0x80000000, v135
	v_min_u32_e32 v165, 32, v165
	s_delay_alu instid0(VALU_DEP_1) | instskip(SKIP_1) | instid1(VALU_DEP_2)
	v_subrev_nc_u32_e32 v179, 28, v165
	v_sub_nc_u32_e32 v165, 29, v165
	v_lshlrev_b32_e32 v147, v179, v147
	s_delay_alu instid0(VALU_DEP_2) | instskip(NEXT) | instid1(VALU_DEP_2)
	v_cndmask_b32_e32 v117, v117, v165, vcc_lo
	v_and_b32_e32 v147, 7, v147
	s_delay_alu instid0(VALU_DEP_2) | instskip(NEXT) | instid1(VALU_DEP_2)
	v_lshl_add_u32 v117, v117, 23, 0x3b800000
	v_cndmask_b32_e32 v147, v161, v147, vcc_lo
	s_delay_alu instid0(VALU_DEP_1) | instskip(NEXT) | instid1(VALU_DEP_1)
	v_lshlrev_b32_e32 v147, 20, v147
	v_or3_b32 v135, v135, v117, v147
.LBB6_6628:                             ;   in Loop: Header=BB6_4903 Depth=2
	s_or_b32 exec_lo, exec_lo, s23
	v_lshrrev_b32_e32 v117, 24, v12
	s_mov_b32 s7, 0
	s_mov_b32 s24, exec_lo
                                        ; implicit-def: $sgpr23
	s_delay_alu instid0(VALU_DEP_1)
	v_cmpx_lt_i16_e32 0x7f, v117
	s_xor_b32 s24, exec_lo, s24
	s_cbranch_execnz .LBB6_7434
; %bb.6629:                             ;   in Loop: Header=BB6_4903 Depth=2
	s_or_saveexec_b32 s24, s24
	v_mov_b32_e32 v147, s23
	s_xor_b32 exec_lo, exec_lo, s24
	s_cbranch_execnz .LBB6_7437
.LBB6_6630:                             ;   in Loop: Header=BB6_4903 Depth=2
	s_or_b32 exec_lo, exec_lo, s24
	s_and_saveexec_b32 s23, s7
	s_cbranch_execz .LBB6_6632
.LBB6_6631:                             ;   in Loop: Header=BB6_4903 Depth=2
	v_bfe_u32 v147, v12, 24, 3
	s_delay_alu instid0(VALU_DEP_1) | instskip(NEXT) | instid1(VALU_DEP_1)
	v_clz_i32_u32_e32 v161, v147
	v_min_u32_e32 v161, 32, v161
	s_delay_alu instid0(VALU_DEP_1) | instskip(SKIP_1) | instid1(VALU_DEP_2)
	v_subrev_nc_u32_e32 v165, 28, v161
	v_sub_nc_u32_e32 v161, 29, v161
	v_lshlrev_b32_e32 v117, v165, v117
	v_bfe_u32 v165, v12, 27, 4
	v_and_b32_e32 v12, 0x80000000, v12
	s_delay_alu instid0(VALU_DEP_3) | instskip(NEXT) | instid1(VALU_DEP_3)
	v_and_b32_e32 v117, 7, v117
	v_cmp_eq_u32_e32 vcc_lo, 0, v165
	v_cndmask_b32_e32 v161, v165, v161, vcc_lo
	s_delay_alu instid0(VALU_DEP_3) | instskip(NEXT) | instid1(VALU_DEP_2)
	v_cndmask_b32_e32 v117, v147, v117, vcc_lo
	v_lshl_add_u32 v147, v161, 23, 0x3b800000
	s_delay_alu instid0(VALU_DEP_2) | instskip(NEXT) | instid1(VALU_DEP_1)
	v_lshlrev_b32_e32 v117, 20, v117
	v_or3_b32 v147, v12, v147, v117
.LBB6_6632:                             ;   in Loop: Header=BB6_4903 Depth=2
	s_or_b32 exec_lo, exec_lo, s23
	s_delay_alu instid0(VALU_DEP_1) | instskip(NEXT) | instid1(VALU_DEP_1)
	v_add_f32_e32 v117, v135, v147
	v_and_b32_e32 v12, 0x7f800000, v117
	s_delay_alu instid0(VALU_DEP_1)
	v_cmp_ne_u32_e32 vcc_lo, 0x7f800000, v12
	v_mov_b32_e32 v12, 0x80
	s_and_saveexec_b32 s23, vcc_lo
	s_cbranch_execz .LBB6_6640
; %bb.6633:                             ;   in Loop: Header=BB6_4903 Depth=2
	v_mov_b32_e32 v12, 0
	s_mov_b32 s24, exec_lo
	v_cmpx_ne_u32_e32 0, v117
	s_cbranch_execz .LBB6_6639
; %bb.6634:                             ;   in Loop: Header=BB6_4903 Depth=2
	v_bfe_u32 v12, v117, 23, 8
	v_and_b32_e32 v135, 0x7fffff, v117
	s_delay_alu instid0(VALU_DEP_2) | instskip(SKIP_1) | instid1(VALU_DEP_3)
	v_sub_nc_u32_e32 v147, 0x78, v12
	v_cmp_gt_u32_e32 vcc_lo, 0x79, v12
	v_or_b32_e32 v161, 0x800000, v135
	s_delay_alu instid0(VALU_DEP_3) | instskip(SKIP_2) | instid1(VALU_DEP_3)
	v_cndmask_b32_e32 v147, 0, v147, vcc_lo
	v_cmp_eq_u32_e32 vcc_lo, 0, v12
	v_add_nc_u32_e32 v12, 0xffffff89, v12
	v_cndmask_b32_e64 v147, v147, 0x77, vcc_lo
	v_cndmask_b32_e32 v135, v161, v135, vcc_lo
	s_delay_alu instid0(VALU_DEP_3) | instskip(NEXT) | instid1(VALU_DEP_3)
	v_cndmask_b32_e64 v12, v12, 0xffffff8a, vcc_lo
	v_lshl_add_u32 v161, 0x100000, v147, -1
	s_delay_alu instid0(VALU_DEP_3) | instskip(SKIP_1) | instid1(VALU_DEP_4)
	v_lshrrev_b32_e32 v165, v147, v135
	v_lshlrev_b32_e64 v183, v147, 0x80000
	v_add_nc_u32_e32 v147, v147, v12
	s_delay_alu instid0(VALU_DEP_4) | instskip(NEXT) | instid1(VALU_DEP_4)
	v_and_b32_e32 v135, v161, v135
	v_bfe_u32 v179, v165, 20, 1
	s_delay_alu instid0(VALU_DEP_2) | instskip(NEXT) | instid1(VALU_DEP_2)
	v_cmp_eq_u32_e64 s7, v135, v183
	v_add_nc_u32_e32 v161, -1, v179
	s_delay_alu instid0(VALU_DEP_1) | instskip(SKIP_2) | instid1(VALU_DEP_2)
	v_cndmask_b32_e64 v135, 0, v161, s7
	v_lshrrev_b32_e32 v161, 23, v165
	s_mov_b32 s7, exec_lo
	v_add_nc_u32_e32 v135, v135, v165
	s_delay_alu instid0(VALU_DEP_2) | instskip(NEXT) | instid1(VALU_DEP_2)
	v_xor_b32_e32 v161, 1, v161
	v_and_b32_e32 v12, 0xfffff, v135
	s_delay_alu instid0(VALU_DEP_1) | instskip(NEXT) | instid1(VALU_DEP_3)
	v_add_nc_u32_e32 v135, v12, v165
                                        ; implicit-def: $vgpr12
	v_cmpx_ne_u32_e64 v147, v161
	s_xor_b32 s7, exec_lo, s7
; %bb.6635:                             ;   in Loop: Header=BB6_4903 Depth=2
	s_delay_alu instid0(VALU_DEP_2) | instskip(SKIP_2) | instid1(VALU_DEP_2)
	v_cmp_lt_u32_e32 vcc_lo, 0xffffff, v135
	v_sub_nc_u32_e32 v12, v147, v161
	v_cndmask_b32_e64 v147, 0, 1, vcc_lo
	v_add_co_ci_u32_e32 v12, vcc_lo, 0, v12, vcc_lo
	s_delay_alu instid0(VALU_DEP_2)
	v_lshrrev_b32_e32 v135, v147, v135
; %bb.6636:                             ;   in Loop: Header=BB6_4903 Depth=2
	s_and_not1_saveexec_b32 s7, s7
; %bb.6637:                             ;   in Loop: Header=BB6_4903 Depth=2
	s_delay_alu instid0(VALU_DEP_1)
	v_bfe_u32 v12, v135, 23, 1
; %bb.6638:                             ;   in Loop: Header=BB6_4903 Depth=2
	s_or_b32 exec_lo, exec_lo, s7
	v_lshrrev_b32_e32 v135, 20, v135
	s_delay_alu instid0(VALU_DEP_2) | instskip(SKIP_2) | instid1(VALU_DEP_4)
	v_cmp_gt_i32_e32 vcc_lo, 16, v12
	v_lshrrev_b32_e32 v117, 24, v117
	v_min_i32_e32 v147, 15, v12
	v_cndmask_b32_e32 v135, 7, v135, vcc_lo
	s_delay_alu instid0(VALU_DEP_3) | instskip(NEXT) | instid1(VALU_DEP_3)
	v_and_b32_e32 v117, 0x80, v117
	v_lshlrev_b32_e32 v147, 3, v147
	s_delay_alu instid0(VALU_DEP_3) | instskip(SKIP_1) | instid1(VALU_DEP_2)
	v_and_b32_e32 v161, 7, v135
	v_or_b32_e32 v12, v12, v135
	v_or3_b32 v117, v147, v117, v161
	s_delay_alu instid0(VALU_DEP_2) | instskip(NEXT) | instid1(VALU_DEP_2)
	v_cmp_ne_u32_e32 vcc_lo, 0, v12
	v_cndmask_b32_e32 v12, 0, v117, vcc_lo
.LBB6_6639:                             ;   in Loop: Header=BB6_4903 Depth=2
	s_or_b32 exec_lo, exec_lo, s24
.LBB6_6640:                             ;   in Loop: Header=BB6_4903 Depth=2
	s_delay_alu instid0(SALU_CYCLE_1) | instskip(SKIP_3) | instid1(VALU_DEP_1)
	s_or_b32 exec_lo, exec_lo, s23
	v_or_b32_e32 v129, v129, v116
	s_mov_b32 s7, 0
	s_mov_b32 s24, exec_lo
                                        ; implicit-def: $sgpr23
	v_and_b32_e32 v117, 0xff, v129
	s_delay_alu instid0(VALU_DEP_1)
	v_cmpx_lt_i16_e32 0x7f, v117
	s_xor_b32 s24, exec_lo, s24
	s_cbranch_execnz .LBB6_7438
; %bb.6641:                             ;   in Loop: Header=BB6_4903 Depth=2
	s_or_saveexec_b32 s24, s24
	v_mov_b32_e32 v116, s23
	s_xor_b32 exec_lo, exec_lo, s24
	s_cbranch_execnz .LBB6_7441
.LBB6_6642:                             ;   in Loop: Header=BB6_4903 Depth=2
	s_or_b32 exec_lo, exec_lo, s24
	s_and_saveexec_b32 s23, s7
	s_cbranch_execz .LBB6_6644
.LBB6_6643:                             ;   in Loop: Header=BB6_4903 Depth=2
	v_and_b32_e32 v116, 7, v129
	v_bfe_u32 v147, v129, 3, 4
	s_delay_alu instid0(VALU_DEP_2) | instskip(NEXT) | instid1(VALU_DEP_2)
	v_clz_i32_u32_e32 v117, v116
	v_cmp_eq_u32_e32 vcc_lo, 0, v147
	s_delay_alu instid0(VALU_DEP_2) | instskip(NEXT) | instid1(VALU_DEP_1)
	v_min_u32_e32 v117, 32, v117
	v_subrev_nc_u32_e32 v135, 28, v117
	v_sub_nc_u32_e32 v117, 29, v117
	s_delay_alu instid0(VALU_DEP_2) | instskip(NEXT) | instid1(VALU_DEP_1)
	v_lshlrev_b32_e32 v135, v135, v129
	v_and_b32_e32 v135, 7, v135
	s_delay_alu instid0(VALU_DEP_1) | instskip(NEXT) | instid1(VALU_DEP_4)
	v_dual_cndmask_b32 v116, v116, v135 :: v_dual_lshlrev_b32 v161, 24, v129
	v_cndmask_b32_e32 v117, v147, v117, vcc_lo
	s_delay_alu instid0(VALU_DEP_2) | instskip(NEXT) | instid1(VALU_DEP_3)
	v_and_b32_e32 v135, 0x80000000, v161
	v_lshlrev_b32_e32 v116, 20, v116
	s_delay_alu instid0(VALU_DEP_3) | instskip(NEXT) | instid1(VALU_DEP_1)
	v_lshl_add_u32 v117, v117, 23, 0x3b800000
	v_or3_b32 v116, v135, v117, v116
.LBB6_6644:                             ;   in Loop: Header=BB6_4903 Depth=2
	s_or_b32 exec_lo, exec_lo, s23
	v_and_b32_e32 v135, 0xff, v13
	s_mov_b32 s7, 0
	s_mov_b32 s24, exec_lo
                                        ; implicit-def: $sgpr23
	s_delay_alu instid0(VALU_DEP_1)
	v_cmpx_lt_i16_e64 0x7f, v135
	s_xor_b32 s24, exec_lo, s24
	s_cbranch_execnz .LBB6_7442
; %bb.6645:                             ;   in Loop: Header=BB6_4903 Depth=2
	s_or_saveexec_b32 s24, s24
	v_mov_b32_e32 v117, s23
	s_xor_b32 exec_lo, exec_lo, s24
	s_cbranch_execnz .LBB6_7445
.LBB6_6646:                             ;   in Loop: Header=BB6_4903 Depth=2
	s_or_b32 exec_lo, exec_lo, s24
	s_and_saveexec_b32 s23, s7
	s_cbranch_execz .LBB6_6648
.LBB6_6647:                             ;   in Loop: Header=BB6_4903 Depth=2
	v_and_b32_e32 v117, 7, v13
	v_bfe_u32 v161, v13, 3, 4
	v_lshlrev_b32_e32 v165, 24, v13
	s_delay_alu instid0(VALU_DEP_3) | instskip(NEXT) | instid1(VALU_DEP_3)
	v_clz_i32_u32_e32 v135, v117
	v_cmp_eq_u32_e32 vcc_lo, 0, v161
	s_delay_alu instid0(VALU_DEP_2) | instskip(NEXT) | instid1(VALU_DEP_1)
	v_min_u32_e32 v135, 32, v135
	v_subrev_nc_u32_e32 v147, 28, v135
	v_sub_nc_u32_e32 v135, 29, v135
	s_delay_alu instid0(VALU_DEP_2) | instskip(NEXT) | instid1(VALU_DEP_2)
	v_lshlrev_b32_e32 v147, v147, v13
	v_cndmask_b32_e32 v135, v161, v135, vcc_lo
	s_delay_alu instid0(VALU_DEP_2) | instskip(NEXT) | instid1(VALU_DEP_2)
	v_and_b32_e32 v147, 7, v147
	v_lshl_add_u32 v135, v135, 23, 0x3b800000
	s_delay_alu instid0(VALU_DEP_2) | instskip(SKIP_1) | instid1(VALU_DEP_2)
	v_cndmask_b32_e32 v117, v117, v147, vcc_lo
	v_and_b32_e32 v147, 0x80000000, v165
	v_lshlrev_b32_e32 v117, 20, v117
	s_delay_alu instid0(VALU_DEP_1)
	v_or3_b32 v117, v147, v135, v117
.LBB6_6648:                             ;   in Loop: Header=BB6_4903 Depth=2
	s_or_b32 exec_lo, exec_lo, s23
	s_delay_alu instid0(VALU_DEP_1) | instskip(NEXT) | instid1(VALU_DEP_1)
	v_add_f32_e32 v117, v116, v117
	v_and_b32_e32 v116, 0x7f800000, v117
	s_delay_alu instid0(VALU_DEP_1)
	v_cmp_ne_u32_e32 vcc_lo, 0x7f800000, v116
	v_mov_b32_e32 v116, 0x80
	s_and_saveexec_b32 s23, vcc_lo
	s_cbranch_execz .LBB6_6656
; %bb.6649:                             ;   in Loop: Header=BB6_4903 Depth=2
	v_mov_b32_e32 v116, 0
	s_mov_b32 s24, exec_lo
	v_cmpx_ne_u32_e32 0, v117
	s_cbranch_execz .LBB6_6655
; %bb.6650:                             ;   in Loop: Header=BB6_4903 Depth=2
	v_bfe_u32 v116, v117, 23, 8
	v_and_b32_e32 v135, 0x7fffff, v117
	s_delay_alu instid0(VALU_DEP_2) | instskip(SKIP_1) | instid1(VALU_DEP_3)
	v_sub_nc_u32_e32 v147, 0x78, v116
	v_cmp_gt_u32_e32 vcc_lo, 0x79, v116
	v_or_b32_e32 v161, 0x800000, v135
	s_delay_alu instid0(VALU_DEP_3) | instskip(SKIP_2) | instid1(VALU_DEP_3)
	v_cndmask_b32_e32 v147, 0, v147, vcc_lo
	v_cmp_eq_u32_e32 vcc_lo, 0, v116
	v_add_nc_u32_e32 v116, 0xffffff89, v116
	v_cndmask_b32_e64 v147, v147, 0x77, vcc_lo
	v_cndmask_b32_e32 v135, v161, v135, vcc_lo
	s_delay_alu instid0(VALU_DEP_3) | instskip(NEXT) | instid1(VALU_DEP_3)
	v_cndmask_b32_e64 v116, v116, 0xffffff8a, vcc_lo
	v_lshl_add_u32 v161, 0x100000, v147, -1
	s_delay_alu instid0(VALU_DEP_3) | instskip(SKIP_1) | instid1(VALU_DEP_4)
	v_lshrrev_b32_e32 v165, v147, v135
	v_lshlrev_b32_e64 v183, v147, 0x80000
	v_add_nc_u32_e32 v147, v147, v116
	s_delay_alu instid0(VALU_DEP_4) | instskip(NEXT) | instid1(VALU_DEP_4)
	v_and_b32_e32 v135, v161, v135
	v_bfe_u32 v179, v165, 20, 1
	s_delay_alu instid0(VALU_DEP_2) | instskip(NEXT) | instid1(VALU_DEP_2)
	v_cmp_eq_u32_e64 s7, v135, v183
	v_add_nc_u32_e32 v161, -1, v179
	s_delay_alu instid0(VALU_DEP_1) | instskip(SKIP_2) | instid1(VALU_DEP_2)
	v_cndmask_b32_e64 v135, 0, v161, s7
	v_lshrrev_b32_e32 v161, 23, v165
	s_mov_b32 s7, exec_lo
	v_add_nc_u32_e32 v135, v135, v165
	s_delay_alu instid0(VALU_DEP_2) | instskip(NEXT) | instid1(VALU_DEP_2)
	v_xor_b32_e32 v161, 1, v161
	v_and_b32_e32 v116, 0xfffff, v135
	s_delay_alu instid0(VALU_DEP_1) | instskip(NEXT) | instid1(VALU_DEP_3)
	v_add_nc_u32_e32 v135, v116, v165
                                        ; implicit-def: $vgpr116
	v_cmpx_ne_u32_e64 v147, v161
	s_xor_b32 s7, exec_lo, s7
; %bb.6651:                             ;   in Loop: Header=BB6_4903 Depth=2
	s_delay_alu instid0(VALU_DEP_2) | instskip(SKIP_2) | instid1(VALU_DEP_2)
	v_cmp_lt_u32_e32 vcc_lo, 0xffffff, v135
	v_sub_nc_u32_e32 v116, v147, v161
	v_cndmask_b32_e64 v147, 0, 1, vcc_lo
	v_add_co_ci_u32_e32 v116, vcc_lo, 0, v116, vcc_lo
	s_delay_alu instid0(VALU_DEP_2)
	v_lshrrev_b32_e32 v135, v147, v135
; %bb.6652:                             ;   in Loop: Header=BB6_4903 Depth=2
	s_and_not1_saveexec_b32 s7, s7
; %bb.6653:                             ;   in Loop: Header=BB6_4903 Depth=2
	s_delay_alu instid0(VALU_DEP_1)
	v_bfe_u32 v116, v135, 23, 1
; %bb.6654:                             ;   in Loop: Header=BB6_4903 Depth=2
	s_or_b32 exec_lo, exec_lo, s7
	v_lshrrev_b32_e32 v135, 20, v135
	s_delay_alu instid0(VALU_DEP_2) | instskip(SKIP_2) | instid1(VALU_DEP_4)
	v_cmp_gt_i32_e32 vcc_lo, 16, v116
	v_lshrrev_b32_e32 v117, 24, v117
	v_min_i32_e32 v147, 15, v116
	v_cndmask_b32_e32 v135, 7, v135, vcc_lo
	s_delay_alu instid0(VALU_DEP_3) | instskip(NEXT) | instid1(VALU_DEP_3)
	v_and_b32_e32 v117, 0x80, v117
	v_lshlrev_b32_e32 v147, 3, v147
	s_delay_alu instid0(VALU_DEP_3) | instskip(SKIP_1) | instid1(VALU_DEP_2)
	v_and_b32_e32 v161, 7, v135
	v_or_b32_e32 v116, v116, v135
	v_or3_b32 v117, v147, v117, v161
	s_delay_alu instid0(VALU_DEP_2) | instskip(NEXT) | instid1(VALU_DEP_2)
	v_cmp_ne_u32_e32 vcc_lo, 0, v116
	v_cndmask_b32_e32 v116, 0, v117, vcc_lo
.LBB6_6655:                             ;   in Loop: Header=BB6_4903 Depth=2
	s_or_b32 exec_lo, exec_lo, s24
.LBB6_6656:                             ;   in Loop: Header=BB6_4903 Depth=2
	s_delay_alu instid0(SALU_CYCLE_1) | instskip(SKIP_3) | instid1(VALU_DEP_1)
	s_or_b32 exec_lo, exec_lo, s23
	v_lshrrev_b16 v135, 8, v129
	s_mov_b32 s7, 0
	s_mov_b32 s24, exec_lo
                                        ; implicit-def: $sgpr23
	v_cmpx_lt_i16_e64 0x7f, v135
	s_xor_b32 s24, exec_lo, s24
	s_cbranch_execnz .LBB6_7446
; %bb.6657:                             ;   in Loop: Header=BB6_4903 Depth=2
	s_or_saveexec_b32 s24, s24
	v_mov_b32_e32 v117, s23
	s_xor_b32 exec_lo, exec_lo, s24
	s_cbranch_execnz .LBB6_7449
.LBB6_6658:                             ;   in Loop: Header=BB6_4903 Depth=2
	s_or_b32 exec_lo, exec_lo, s24
	s_and_saveexec_b32 s23, s7
	s_cbranch_execz .LBB6_6660
.LBB6_6659:                             ;   in Loop: Header=BB6_4903 Depth=2
	v_and_b32_e32 v117, 0xffff, v135
	v_lshlrev_b32_e32 v135, 24, v135
	s_delay_alu instid0(VALU_DEP_2) | instskip(NEXT) | instid1(VALU_DEP_2)
	v_and_b32_e32 v147, 7, v117
	v_and_b32_e32 v135, 0x80000000, v135
	s_delay_alu instid0(VALU_DEP_2) | instskip(NEXT) | instid1(VALU_DEP_1)
	v_clz_i32_u32_e32 v161, v147
	v_min_u32_e32 v161, 32, v161
	s_delay_alu instid0(VALU_DEP_1) | instskip(SKIP_1) | instid1(VALU_DEP_2)
	v_subrev_nc_u32_e32 v165, 28, v161
	v_sub_nc_u32_e32 v161, 29, v161
	v_lshlrev_b32_e32 v165, v165, v117
	v_bfe_u32 v117, v117, 3, 4
	s_delay_alu instid0(VALU_DEP_2) | instskip(NEXT) | instid1(VALU_DEP_2)
	v_and_b32_e32 v165, 7, v165
	v_cmp_eq_u32_e32 vcc_lo, 0, v117
	v_cndmask_b32_e32 v117, v117, v161, vcc_lo
	s_delay_alu instid0(VALU_DEP_3) | instskip(NEXT) | instid1(VALU_DEP_2)
	v_cndmask_b32_e32 v147, v147, v165, vcc_lo
	v_lshl_add_u32 v117, v117, 23, 0x3b800000
	s_delay_alu instid0(VALU_DEP_2) | instskip(NEXT) | instid1(VALU_DEP_1)
	v_lshlrev_b32_e32 v147, 20, v147
	v_or3_b32 v117, v135, v117, v147
.LBB6_6660:                             ;   in Loop: Header=BB6_4903 Depth=2
	s_or_b32 exec_lo, exec_lo, s23
	v_lshrrev_b16 v135, 8, v13
	s_mov_b32 s7, 0
	s_mov_b32 s24, exec_lo
                                        ; implicit-def: $sgpr23
	s_delay_alu instid0(VALU_DEP_1)
	v_cmpx_lt_i16_e64 0x7f, v135
	s_xor_b32 s24, exec_lo, s24
	s_cbranch_execnz .LBB6_7450
; %bb.6661:                             ;   in Loop: Header=BB6_4903 Depth=2
	s_or_saveexec_b32 s24, s24
	v_mov_b32_e32 v147, s23
	s_xor_b32 exec_lo, exec_lo, s24
	s_cbranch_execnz .LBB6_7453
.LBB6_6662:                             ;   in Loop: Header=BB6_4903 Depth=2
	s_or_b32 exec_lo, exec_lo, s24
	s_and_saveexec_b32 s23, s7
	s_cbranch_execz .LBB6_6664
.LBB6_6663:                             ;   in Loop: Header=BB6_4903 Depth=2
	v_and_b32_e32 v147, 0xffff, v135
	v_lshlrev_b32_e32 v135, 24, v135
	s_delay_alu instid0(VALU_DEP_2) | instskip(NEXT) | instid1(VALU_DEP_2)
	v_and_b32_e32 v161, 7, v147
	v_and_b32_e32 v135, 0x80000000, v135
	s_delay_alu instid0(VALU_DEP_2) | instskip(NEXT) | instid1(VALU_DEP_1)
	v_clz_i32_u32_e32 v165, v161
	v_min_u32_e32 v165, 32, v165
	s_delay_alu instid0(VALU_DEP_1) | instskip(SKIP_1) | instid1(VALU_DEP_2)
	v_subrev_nc_u32_e32 v179, 28, v165
	v_sub_nc_u32_e32 v165, 29, v165
	v_lshlrev_b32_e32 v179, v179, v147
	v_bfe_u32 v147, v147, 3, 4
	s_delay_alu instid0(VALU_DEP_2) | instskip(NEXT) | instid1(VALU_DEP_2)
	v_and_b32_e32 v179, 7, v179
	v_cmp_eq_u32_e32 vcc_lo, 0, v147
	v_cndmask_b32_e32 v147, v147, v165, vcc_lo
	s_delay_alu instid0(VALU_DEP_3) | instskip(NEXT) | instid1(VALU_DEP_2)
	v_cndmask_b32_e32 v161, v161, v179, vcc_lo
	v_lshl_add_u32 v147, v147, 23, 0x3b800000
	s_delay_alu instid0(VALU_DEP_2) | instskip(NEXT) | instid1(VALU_DEP_1)
	v_lshlrev_b32_e32 v161, 20, v161
	v_or3_b32 v147, v135, v147, v161
.LBB6_6664:                             ;   in Loop: Header=BB6_4903 Depth=2
	s_or_b32 exec_lo, exec_lo, s23
	s_delay_alu instid0(VALU_DEP_1) | instskip(NEXT) | instid1(VALU_DEP_1)
	v_add_f32_e32 v135, v117, v147
	v_and_b32_e32 v117, 0x7f800000, v135
	s_delay_alu instid0(VALU_DEP_1)
	v_cmp_ne_u32_e32 vcc_lo, 0x7f800000, v117
	v_mov_b32_e32 v117, 0x8000
	s_and_saveexec_b32 s23, vcc_lo
	s_cbranch_execz .LBB6_6672
; %bb.6665:                             ;   in Loop: Header=BB6_4903 Depth=2
	v_mov_b32_e32 v117, 0
	s_mov_b32 s24, exec_lo
	v_cmpx_ne_u32_e32 0, v135
	s_cbranch_execz .LBB6_6671
; %bb.6666:                             ;   in Loop: Header=BB6_4903 Depth=2
	v_bfe_u32 v117, v135, 23, 8
	v_and_b32_e32 v147, 0x7fffff, v135
	s_delay_alu instid0(VALU_DEP_2) | instskip(SKIP_1) | instid1(VALU_DEP_3)
	v_sub_nc_u32_e32 v161, 0x78, v117
	v_cmp_gt_u32_e32 vcc_lo, 0x79, v117
	v_or_b32_e32 v165, 0x800000, v147
	s_delay_alu instid0(VALU_DEP_3) | instskip(SKIP_2) | instid1(VALU_DEP_3)
	v_cndmask_b32_e32 v161, 0, v161, vcc_lo
	v_cmp_eq_u32_e32 vcc_lo, 0, v117
	v_add_nc_u32_e32 v117, 0xffffff89, v117
	v_cndmask_b32_e64 v161, v161, 0x77, vcc_lo
	v_cndmask_b32_e32 v147, v165, v147, vcc_lo
	s_delay_alu instid0(VALU_DEP_3) | instskip(NEXT) | instid1(VALU_DEP_3)
	v_cndmask_b32_e64 v117, v117, 0xffffff8a, vcc_lo
	v_lshl_add_u32 v165, 0x100000, v161, -1
	s_delay_alu instid0(VALU_DEP_3) | instskip(SKIP_1) | instid1(VALU_DEP_4)
	v_lshrrev_b32_e32 v179, v161, v147
	v_lshlrev_b32_e64 v45, v161, 0x80000
	v_add_nc_u32_e32 v161, v161, v117
	s_delay_alu instid0(VALU_DEP_4) | instskip(NEXT) | instid1(VALU_DEP_4)
	v_and_b32_e32 v147, v165, v147
	v_bfe_u32 v183, v179, 20, 1
	s_delay_alu instid0(VALU_DEP_2) | instskip(NEXT) | instid1(VALU_DEP_2)
	v_cmp_eq_u32_e64 s7, v147, v45
	v_add_nc_u32_e32 v165, -1, v183
	s_delay_alu instid0(VALU_DEP_1) | instskip(SKIP_2) | instid1(VALU_DEP_2)
	v_cndmask_b32_e64 v147, 0, v165, s7
	v_lshrrev_b32_e32 v165, 23, v179
	s_mov_b32 s7, exec_lo
	v_add_nc_u32_e32 v147, v147, v179
	s_delay_alu instid0(VALU_DEP_2) | instskip(NEXT) | instid1(VALU_DEP_2)
	v_xor_b32_e32 v165, 1, v165
	v_and_b32_e32 v117, 0xfffff, v147
	s_delay_alu instid0(VALU_DEP_1) | instskip(NEXT) | instid1(VALU_DEP_3)
	v_add_nc_u32_e32 v147, v117, v179
                                        ; implicit-def: $vgpr117
	v_cmpx_ne_u32_e64 v161, v165
	s_xor_b32 s7, exec_lo, s7
; %bb.6667:                             ;   in Loop: Header=BB6_4903 Depth=2
	s_delay_alu instid0(VALU_DEP_2) | instskip(SKIP_2) | instid1(VALU_DEP_2)
	v_cmp_lt_u32_e32 vcc_lo, 0xffffff, v147
	v_sub_nc_u32_e32 v117, v161, v165
	v_cndmask_b32_e64 v161, 0, 1, vcc_lo
	v_add_co_ci_u32_e32 v117, vcc_lo, 0, v117, vcc_lo
	s_delay_alu instid0(VALU_DEP_2)
	v_lshrrev_b32_e32 v147, v161, v147
; %bb.6668:                             ;   in Loop: Header=BB6_4903 Depth=2
	s_and_not1_saveexec_b32 s7, s7
; %bb.6669:                             ;   in Loop: Header=BB6_4903 Depth=2
	s_delay_alu instid0(VALU_DEP_1)
	v_bfe_u32 v117, v147, 23, 1
; %bb.6670:                             ;   in Loop: Header=BB6_4903 Depth=2
	s_or_b32 exec_lo, exec_lo, s7
	v_lshrrev_b32_e32 v147, 20, v147
	s_delay_alu instid0(VALU_DEP_2) | instskip(SKIP_2) | instid1(VALU_DEP_3)
	v_min_i32_e32 v161, 15, v117
	v_cmp_gt_i32_e32 vcc_lo, 16, v117
	v_lshrrev_b32_e32 v135, 24, v135
	v_lshlrev_b32_e32 v161, 3, v161
	v_cndmask_b32_e32 v147, 7, v147, vcc_lo
	s_delay_alu instid0(VALU_DEP_3) | instskip(NEXT) | instid1(VALU_DEP_3)
	v_and_b32_e32 v135, 0x80, v135
	v_and_b32_e32 v161, 0xf8, v161
	s_delay_alu instid0(VALU_DEP_3) | instskip(SKIP_1) | instid1(VALU_DEP_2)
	v_and_b32_e32 v165, 7, v147
	v_or_b32_e32 v117, v117, v147
	v_or3_b32 v135, v135, v161, v165
	s_delay_alu instid0(VALU_DEP_2) | instskip(NEXT) | instid1(VALU_DEP_2)
	v_cmp_ne_u32_e32 vcc_lo, 0, v117
	v_lshlrev_b32_e32 v135, 8, v135
	s_delay_alu instid0(VALU_DEP_1)
	v_cndmask_b32_e32 v117, 0, v135, vcc_lo
.LBB6_6671:                             ;   in Loop: Header=BB6_4903 Depth=2
	s_or_b32 exec_lo, exec_lo, s24
.LBB6_6672:                             ;   in Loop: Header=BB6_4903 Depth=2
	s_delay_alu instid0(SALU_CYCLE_1) | instskip(SKIP_3) | instid1(VALU_DEP_1)
	s_or_b32 exec_lo, exec_lo, s23
	v_or_b32_e32 v118, v118, v114
	s_mov_b32 s7, 0
	s_mov_b32 s24, exec_lo
                                        ; implicit-def: $sgpr23
	v_and_b32_e32 v135, 0xff, v118
	s_delay_alu instid0(VALU_DEP_1)
	v_cmpx_lt_i16_e64 0x7f, v135
	s_xor_b32 s24, exec_lo, s24
	s_cbranch_execnz .LBB6_7454
; %bb.6673:                             ;   in Loop: Header=BB6_4903 Depth=2
	s_or_saveexec_b32 s24, s24
	v_mov_b32_e32 v114, s23
	s_xor_b32 exec_lo, exec_lo, s24
	s_cbranch_execnz .LBB6_7457
.LBB6_6674:                             ;   in Loop: Header=BB6_4903 Depth=2
	s_or_b32 exec_lo, exec_lo, s24
	v_lshl_or_b32 v118, v118, 16, v129
	s_and_saveexec_b32 s23, s7
	s_cbranch_execz .LBB6_6676
.LBB6_6675:                             ;   in Loop: Header=BB6_4903 Depth=2
	s_delay_alu instid0(VALU_DEP_1) | instskip(SKIP_1) | instid1(VALU_DEP_2)
	v_bfe_u32 v114, v118, 16, 3
	v_lshrrev_b32_e32 v135, 16, v118
	v_clz_i32_u32_e32 v129, v114
	s_delay_alu instid0(VALU_DEP_1) | instskip(NEXT) | instid1(VALU_DEP_1)
	v_min_u32_e32 v129, 32, v129
	v_subrev_nc_u32_e32 v147, 28, v129
	v_sub_nc_u32_e32 v129, 29, v129
	s_delay_alu instid0(VALU_DEP_2) | instskip(SKIP_1) | instid1(VALU_DEP_2)
	v_lshlrev_b32_e32 v135, v147, v135
	v_bfe_u32 v147, v118, 19, 4
	v_and_b32_e32 v135, 7, v135
	s_delay_alu instid0(VALU_DEP_2) | instskip(NEXT) | instid1(VALU_DEP_2)
	v_cmp_eq_u32_e32 vcc_lo, 0, v147
	v_dual_cndmask_b32 v114, v114, v135 :: v_dual_lshlrev_b32 v161, 8, v118
	v_cndmask_b32_e32 v129, v147, v129, vcc_lo
	s_delay_alu instid0(VALU_DEP_2) | instskip(NEXT) | instid1(VALU_DEP_3)
	v_and_b32_e32 v135, 0x80000000, v161
	v_lshlrev_b32_e32 v114, 20, v114
	s_delay_alu instid0(VALU_DEP_3) | instskip(NEXT) | instid1(VALU_DEP_1)
	v_lshl_add_u32 v129, v129, 23, 0x3b800000
	v_or3_b32 v114, v135, v129, v114
.LBB6_6676:                             ;   in Loop: Header=BB6_4903 Depth=2
	s_or_b32 exec_lo, exec_lo, s23
	v_lshrrev_b32_e32 v129, 16, v13
	s_mov_b32 s7, 0
	s_mov_b32 s24, exec_lo
                                        ; implicit-def: $sgpr23
	s_delay_alu instid0(VALU_DEP_1) | instskip(NEXT) | instid1(VALU_DEP_1)
	v_and_b32_e32 v147, 0xff, v129
	v_cmpx_lt_i16_e64 0x7f, v147
	s_xor_b32 s24, exec_lo, s24
	s_cbranch_execnz .LBB6_7458
; %bb.6677:                             ;   in Loop: Header=BB6_4903 Depth=2
	s_or_saveexec_b32 s24, s24
	v_mov_b32_e32 v135, s23
	s_xor_b32 exec_lo, exec_lo, s24
	s_cbranch_execnz .LBB6_7461
.LBB6_6678:                             ;   in Loop: Header=BB6_4903 Depth=2
	s_or_b32 exec_lo, exec_lo, s24
	s_and_saveexec_b32 s23, s7
	s_cbranch_execz .LBB6_6680
.LBB6_6679:                             ;   in Loop: Header=BB6_4903 Depth=2
	v_bfe_u32 v135, v13, 16, 3
	v_lshlrev_b32_e32 v165, 8, v13
	s_delay_alu instid0(VALU_DEP_2) | instskip(NEXT) | instid1(VALU_DEP_1)
	v_clz_i32_u32_e32 v147, v135
	v_min_u32_e32 v147, 32, v147
	s_delay_alu instid0(VALU_DEP_1) | instskip(SKIP_1) | instid1(VALU_DEP_2)
	v_subrev_nc_u32_e32 v161, 28, v147
	v_sub_nc_u32_e32 v147, 29, v147
	v_lshlrev_b32_e32 v129, v161, v129
	v_bfe_u32 v161, v13, 19, 4
	s_delay_alu instid0(VALU_DEP_2) | instskip(NEXT) | instid1(VALU_DEP_2)
	v_and_b32_e32 v129, 7, v129
	v_cmp_eq_u32_e32 vcc_lo, 0, v161
	v_cndmask_b32_e32 v147, v161, v147, vcc_lo
	s_delay_alu instid0(VALU_DEP_3) | instskip(SKIP_1) | instid1(VALU_DEP_3)
	v_cndmask_b32_e32 v129, v135, v129, vcc_lo
	v_and_b32_e32 v135, 0x80000000, v165
	v_lshl_add_u32 v147, v147, 23, 0x3b800000
	s_delay_alu instid0(VALU_DEP_3) | instskip(NEXT) | instid1(VALU_DEP_1)
	v_lshlrev_b32_e32 v129, 20, v129
	v_or3_b32 v135, v135, v147, v129
.LBB6_6680:                             ;   in Loop: Header=BB6_4903 Depth=2
	s_or_b32 exec_lo, exec_lo, s23
	s_delay_alu instid0(VALU_DEP_1) | instskip(NEXT) | instid1(VALU_DEP_1)
	v_add_f32_e32 v129, v114, v135
	v_and_b32_e32 v114, 0x7f800000, v129
	s_delay_alu instid0(VALU_DEP_1)
	v_cmp_ne_u32_e32 vcc_lo, 0x7f800000, v114
	v_mov_b32_e32 v114, 0x80
	s_and_saveexec_b32 s23, vcc_lo
	s_cbranch_execz .LBB6_6688
; %bb.6681:                             ;   in Loop: Header=BB6_4903 Depth=2
	v_mov_b32_e32 v114, 0
	s_mov_b32 s24, exec_lo
	v_cmpx_ne_u32_e32 0, v129
	s_cbranch_execz .LBB6_6687
; %bb.6682:                             ;   in Loop: Header=BB6_4903 Depth=2
	v_bfe_u32 v114, v129, 23, 8
	v_and_b32_e32 v135, 0x7fffff, v129
	s_delay_alu instid0(VALU_DEP_2) | instskip(SKIP_1) | instid1(VALU_DEP_3)
	v_sub_nc_u32_e32 v147, 0x78, v114
	v_cmp_gt_u32_e32 vcc_lo, 0x79, v114
	v_or_b32_e32 v161, 0x800000, v135
	s_delay_alu instid0(VALU_DEP_3) | instskip(SKIP_2) | instid1(VALU_DEP_3)
	v_cndmask_b32_e32 v147, 0, v147, vcc_lo
	v_cmp_eq_u32_e32 vcc_lo, 0, v114
	v_add_nc_u32_e32 v114, 0xffffff89, v114
	v_cndmask_b32_e64 v147, v147, 0x77, vcc_lo
	v_cndmask_b32_e32 v135, v161, v135, vcc_lo
	s_delay_alu instid0(VALU_DEP_3) | instskip(NEXT) | instid1(VALU_DEP_3)
	v_cndmask_b32_e64 v114, v114, 0xffffff8a, vcc_lo
	v_lshl_add_u32 v161, 0x100000, v147, -1
	s_delay_alu instid0(VALU_DEP_3) | instskip(SKIP_1) | instid1(VALU_DEP_4)
	v_lshrrev_b32_e32 v165, v147, v135
	v_lshlrev_b32_e64 v183, v147, 0x80000
	v_add_nc_u32_e32 v147, v147, v114
	s_delay_alu instid0(VALU_DEP_4) | instskip(NEXT) | instid1(VALU_DEP_4)
	v_and_b32_e32 v135, v161, v135
	v_bfe_u32 v179, v165, 20, 1
	s_delay_alu instid0(VALU_DEP_2) | instskip(NEXT) | instid1(VALU_DEP_2)
	v_cmp_eq_u32_e64 s7, v135, v183
	v_add_nc_u32_e32 v161, -1, v179
	s_delay_alu instid0(VALU_DEP_1) | instskip(SKIP_2) | instid1(VALU_DEP_2)
	v_cndmask_b32_e64 v135, 0, v161, s7
	v_lshrrev_b32_e32 v161, 23, v165
	s_mov_b32 s7, exec_lo
	v_add_nc_u32_e32 v135, v135, v165
	s_delay_alu instid0(VALU_DEP_2) | instskip(NEXT) | instid1(VALU_DEP_2)
	v_xor_b32_e32 v161, 1, v161
	v_and_b32_e32 v114, 0xfffff, v135
	s_delay_alu instid0(VALU_DEP_1) | instskip(NEXT) | instid1(VALU_DEP_3)
	v_add_nc_u32_e32 v135, v114, v165
                                        ; implicit-def: $vgpr114
	v_cmpx_ne_u32_e64 v147, v161
	s_xor_b32 s7, exec_lo, s7
; %bb.6683:                             ;   in Loop: Header=BB6_4903 Depth=2
	s_delay_alu instid0(VALU_DEP_2) | instskip(SKIP_2) | instid1(VALU_DEP_2)
	v_cmp_lt_u32_e32 vcc_lo, 0xffffff, v135
	v_sub_nc_u32_e32 v114, v147, v161
	v_cndmask_b32_e64 v147, 0, 1, vcc_lo
	v_add_co_ci_u32_e32 v114, vcc_lo, 0, v114, vcc_lo
	s_delay_alu instid0(VALU_DEP_2)
	v_lshrrev_b32_e32 v135, v147, v135
; %bb.6684:                             ;   in Loop: Header=BB6_4903 Depth=2
	s_and_not1_saveexec_b32 s7, s7
; %bb.6685:                             ;   in Loop: Header=BB6_4903 Depth=2
	s_delay_alu instid0(VALU_DEP_1)
	v_bfe_u32 v114, v135, 23, 1
; %bb.6686:                             ;   in Loop: Header=BB6_4903 Depth=2
	s_or_b32 exec_lo, exec_lo, s7
	v_lshrrev_b32_e32 v135, 20, v135
	s_delay_alu instid0(VALU_DEP_2) | instskip(SKIP_2) | instid1(VALU_DEP_3)
	v_min_i32_e32 v147, 15, v114
	v_cmp_gt_i32_e32 vcc_lo, 16, v114
	v_lshrrev_b32_e32 v129, 24, v129
	v_lshlrev_b32_e32 v147, 3, v147
	v_cndmask_b32_e32 v135, 7, v135, vcc_lo
	s_delay_alu instid0(VALU_DEP_3) | instskip(NEXT) | instid1(VALU_DEP_3)
	v_and_b32_e32 v129, 0x80, v129
	v_and_b32_e32 v147, 0xf8, v147
	s_delay_alu instid0(VALU_DEP_3) | instskip(SKIP_1) | instid1(VALU_DEP_2)
	v_and_b32_e32 v161, 7, v135
	v_or_b32_e32 v114, v114, v135
	v_or3_b32 v129, v147, v129, v161
	s_delay_alu instid0(VALU_DEP_2) | instskip(NEXT) | instid1(VALU_DEP_2)
	v_cmp_ne_u32_e32 vcc_lo, 0, v114
	v_cndmask_b32_e32 v114, 0, v129, vcc_lo
.LBB6_6687:                             ;   in Loop: Header=BB6_4903 Depth=2
	s_or_b32 exec_lo, exec_lo, s24
.LBB6_6688:                             ;   in Loop: Header=BB6_4903 Depth=2
	s_delay_alu instid0(SALU_CYCLE_1) | instskip(SKIP_3) | instid1(VALU_DEP_1)
	s_or_b32 exec_lo, exec_lo, s23
	v_lshrrev_b32_e32 v135, 24, v118
	s_mov_b32 s7, 0
	s_mov_b32 s24, exec_lo
                                        ; implicit-def: $sgpr23
	v_cmpx_lt_i16_e64 0x7f, v135
	s_xor_b32 s24, exec_lo, s24
	s_cbranch_execnz .LBB6_7462
; %bb.6689:                             ;   in Loop: Header=BB6_4903 Depth=2
	s_or_saveexec_b32 s24, s24
	v_mov_b32_e32 v129, s23
	s_xor_b32 exec_lo, exec_lo, s24
	s_cbranch_execnz .LBB6_7465
.LBB6_6690:                             ;   in Loop: Header=BB6_4903 Depth=2
	s_or_b32 exec_lo, exec_lo, s24
	s_and_saveexec_b32 s23, s7
	s_cbranch_execz .LBB6_6692
.LBB6_6691:                             ;   in Loop: Header=BB6_4903 Depth=2
	v_bfe_u32 v129, v118, 24, 3
	s_delay_alu instid0(VALU_DEP_1) | instskip(NEXT) | instid1(VALU_DEP_1)
	v_clz_i32_u32_e32 v147, v129
	v_min_u32_e32 v147, 32, v147
	s_delay_alu instid0(VALU_DEP_1) | instskip(SKIP_1) | instid1(VALU_DEP_2)
	v_subrev_nc_u32_e32 v161, 28, v147
	v_sub_nc_u32_e32 v147, 29, v147
	v_lshlrev_b32_e32 v135, v161, v135
	v_bfe_u32 v161, v118, 27, 4
	v_and_b32_e32 v118, 0x80000000, v118
	s_delay_alu instid0(VALU_DEP_3) | instskip(NEXT) | instid1(VALU_DEP_3)
	v_and_b32_e32 v135, 7, v135
	v_cmp_eq_u32_e32 vcc_lo, 0, v161
	v_cndmask_b32_e32 v147, v161, v147, vcc_lo
	s_delay_alu instid0(VALU_DEP_3) | instskip(NEXT) | instid1(VALU_DEP_2)
	v_cndmask_b32_e32 v129, v129, v135, vcc_lo
	v_lshl_add_u32 v135, v147, 23, 0x3b800000
	s_delay_alu instid0(VALU_DEP_2) | instskip(NEXT) | instid1(VALU_DEP_1)
	v_lshlrev_b32_e32 v129, 20, v129
	v_or3_b32 v129, v118, v135, v129
.LBB6_6692:                             ;   in Loop: Header=BB6_4903 Depth=2
	s_or_b32 exec_lo, exec_lo, s23
	v_lshrrev_b32_e32 v118, 24, v13
	s_mov_b32 s7, 0
	s_mov_b32 s24, exec_lo
                                        ; implicit-def: $sgpr23
	s_delay_alu instid0(VALU_DEP_1)
	v_cmpx_lt_i16_e32 0x7f, v118
	s_xor_b32 s24, exec_lo, s24
	s_cbranch_execnz .LBB6_7466
; %bb.6693:                             ;   in Loop: Header=BB6_4903 Depth=2
	s_or_saveexec_b32 s24, s24
	v_mov_b32_e32 v135, s23
	s_xor_b32 exec_lo, exec_lo, s24
	s_cbranch_execnz .LBB6_7469
.LBB6_6694:                             ;   in Loop: Header=BB6_4903 Depth=2
	s_or_b32 exec_lo, exec_lo, s24
	s_and_saveexec_b32 s23, s7
	s_cbranch_execz .LBB6_6696
.LBB6_6695:                             ;   in Loop: Header=BB6_4903 Depth=2
	v_bfe_u32 v135, v13, 24, 3
	s_delay_alu instid0(VALU_DEP_1) | instskip(NEXT) | instid1(VALU_DEP_1)
	v_clz_i32_u32_e32 v147, v135
	v_min_u32_e32 v147, 32, v147
	s_delay_alu instid0(VALU_DEP_1) | instskip(SKIP_1) | instid1(VALU_DEP_2)
	v_subrev_nc_u32_e32 v161, 28, v147
	v_sub_nc_u32_e32 v147, 29, v147
	v_lshlrev_b32_e32 v118, v161, v118
	v_bfe_u32 v161, v13, 27, 4
	v_and_b32_e32 v13, 0x80000000, v13
	s_delay_alu instid0(VALU_DEP_2) | instskip(NEXT) | instid1(VALU_DEP_4)
	v_cmp_eq_u32_e32 vcc_lo, 0, v161
	v_dual_cndmask_b32 v147, v161, v147 :: v_dual_and_b32 v118, 7, v118
	s_delay_alu instid0(VALU_DEP_1) | instskip(NEXT) | instid1(VALU_DEP_2)
	v_cndmask_b32_e32 v118, v135, v118, vcc_lo
	v_lshl_add_u32 v135, v147, 23, 0x3b800000
	s_delay_alu instid0(VALU_DEP_2) | instskip(NEXT) | instid1(VALU_DEP_1)
	v_lshlrev_b32_e32 v118, 20, v118
	v_or3_b32 v135, v13, v135, v118
.LBB6_6696:                             ;   in Loop: Header=BB6_4903 Depth=2
	s_or_b32 exec_lo, exec_lo, s23
	s_delay_alu instid0(VALU_DEP_1) | instskip(NEXT) | instid1(VALU_DEP_1)
	v_add_f32_e32 v118, v129, v135
	v_and_b32_e32 v13, 0x7f800000, v118
	s_delay_alu instid0(VALU_DEP_1)
	v_cmp_ne_u32_e32 vcc_lo, 0x7f800000, v13
	v_mov_b32_e32 v13, 0x8000
	s_and_saveexec_b32 s23, vcc_lo
	s_cbranch_execz .LBB6_4902
; %bb.6697:                             ;   in Loop: Header=BB6_4903 Depth=2
	v_mov_b32_e32 v13, 0
	s_mov_b32 s24, exec_lo
	v_cmpx_ne_u32_e32 0, v118
	s_cbranch_execz .LBB6_4901
; %bb.6698:                             ;   in Loop: Header=BB6_4903 Depth=2
	v_bfe_u32 v13, v118, 23, 8
	v_and_b32_e32 v129, 0x7fffff, v118
	s_delay_alu instid0(VALU_DEP_2) | instskip(SKIP_1) | instid1(VALU_DEP_3)
	v_sub_nc_u32_e32 v135, 0x78, v13
	v_cmp_gt_u32_e32 vcc_lo, 0x79, v13
	v_or_b32_e32 v147, 0x800000, v129
	s_delay_alu instid0(VALU_DEP_3) | instskip(SKIP_2) | instid1(VALU_DEP_3)
	v_cndmask_b32_e32 v135, 0, v135, vcc_lo
	v_cmp_eq_u32_e32 vcc_lo, 0, v13
	v_add_nc_u32_e32 v13, 0xffffff89, v13
	v_cndmask_b32_e64 v135, v135, 0x77, vcc_lo
	v_cndmask_b32_e32 v129, v147, v129, vcc_lo
	s_delay_alu instid0(VALU_DEP_3) | instskip(NEXT) | instid1(VALU_DEP_3)
	v_cndmask_b32_e64 v13, v13, 0xffffff8a, vcc_lo
	v_lshl_add_u32 v147, 0x100000, v135, -1
	s_delay_alu instid0(VALU_DEP_3) | instskip(SKIP_1) | instid1(VALU_DEP_4)
	v_lshrrev_b32_e32 v161, v135, v129
	v_lshlrev_b32_e64 v179, v135, 0x80000
	v_add_nc_u32_e32 v135, v135, v13
	s_delay_alu instid0(VALU_DEP_4) | instskip(NEXT) | instid1(VALU_DEP_4)
	v_and_b32_e32 v129, v147, v129
	v_bfe_u32 v165, v161, 20, 1
	s_delay_alu instid0(VALU_DEP_2) | instskip(NEXT) | instid1(VALU_DEP_2)
	v_cmp_eq_u32_e64 s7, v129, v179
	v_add_nc_u32_e32 v147, -1, v165
	s_delay_alu instid0(VALU_DEP_1) | instskip(SKIP_2) | instid1(VALU_DEP_2)
	v_cndmask_b32_e64 v129, 0, v147, s7
	v_lshrrev_b32_e32 v147, 23, v161
	s_mov_b32 s7, exec_lo
	v_add_nc_u32_e32 v129, v129, v161
	s_delay_alu instid0(VALU_DEP_2) | instskip(NEXT) | instid1(VALU_DEP_2)
	v_xor_b32_e32 v147, 1, v147
	v_and_b32_e32 v13, 0xfffff, v129
	s_delay_alu instid0(VALU_DEP_1) | instskip(NEXT) | instid1(VALU_DEP_3)
	v_add_nc_u32_e32 v129, v13, v161
                                        ; implicit-def: $vgpr13
	v_cmpx_ne_u32_e64 v135, v147
	s_xor_b32 s7, exec_lo, s7
; %bb.6699:                             ;   in Loop: Header=BB6_4903 Depth=2
	s_delay_alu instid0(VALU_DEP_2) | instskip(SKIP_2) | instid1(VALU_DEP_2)
	v_cmp_lt_u32_e32 vcc_lo, 0xffffff, v129
	v_sub_nc_u32_e32 v13, v135, v147
	v_cndmask_b32_e64 v135, 0, 1, vcc_lo
	v_add_co_ci_u32_e32 v13, vcc_lo, 0, v13, vcc_lo
	s_delay_alu instid0(VALU_DEP_2)
	v_lshrrev_b32_e32 v129, v135, v129
; %bb.6700:                             ;   in Loop: Header=BB6_4903 Depth=2
	s_and_not1_saveexec_b32 s7, s7
	s_cbranch_execz .LBB6_4900
; %bb.6701:                             ;   in Loop: Header=BB6_4903 Depth=2
	s_delay_alu instid0(VALU_DEP_1)
	v_bfe_u32 v13, v129, 23, 1
	s_branch .LBB6_4900
.LBB6_6702:                             ;   in Loop: Header=BB6_4903 Depth=2
	s_mov_b32 s7, -1
	s_mov_b32 s26, exec_lo
                                        ; implicit-def: $sgpr24
	v_cmpx_eq_u16_e32 0x80, v15
; %bb.6703:                             ;   in Loop: Header=BB6_4903 Depth=2
	s_mov_b32 s24, 0x7f800001
	s_xor_b32 s7, exec_lo, -1
; %bb.6704:                             ;   in Loop: Header=BB6_4903 Depth=2
	s_or_b32 exec_lo, exec_lo, s26
	s_delay_alu instid0(SALU_CYCLE_1)
	s_and_b32 s7, s7, exec_lo
                                        ; implicit-def: $vgpr15
	s_or_saveexec_b32 s25, s25
	v_mov_b32_e32 v14, s24
	s_xor_b32 exec_lo, exec_lo, s25
	s_cbranch_execz .LBB6_4914
.LBB6_6705:                             ;   in Loop: Header=BB6_4903 Depth=2
	v_cmp_ne_u16_e32 vcc_lo, 0, v15
	v_mov_b32_e32 v14, 0
	s_and_not1_b32 s7, s7, exec_lo
	s_and_b32 s24, vcc_lo, exec_lo
	s_delay_alu instid0(SALU_CYCLE_1)
	s_or_b32 s7, s7, s24
	s_or_b32 exec_lo, exec_lo, s25
	s_and_saveexec_b32 s24, s7
	s_cbranch_execnz .LBB6_4915
	s_branch .LBB6_4916
.LBB6_6706:                             ;   in Loop: Header=BB6_4903 Depth=2
	s_mov_b32 s7, -1
	s_mov_b32 s26, exec_lo
                                        ; implicit-def: $sgpr24
	v_cmpx_eq_u16_e32 0x80, v14
; %bb.6707:                             ;   in Loop: Header=BB6_4903 Depth=2
	s_mov_b32 s24, 0x7f800001
	s_xor_b32 s7, exec_lo, -1
; %bb.6708:                             ;   in Loop: Header=BB6_4903 Depth=2
	s_or_b32 exec_lo, exec_lo, s26
	s_delay_alu instid0(SALU_CYCLE_1)
	s_and_b32 s7, s7, exec_lo
	s_or_saveexec_b32 s25, s25
	v_mov_b32_e32 v15, s24
	s_xor_b32 exec_lo, exec_lo, s25
	s_cbranch_execz .LBB6_4926
.LBB6_6709:                             ;   in Loop: Header=BB6_4903 Depth=2
	v_cmp_ne_u16_e32 vcc_lo, 0, v14
	v_mov_b32_e32 v15, 0
	s_and_not1_b32 s7, s7, exec_lo
	s_and_b32 s24, vcc_lo, exec_lo
	s_delay_alu instid0(SALU_CYCLE_1)
	s_or_b32 s7, s7, s24
	s_or_b32 exec_lo, exec_lo, s25
	s_and_saveexec_b32 s24, s7
	s_cbranch_execnz .LBB6_4927
	s_branch .LBB6_4928
.LBB6_6710:                             ;   in Loop: Header=BB6_4903 Depth=2
	s_mov_b32 s7, -1
	s_mov_b32 s26, exec_lo
                                        ; implicit-def: $sgpr24
	v_cmpx_eq_u16_e32 0x80, v16
; %bb.6711:                             ;   in Loop: Header=BB6_4903 Depth=2
	s_mov_b32 s24, 0x7f800001
	s_xor_b32 s7, exec_lo, -1
; %bb.6712:                             ;   in Loop: Header=BB6_4903 Depth=2
	s_or_b32 exec_lo, exec_lo, s26
	s_delay_alu instid0(SALU_CYCLE_1)
	s_and_b32 s7, s7, exec_lo
                                        ; implicit-def: $vgpr16
	s_or_saveexec_b32 s25, s25
	v_mov_b32_e32 v15, s24
	s_xor_b32 exec_lo, exec_lo, s25
	s_cbranch_execz .LBB6_4938
.LBB6_6713:                             ;   in Loop: Header=BB6_4903 Depth=2
	v_cmp_ne_u16_e32 vcc_lo, 0, v16
	v_mov_b32_e32 v15, 0
	s_and_not1_b32 s7, s7, exec_lo
	s_and_b32 s24, vcc_lo, exec_lo
	s_delay_alu instid0(SALU_CYCLE_1)
	s_or_b32 s7, s7, s24
	s_or_b32 exec_lo, exec_lo, s25
	s_and_saveexec_b32 s24, s7
	s_cbranch_execnz .LBB6_4939
	s_branch .LBB6_4940
.LBB6_6714:                             ;   in Loop: Header=BB6_4903 Depth=2
	s_mov_b32 s7, -1
	s_mov_b32 s26, exec_lo
                                        ; implicit-def: $sgpr24
	v_cmpx_eq_u16_e32 0x80, v14
; %bb.6715:                             ;   in Loop: Header=BB6_4903 Depth=2
	s_mov_b32 s24, 0x7f800001
	s_xor_b32 s7, exec_lo, -1
; %bb.6716:                             ;   in Loop: Header=BB6_4903 Depth=2
	s_or_b32 exec_lo, exec_lo, s26
	s_delay_alu instid0(SALU_CYCLE_1)
	s_and_b32 s7, s7, exec_lo
	s_or_saveexec_b32 s25, s25
	v_mov_b32_e32 v15, s24
	s_xor_b32 exec_lo, exec_lo, s25
	s_cbranch_execz .LBB6_4950
.LBB6_6717:                             ;   in Loop: Header=BB6_4903 Depth=2
	v_cmp_ne_u16_e32 vcc_lo, 0, v14
	v_mov_b32_e32 v15, 0
	s_and_not1_b32 s7, s7, exec_lo
	s_and_b32 s24, vcc_lo, exec_lo
	s_delay_alu instid0(SALU_CYCLE_1)
	s_or_b32 s7, s7, s24
	s_or_b32 exec_lo, exec_lo, s25
	s_and_saveexec_b32 s24, s7
	s_cbranch_execnz .LBB6_4951
	s_branch .LBB6_4952
.LBB6_6718:                             ;   in Loop: Header=BB6_4903 Depth=2
	s_mov_b32 s7, -1
	s_mov_b32 s26, exec_lo
                                        ; implicit-def: $sgpr24
	v_cmpx_eq_u16_e32 0x80, v14
; %bb.6719:                             ;   in Loop: Header=BB6_4903 Depth=2
	s_mov_b32 s24, 0x7f800001
	s_xor_b32 s7, exec_lo, -1
; %bb.6720:                             ;   in Loop: Header=BB6_4903 Depth=2
	s_or_b32 exec_lo, exec_lo, s26
	s_delay_alu instid0(SALU_CYCLE_1)
	s_and_b32 s7, s7, exec_lo
                                        ; implicit-def: $vgpr14
	s_or_saveexec_b32 s25, s25
	v_mov_b32_e32 v10, s24
	s_xor_b32 exec_lo, exec_lo, s25
	s_cbranch_execz .LBB6_4962
.LBB6_6721:                             ;   in Loop: Header=BB6_4903 Depth=2
	v_cmp_ne_u16_e32 vcc_lo, 0, v14
	v_mov_b32_e32 v10, 0
	s_and_not1_b32 s7, s7, exec_lo
	s_and_b32 s24, vcc_lo, exec_lo
	s_delay_alu instid0(SALU_CYCLE_1)
	s_or_b32 s7, s7, s24
	s_or_b32 exec_lo, exec_lo, s25
	s_and_saveexec_b32 s24, s7
	s_cbranch_execnz .LBB6_4963
	s_branch .LBB6_4964
.LBB6_6722:                             ;   in Loop: Header=BB6_4903 Depth=2
	s_mov_b32 s7, -1
	s_mov_b32 s26, exec_lo
                                        ; implicit-def: $sgpr24
	v_cmpx_eq_u16_e32 0x80, v10
; %bb.6723:                             ;   in Loop: Header=BB6_4903 Depth=2
	s_mov_b32 s24, 0x7f800001
	s_xor_b32 s7, exec_lo, -1
; %bb.6724:                             ;   in Loop: Header=BB6_4903 Depth=2
	s_or_b32 exec_lo, exec_lo, s26
	s_delay_alu instid0(SALU_CYCLE_1)
	s_and_b32 s7, s7, exec_lo
	s_or_saveexec_b32 s25, s25
	v_mov_b32_e32 v14, s24
	s_xor_b32 exec_lo, exec_lo, s25
	s_cbranch_execz .LBB6_4974
.LBB6_6725:                             ;   in Loop: Header=BB6_4903 Depth=2
	v_cmp_ne_u16_e32 vcc_lo, 0, v10
	v_mov_b32_e32 v14, 0
	s_and_not1_b32 s7, s7, exec_lo
	s_and_b32 s24, vcc_lo, exec_lo
	s_delay_alu instid0(SALU_CYCLE_1)
	s_or_b32 s7, s7, s24
	s_or_b32 exec_lo, exec_lo, s25
	s_and_saveexec_b32 s24, s7
	s_cbranch_execnz .LBB6_4975
	s_branch .LBB6_4976
.LBB6_6726:                             ;   in Loop: Header=BB6_4903 Depth=2
	s_mov_b32 s7, -1
	s_mov_b32 s26, exec_lo
                                        ; implicit-def: $sgpr24
	v_cmpx_eq_u16_e32 0x80, v15
; %bb.6727:                             ;   in Loop: Header=BB6_4903 Depth=2
	s_mov_b32 s24, 0x7f800001
	s_xor_b32 s7, exec_lo, -1
; %bb.6728:                             ;   in Loop: Header=BB6_4903 Depth=2
	s_or_b32 exec_lo, exec_lo, s26
	s_delay_alu instid0(SALU_CYCLE_1)
	s_and_b32 s7, s7, exec_lo
                                        ; implicit-def: $vgpr15
	s_or_saveexec_b32 s25, s25
	v_mov_b32_e32 v14, s24
	s_xor_b32 exec_lo, exec_lo, s25
	s_cbranch_execz .LBB6_4986
.LBB6_6729:                             ;   in Loop: Header=BB6_4903 Depth=2
	v_cmp_ne_u16_e32 vcc_lo, 0, v15
	v_mov_b32_e32 v14, 0
	s_and_not1_b32 s7, s7, exec_lo
	s_and_b32 s24, vcc_lo, exec_lo
	s_delay_alu instid0(SALU_CYCLE_1)
	s_or_b32 s7, s7, s24
	s_or_b32 exec_lo, exec_lo, s25
	s_and_saveexec_b32 s24, s7
	s_cbranch_execnz .LBB6_4987
	s_branch .LBB6_4988
.LBB6_6730:                             ;   in Loop: Header=BB6_4903 Depth=2
	s_mov_b32 s7, -1
	s_mov_b32 s26, exec_lo
                                        ; implicit-def: $sgpr24
	v_cmpx_eq_u16_e32 0x80, v10
; %bb.6731:                             ;   in Loop: Header=BB6_4903 Depth=2
	s_mov_b32 s24, 0x7f800001
	s_xor_b32 s7, exec_lo, -1
; %bb.6732:                             ;   in Loop: Header=BB6_4903 Depth=2
	s_or_b32 exec_lo, exec_lo, s26
	s_delay_alu instid0(SALU_CYCLE_1)
	s_and_b32 s7, s7, exec_lo
	s_or_saveexec_b32 s25, s25
	v_mov_b32_e32 v14, s24
	s_xor_b32 exec_lo, exec_lo, s25
	s_cbranch_execz .LBB6_4998
.LBB6_6733:                             ;   in Loop: Header=BB6_4903 Depth=2
	v_cmp_ne_u16_e32 vcc_lo, 0, v10
	v_mov_b32_e32 v14, 0
	s_and_not1_b32 s7, s7, exec_lo
	s_and_b32 s24, vcc_lo, exec_lo
	s_delay_alu instid0(SALU_CYCLE_1)
	s_or_b32 s7, s7, s24
	s_or_b32 exec_lo, exec_lo, s25
	s_and_saveexec_b32 s24, s7
	s_cbranch_execnz .LBB6_4999
	s_branch .LBB6_5000
.LBB6_6734:                             ;   in Loop: Header=BB6_4903 Depth=2
	s_mov_b32 s7, -1
	s_mov_b32 s26, exec_lo
                                        ; implicit-def: $sgpr24
	v_cmpx_eq_u16_e32 0x80, v11
; %bb.6735:                             ;   in Loop: Header=BB6_4903 Depth=2
	s_mov_b32 s24, 0x7f800001
	s_xor_b32 s7, exec_lo, -1
; %bb.6736:                             ;   in Loop: Header=BB6_4903 Depth=2
	s_or_b32 exec_lo, exec_lo, s26
	s_delay_alu instid0(SALU_CYCLE_1)
	s_and_b32 s7, s7, exec_lo
                                        ; implicit-def: $vgpr11
	s_or_saveexec_b32 s25, s25
	v_mov_b32_e32 v10, s24
	s_xor_b32 exec_lo, exec_lo, s25
	s_cbranch_execz .LBB6_5010
.LBB6_6737:                             ;   in Loop: Header=BB6_4903 Depth=2
	v_cmp_ne_u16_e32 vcc_lo, 0, v11
	v_mov_b32_e32 v10, 0
	s_and_not1_b32 s7, s7, exec_lo
	s_and_b32 s24, vcc_lo, exec_lo
	s_delay_alu instid0(SALU_CYCLE_1)
	s_or_b32 s7, s7, s24
	s_or_b32 exec_lo, exec_lo, s25
	s_and_saveexec_b32 s24, s7
	s_cbranch_execnz .LBB6_5011
	s_branch .LBB6_5012
.LBB6_6738:                             ;   in Loop: Header=BB6_4903 Depth=2
	s_mov_b32 s7, -1
	s_mov_b32 s26, exec_lo
                                        ; implicit-def: $sgpr24
	v_cmpx_eq_u16_e32 0x80, v10
; %bb.6739:                             ;   in Loop: Header=BB6_4903 Depth=2
	s_mov_b32 s24, 0x7f800001
	s_xor_b32 s7, exec_lo, -1
; %bb.6740:                             ;   in Loop: Header=BB6_4903 Depth=2
	s_or_b32 exec_lo, exec_lo, s26
	s_delay_alu instid0(SALU_CYCLE_1)
	s_and_b32 s7, s7, exec_lo
	s_or_saveexec_b32 s25, s25
	v_mov_b32_e32 v11, s24
	s_xor_b32 exec_lo, exec_lo, s25
	s_cbranch_execz .LBB6_5022
.LBB6_6741:                             ;   in Loop: Header=BB6_4903 Depth=2
	v_cmp_ne_u16_e32 vcc_lo, 0, v10
	v_mov_b32_e32 v11, 0
	s_and_not1_b32 s7, s7, exec_lo
	s_and_b32 s24, vcc_lo, exec_lo
	s_delay_alu instid0(SALU_CYCLE_1)
	s_or_b32 s7, s7, s24
	s_or_b32 exec_lo, exec_lo, s25
	s_and_saveexec_b32 s24, s7
	s_cbranch_execnz .LBB6_5023
	s_branch .LBB6_5024
.LBB6_6742:                             ;   in Loop: Header=BB6_4903 Depth=2
	s_mov_b32 s7, -1
	s_mov_b32 s26, exec_lo
                                        ; implicit-def: $sgpr24
	v_cmpx_eq_u16_e32 0x80, v14
; %bb.6743:                             ;   in Loop: Header=BB6_4903 Depth=2
	s_mov_b32 s24, 0x7f800001
	s_xor_b32 s7, exec_lo, -1
; %bb.6744:                             ;   in Loop: Header=BB6_4903 Depth=2
	s_or_b32 exec_lo, exec_lo, s26
	s_delay_alu instid0(SALU_CYCLE_1)
	s_and_b32 s7, s7, exec_lo
                                        ; implicit-def: $vgpr14
	s_or_saveexec_b32 s25, s25
	v_mov_b32_e32 v11, s24
	s_xor_b32 exec_lo, exec_lo, s25
	s_cbranch_execz .LBB6_5034
.LBB6_6745:                             ;   in Loop: Header=BB6_4903 Depth=2
	v_cmp_ne_u16_e32 vcc_lo, 0, v14
	v_mov_b32_e32 v11, 0
	s_and_not1_b32 s7, s7, exec_lo
	s_and_b32 s24, vcc_lo, exec_lo
	s_delay_alu instid0(SALU_CYCLE_1)
	s_or_b32 s7, s7, s24
	s_or_b32 exec_lo, exec_lo, s25
	s_and_saveexec_b32 s24, s7
	s_cbranch_execnz .LBB6_5035
	s_branch .LBB6_5036
.LBB6_6746:                             ;   in Loop: Header=BB6_4903 Depth=2
	s_mov_b32 s7, -1
	s_mov_b32 s26, exec_lo
                                        ; implicit-def: $sgpr24
	v_cmpx_eq_u16_e32 0x80, v10
; %bb.6747:                             ;   in Loop: Header=BB6_4903 Depth=2
	s_mov_b32 s24, 0x7f800001
	s_xor_b32 s7, exec_lo, -1
; %bb.6748:                             ;   in Loop: Header=BB6_4903 Depth=2
	s_or_b32 exec_lo, exec_lo, s26
	s_delay_alu instid0(SALU_CYCLE_1)
	s_and_b32 s7, s7, exec_lo
	s_or_saveexec_b32 s25, s25
	v_mov_b32_e32 v11, s24
	s_xor_b32 exec_lo, exec_lo, s25
	s_cbranch_execz .LBB6_5046
.LBB6_6749:                             ;   in Loop: Header=BB6_4903 Depth=2
	v_cmp_ne_u16_e32 vcc_lo, 0, v10
	v_mov_b32_e32 v11, 0
	s_and_not1_b32 s7, s7, exec_lo
	s_and_b32 s24, vcc_lo, exec_lo
	s_delay_alu instid0(SALU_CYCLE_1)
	s_or_b32 s7, s7, s24
	s_or_b32 exec_lo, exec_lo, s25
	s_and_saveexec_b32 s24, s7
	s_cbranch_execnz .LBB6_5047
	s_branch .LBB6_5048
.LBB6_6750:                             ;   in Loop: Header=BB6_4903 Depth=2
	s_mov_b32 s7, -1
	s_mov_b32 s26, exec_lo
                                        ; implicit-def: $sgpr24
	v_cmpx_eq_u16_e32 0x80, v11
; %bb.6751:                             ;   in Loop: Header=BB6_4903 Depth=2
	s_mov_b32 s24, 0x7f800001
	s_xor_b32 s7, exec_lo, -1
; %bb.6752:                             ;   in Loop: Header=BB6_4903 Depth=2
	s_or_b32 exec_lo, exec_lo, s26
	s_delay_alu instid0(SALU_CYCLE_1)
	s_and_b32 s7, s7, exec_lo
                                        ; implicit-def: $vgpr11
	s_or_saveexec_b32 s25, s25
	v_mov_b32_e32 v10, s24
	s_xor_b32 exec_lo, exec_lo, s25
	s_cbranch_execz .LBB6_5058
.LBB6_6753:                             ;   in Loop: Header=BB6_4903 Depth=2
	v_cmp_ne_u16_e32 vcc_lo, 0, v11
	v_mov_b32_e32 v10, 0
	s_and_not1_b32 s7, s7, exec_lo
	s_and_b32 s24, vcc_lo, exec_lo
	s_delay_alu instid0(SALU_CYCLE_1)
	s_or_b32 s7, s7, s24
	s_or_b32 exec_lo, exec_lo, s25
	s_and_saveexec_b32 s24, s7
	s_cbranch_execnz .LBB6_5059
	s_branch .LBB6_5060
.LBB6_6754:                             ;   in Loop: Header=BB6_4903 Depth=2
	s_mov_b32 s7, -1
	s_mov_b32 s26, exec_lo
                                        ; implicit-def: $sgpr24
	v_cmpx_eq_u16_e32 0x80, v10
; %bb.6755:                             ;   in Loop: Header=BB6_4903 Depth=2
	s_mov_b32 s24, 0x7f800001
	s_xor_b32 s7, exec_lo, -1
; %bb.6756:                             ;   in Loop: Header=BB6_4903 Depth=2
	s_or_b32 exec_lo, exec_lo, s26
	s_delay_alu instid0(SALU_CYCLE_1)
	s_and_b32 s7, s7, exec_lo
	s_or_saveexec_b32 s25, s25
	v_mov_b32_e32 v11, s24
	s_xor_b32 exec_lo, exec_lo, s25
	s_cbranch_execz .LBB6_5070
.LBB6_6757:                             ;   in Loop: Header=BB6_4903 Depth=2
	v_cmp_ne_u16_e32 vcc_lo, 0, v10
	v_mov_b32_e32 v11, 0
	s_and_not1_b32 s7, s7, exec_lo
	s_and_b32 s24, vcc_lo, exec_lo
	s_delay_alu instid0(SALU_CYCLE_1)
	s_or_b32 s7, s7, s24
	s_or_b32 exec_lo, exec_lo, s25
	s_and_saveexec_b32 s24, s7
	s_cbranch_execnz .LBB6_5071
	s_branch .LBB6_5072
.LBB6_6758:                             ;   in Loop: Header=BB6_4903 Depth=2
	s_mov_b32 s7, -1
	s_mov_b32 s26, exec_lo
                                        ; implicit-def: $sgpr24
	v_cmpx_eq_u16_e32 0x80, v12
; %bb.6759:                             ;   in Loop: Header=BB6_4903 Depth=2
	s_mov_b32 s24, 0x7f800001
	s_xor_b32 s7, exec_lo, -1
; %bb.6760:                             ;   in Loop: Header=BB6_4903 Depth=2
	s_or_b32 exec_lo, exec_lo, s26
	s_delay_alu instid0(SALU_CYCLE_1)
	s_and_b32 s7, s7, exec_lo
                                        ; implicit-def: $vgpr12
	s_or_saveexec_b32 s25, s25
	v_mov_b32_e32 v11, s24
	s_xor_b32 exec_lo, exec_lo, s25
	s_cbranch_execz .LBB6_5082
.LBB6_6761:                             ;   in Loop: Header=BB6_4903 Depth=2
	v_cmp_ne_u16_e32 vcc_lo, 0, v12
	v_mov_b32_e32 v11, 0
	s_and_not1_b32 s7, s7, exec_lo
	s_and_b32 s24, vcc_lo, exec_lo
	s_delay_alu instid0(SALU_CYCLE_1)
	s_or_b32 s7, s7, s24
	s_or_b32 exec_lo, exec_lo, s25
	s_and_saveexec_b32 s24, s7
	s_cbranch_execnz .LBB6_5083
	s_branch .LBB6_5084
.LBB6_6762:                             ;   in Loop: Header=BB6_4903 Depth=2
	s_mov_b32 s7, -1
	s_mov_b32 s26, exec_lo
                                        ; implicit-def: $sgpr24
	v_cmpx_eq_u16_e32 0x80, v10
; %bb.6763:                             ;   in Loop: Header=BB6_4903 Depth=2
	s_mov_b32 s24, 0x7f800001
	s_xor_b32 s7, exec_lo, -1
; %bb.6764:                             ;   in Loop: Header=BB6_4903 Depth=2
	s_or_b32 exec_lo, exec_lo, s26
	s_delay_alu instid0(SALU_CYCLE_1)
	s_and_b32 s7, s7, exec_lo
	s_or_saveexec_b32 s25, s25
	v_mov_b32_e32 v11, s24
	s_xor_b32 exec_lo, exec_lo, s25
	s_cbranch_execz .LBB6_5094
.LBB6_6765:                             ;   in Loop: Header=BB6_4903 Depth=2
	v_cmp_ne_u16_e32 vcc_lo, 0, v10
	v_mov_b32_e32 v11, 0
	s_and_not1_b32 s7, s7, exec_lo
	s_and_b32 s24, vcc_lo, exec_lo
	s_delay_alu instid0(SALU_CYCLE_1)
	s_or_b32 s7, s7, s24
	s_or_b32 exec_lo, exec_lo, s25
	s_and_saveexec_b32 s24, s7
	s_cbranch_execnz .LBB6_5095
	s_branch .LBB6_5096
.LBB6_6766:                             ;   in Loop: Header=BB6_4903 Depth=2
	s_mov_b32 s7, -1
	s_mov_b32 s26, exec_lo
                                        ; implicit-def: $sgpr24
	v_cmpx_eq_u16_e32 0x80, v15
; %bb.6767:                             ;   in Loop: Header=BB6_4903 Depth=2
	s_mov_b32 s24, 0x7f800001
	s_xor_b32 s7, exec_lo, -1
; %bb.6768:                             ;   in Loop: Header=BB6_4903 Depth=2
	s_or_b32 exec_lo, exec_lo, s26
	s_delay_alu instid0(SALU_CYCLE_1)
	s_and_b32 s7, s7, exec_lo
                                        ; implicit-def: $vgpr15
	s_or_saveexec_b32 s25, s25
	v_mov_b32_e32 v14, s24
	s_xor_b32 exec_lo, exec_lo, s25
	s_cbranch_execz .LBB6_5106
.LBB6_6769:                             ;   in Loop: Header=BB6_4903 Depth=2
	v_cmp_ne_u16_e32 vcc_lo, 0, v15
	v_mov_b32_e32 v14, 0
	s_and_not1_b32 s7, s7, exec_lo
	s_and_b32 s24, vcc_lo, exec_lo
	s_delay_alu instid0(SALU_CYCLE_1)
	s_or_b32 s7, s7, s24
	s_or_b32 exec_lo, exec_lo, s25
	s_and_saveexec_b32 s24, s7
	s_cbranch_execnz .LBB6_5107
	s_branch .LBB6_5108
.LBB6_6770:                             ;   in Loop: Header=BB6_4903 Depth=2
	s_mov_b32 s7, -1
	s_mov_b32 s26, exec_lo
                                        ; implicit-def: $sgpr24
	v_cmpx_eq_u16_e32 0x80, v14
; %bb.6771:                             ;   in Loop: Header=BB6_4903 Depth=2
	s_mov_b32 s24, 0x7f800001
	s_xor_b32 s7, exec_lo, -1
; %bb.6772:                             ;   in Loop: Header=BB6_4903 Depth=2
	s_or_b32 exec_lo, exec_lo, s26
	s_delay_alu instid0(SALU_CYCLE_1)
	s_and_b32 s7, s7, exec_lo
	s_or_saveexec_b32 s25, s25
	v_mov_b32_e32 v15, s24
	s_xor_b32 exec_lo, exec_lo, s25
	s_cbranch_execz .LBB6_5118
.LBB6_6773:                             ;   in Loop: Header=BB6_4903 Depth=2
	v_cmp_ne_u16_e32 vcc_lo, 0, v14
	v_mov_b32_e32 v15, 0
	s_and_not1_b32 s7, s7, exec_lo
	s_and_b32 s24, vcc_lo, exec_lo
	s_delay_alu instid0(SALU_CYCLE_1)
	s_or_b32 s7, s7, s24
	s_or_b32 exec_lo, exec_lo, s25
	s_and_saveexec_b32 s24, s7
	s_cbranch_execnz .LBB6_5119
	s_branch .LBB6_5120
.LBB6_6774:                             ;   in Loop: Header=BB6_4903 Depth=2
	s_mov_b32 s7, -1
	s_mov_b32 s26, exec_lo
                                        ; implicit-def: $sgpr24
	v_cmpx_eq_u16_e32 0x80, v16
; %bb.6775:                             ;   in Loop: Header=BB6_4903 Depth=2
	s_mov_b32 s24, 0x7f800001
	s_xor_b32 s7, exec_lo, -1
; %bb.6776:                             ;   in Loop: Header=BB6_4903 Depth=2
	s_or_b32 exec_lo, exec_lo, s26
	s_delay_alu instid0(SALU_CYCLE_1)
	s_and_b32 s7, s7, exec_lo
                                        ; implicit-def: $vgpr16
	s_or_saveexec_b32 s25, s25
	v_mov_b32_e32 v15, s24
	s_xor_b32 exec_lo, exec_lo, s25
	s_cbranch_execz .LBB6_5130
.LBB6_6777:                             ;   in Loop: Header=BB6_4903 Depth=2
	v_cmp_ne_u16_e32 vcc_lo, 0, v16
	v_mov_b32_e32 v15, 0
	s_and_not1_b32 s7, s7, exec_lo
	s_and_b32 s24, vcc_lo, exec_lo
	s_delay_alu instid0(SALU_CYCLE_1)
	s_or_b32 s7, s7, s24
	s_or_b32 exec_lo, exec_lo, s25
	s_and_saveexec_b32 s24, s7
	s_cbranch_execnz .LBB6_5131
	s_branch .LBB6_5132
.LBB6_6778:                             ;   in Loop: Header=BB6_4903 Depth=2
	s_mov_b32 s7, -1
	s_mov_b32 s26, exec_lo
                                        ; implicit-def: $sgpr24
	v_cmpx_eq_u16_e32 0x80, v14
; %bb.6779:                             ;   in Loop: Header=BB6_4903 Depth=2
	s_mov_b32 s24, 0x7f800001
	s_xor_b32 s7, exec_lo, -1
; %bb.6780:                             ;   in Loop: Header=BB6_4903 Depth=2
	s_or_b32 exec_lo, exec_lo, s26
	s_delay_alu instid0(SALU_CYCLE_1)
	s_and_b32 s7, s7, exec_lo
	s_or_saveexec_b32 s25, s25
	v_mov_b32_e32 v15, s24
	s_xor_b32 exec_lo, exec_lo, s25
	s_cbranch_execz .LBB6_5142
.LBB6_6781:                             ;   in Loop: Header=BB6_4903 Depth=2
	v_cmp_ne_u16_e32 vcc_lo, 0, v14
	v_mov_b32_e32 v15, 0
	s_and_not1_b32 s7, s7, exec_lo
	s_and_b32 s24, vcc_lo, exec_lo
	s_delay_alu instid0(SALU_CYCLE_1)
	s_or_b32 s7, s7, s24
	s_or_b32 exec_lo, exec_lo, s25
	s_and_saveexec_b32 s24, s7
	s_cbranch_execnz .LBB6_5143
	s_branch .LBB6_5144
.LBB6_6782:                             ;   in Loop: Header=BB6_4903 Depth=2
	s_mov_b32 s7, -1
	s_mov_b32 s26, exec_lo
                                        ; implicit-def: $sgpr24
	v_cmpx_eq_u16_e32 0x80, v14
; %bb.6783:                             ;   in Loop: Header=BB6_4903 Depth=2
	s_mov_b32 s24, 0x7f800001
	s_xor_b32 s7, exec_lo, -1
; %bb.6784:                             ;   in Loop: Header=BB6_4903 Depth=2
	s_or_b32 exec_lo, exec_lo, s26
	s_delay_alu instid0(SALU_CYCLE_1)
	s_and_b32 s7, s7, exec_lo
                                        ; implicit-def: $vgpr14
	s_or_saveexec_b32 s25, s25
	v_mov_b32_e32 v10, s24
	s_xor_b32 exec_lo, exec_lo, s25
	s_cbranch_execz .LBB6_5154
.LBB6_6785:                             ;   in Loop: Header=BB6_4903 Depth=2
	v_cmp_ne_u16_e32 vcc_lo, 0, v14
	v_mov_b32_e32 v10, 0
	s_and_not1_b32 s7, s7, exec_lo
	s_and_b32 s24, vcc_lo, exec_lo
	s_delay_alu instid0(SALU_CYCLE_1)
	s_or_b32 s7, s7, s24
	s_or_b32 exec_lo, exec_lo, s25
	s_and_saveexec_b32 s24, s7
	s_cbranch_execnz .LBB6_5155
	s_branch .LBB6_5156
.LBB6_6786:                             ;   in Loop: Header=BB6_4903 Depth=2
	s_mov_b32 s7, -1
	s_mov_b32 s26, exec_lo
                                        ; implicit-def: $sgpr24
	v_cmpx_eq_u16_e32 0x80, v10
; %bb.6787:                             ;   in Loop: Header=BB6_4903 Depth=2
	s_mov_b32 s24, 0x7f800001
	s_xor_b32 s7, exec_lo, -1
; %bb.6788:                             ;   in Loop: Header=BB6_4903 Depth=2
	s_or_b32 exec_lo, exec_lo, s26
	s_delay_alu instid0(SALU_CYCLE_1)
	s_and_b32 s7, s7, exec_lo
	s_or_saveexec_b32 s25, s25
	v_mov_b32_e32 v14, s24
	s_xor_b32 exec_lo, exec_lo, s25
	s_cbranch_execz .LBB6_5166
.LBB6_6789:                             ;   in Loop: Header=BB6_4903 Depth=2
	v_cmp_ne_u16_e32 vcc_lo, 0, v10
	v_mov_b32_e32 v14, 0
	s_and_not1_b32 s7, s7, exec_lo
	s_and_b32 s24, vcc_lo, exec_lo
	s_delay_alu instid0(SALU_CYCLE_1)
	s_or_b32 s7, s7, s24
	s_or_b32 exec_lo, exec_lo, s25
	s_and_saveexec_b32 s24, s7
	s_cbranch_execnz .LBB6_5167
	s_branch .LBB6_5168
.LBB6_6790:                             ;   in Loop: Header=BB6_4903 Depth=2
	s_mov_b32 s7, -1
	s_mov_b32 s26, exec_lo
                                        ; implicit-def: $sgpr24
	v_cmpx_eq_u16_e32 0x80, v15
; %bb.6791:                             ;   in Loop: Header=BB6_4903 Depth=2
	s_mov_b32 s24, 0x7f800001
	s_xor_b32 s7, exec_lo, -1
; %bb.6792:                             ;   in Loop: Header=BB6_4903 Depth=2
	s_or_b32 exec_lo, exec_lo, s26
	s_delay_alu instid0(SALU_CYCLE_1)
	s_and_b32 s7, s7, exec_lo
                                        ; implicit-def: $vgpr15
	s_or_saveexec_b32 s25, s25
	v_mov_b32_e32 v14, s24
	s_xor_b32 exec_lo, exec_lo, s25
	s_cbranch_execz .LBB6_5178
.LBB6_6793:                             ;   in Loop: Header=BB6_4903 Depth=2
	v_cmp_ne_u16_e32 vcc_lo, 0, v15
	v_mov_b32_e32 v14, 0
	s_and_not1_b32 s7, s7, exec_lo
	s_and_b32 s24, vcc_lo, exec_lo
	s_delay_alu instid0(SALU_CYCLE_1)
	s_or_b32 s7, s7, s24
	s_or_b32 exec_lo, exec_lo, s25
	s_and_saveexec_b32 s24, s7
	s_cbranch_execnz .LBB6_5179
	s_branch .LBB6_5180
.LBB6_6794:                             ;   in Loop: Header=BB6_4903 Depth=2
	s_mov_b32 s7, -1
	s_mov_b32 s26, exec_lo
                                        ; implicit-def: $sgpr24
	v_cmpx_eq_u16_e32 0x80, v10
; %bb.6795:                             ;   in Loop: Header=BB6_4903 Depth=2
	s_mov_b32 s24, 0x7f800001
	s_xor_b32 s7, exec_lo, -1
; %bb.6796:                             ;   in Loop: Header=BB6_4903 Depth=2
	s_or_b32 exec_lo, exec_lo, s26
	s_delay_alu instid0(SALU_CYCLE_1)
	s_and_b32 s7, s7, exec_lo
	s_or_saveexec_b32 s25, s25
	v_mov_b32_e32 v14, s24
	s_xor_b32 exec_lo, exec_lo, s25
	s_cbranch_execz .LBB6_5190
.LBB6_6797:                             ;   in Loop: Header=BB6_4903 Depth=2
	v_cmp_ne_u16_e32 vcc_lo, 0, v10
	v_mov_b32_e32 v14, 0
	s_and_not1_b32 s7, s7, exec_lo
	s_and_b32 s24, vcc_lo, exec_lo
	s_delay_alu instid0(SALU_CYCLE_1)
	s_or_b32 s7, s7, s24
	s_or_b32 exec_lo, exec_lo, s25
	s_and_saveexec_b32 s24, s7
	s_cbranch_execnz .LBB6_5191
	s_branch .LBB6_5192
.LBB6_6798:                             ;   in Loop: Header=BB6_4903 Depth=2
	s_mov_b32 s7, -1
	s_mov_b32 s26, exec_lo
                                        ; implicit-def: $sgpr24
	v_cmpx_eq_u16_e32 0x80, v11
; %bb.6799:                             ;   in Loop: Header=BB6_4903 Depth=2
	s_mov_b32 s24, 0x7f800001
	s_xor_b32 s7, exec_lo, -1
; %bb.6800:                             ;   in Loop: Header=BB6_4903 Depth=2
	s_or_b32 exec_lo, exec_lo, s26
	s_delay_alu instid0(SALU_CYCLE_1)
	s_and_b32 s7, s7, exec_lo
                                        ; implicit-def: $vgpr11
	s_or_saveexec_b32 s25, s25
	v_mov_b32_e32 v10, s24
	s_xor_b32 exec_lo, exec_lo, s25
	s_cbranch_execz .LBB6_5202
.LBB6_6801:                             ;   in Loop: Header=BB6_4903 Depth=2
	v_cmp_ne_u16_e32 vcc_lo, 0, v11
	v_mov_b32_e32 v10, 0
	s_and_not1_b32 s7, s7, exec_lo
	s_and_b32 s24, vcc_lo, exec_lo
	s_delay_alu instid0(SALU_CYCLE_1)
	s_or_b32 s7, s7, s24
	s_or_b32 exec_lo, exec_lo, s25
	s_and_saveexec_b32 s24, s7
	s_cbranch_execnz .LBB6_5203
	s_branch .LBB6_5204
.LBB6_6802:                             ;   in Loop: Header=BB6_4903 Depth=2
	s_mov_b32 s7, -1
	s_mov_b32 s26, exec_lo
                                        ; implicit-def: $sgpr24
	v_cmpx_eq_u16_e32 0x80, v10
; %bb.6803:                             ;   in Loop: Header=BB6_4903 Depth=2
	s_mov_b32 s24, 0x7f800001
	s_xor_b32 s7, exec_lo, -1
; %bb.6804:                             ;   in Loop: Header=BB6_4903 Depth=2
	s_or_b32 exec_lo, exec_lo, s26
	s_delay_alu instid0(SALU_CYCLE_1)
	s_and_b32 s7, s7, exec_lo
	s_or_saveexec_b32 s25, s25
	v_mov_b32_e32 v11, s24
	s_xor_b32 exec_lo, exec_lo, s25
	s_cbranch_execz .LBB6_5214
.LBB6_6805:                             ;   in Loop: Header=BB6_4903 Depth=2
	v_cmp_ne_u16_e32 vcc_lo, 0, v10
	v_mov_b32_e32 v11, 0
	s_and_not1_b32 s7, s7, exec_lo
	s_and_b32 s24, vcc_lo, exec_lo
	s_delay_alu instid0(SALU_CYCLE_1)
	s_or_b32 s7, s7, s24
	s_or_b32 exec_lo, exec_lo, s25
	s_and_saveexec_b32 s24, s7
	s_cbranch_execnz .LBB6_5215
	s_branch .LBB6_5216
.LBB6_6806:                             ;   in Loop: Header=BB6_4903 Depth=2
	s_mov_b32 s7, -1
	s_mov_b32 s26, exec_lo
                                        ; implicit-def: $sgpr24
	v_cmpx_eq_u16_e32 0x80, v14
; %bb.6807:                             ;   in Loop: Header=BB6_4903 Depth=2
	s_mov_b32 s24, 0x7f800001
	s_xor_b32 s7, exec_lo, -1
; %bb.6808:                             ;   in Loop: Header=BB6_4903 Depth=2
	s_or_b32 exec_lo, exec_lo, s26
	s_delay_alu instid0(SALU_CYCLE_1)
	s_and_b32 s7, s7, exec_lo
                                        ; implicit-def: $vgpr14
	s_or_saveexec_b32 s25, s25
	v_mov_b32_e32 v11, s24
	s_xor_b32 exec_lo, exec_lo, s25
	s_cbranch_execz .LBB6_5226
.LBB6_6809:                             ;   in Loop: Header=BB6_4903 Depth=2
	v_cmp_ne_u16_e32 vcc_lo, 0, v14
	v_mov_b32_e32 v11, 0
	s_and_not1_b32 s7, s7, exec_lo
	s_and_b32 s24, vcc_lo, exec_lo
	s_delay_alu instid0(SALU_CYCLE_1)
	s_or_b32 s7, s7, s24
	s_or_b32 exec_lo, exec_lo, s25
	s_and_saveexec_b32 s24, s7
	s_cbranch_execnz .LBB6_5227
	s_branch .LBB6_5228
.LBB6_6810:                             ;   in Loop: Header=BB6_4903 Depth=2
	s_mov_b32 s7, -1
	s_mov_b32 s26, exec_lo
                                        ; implicit-def: $sgpr24
	v_cmpx_eq_u16_e32 0x80, v10
; %bb.6811:                             ;   in Loop: Header=BB6_4903 Depth=2
	s_mov_b32 s24, 0x7f800001
	s_xor_b32 s7, exec_lo, -1
; %bb.6812:                             ;   in Loop: Header=BB6_4903 Depth=2
	s_or_b32 exec_lo, exec_lo, s26
	s_delay_alu instid0(SALU_CYCLE_1)
	s_and_b32 s7, s7, exec_lo
	s_or_saveexec_b32 s25, s25
	v_mov_b32_e32 v11, s24
	s_xor_b32 exec_lo, exec_lo, s25
	s_cbranch_execz .LBB6_5238
.LBB6_6813:                             ;   in Loop: Header=BB6_4903 Depth=2
	v_cmp_ne_u16_e32 vcc_lo, 0, v10
	v_mov_b32_e32 v11, 0
	s_and_not1_b32 s7, s7, exec_lo
	s_and_b32 s24, vcc_lo, exec_lo
	s_delay_alu instid0(SALU_CYCLE_1)
	s_or_b32 s7, s7, s24
	s_or_b32 exec_lo, exec_lo, s25
	s_and_saveexec_b32 s24, s7
	s_cbranch_execnz .LBB6_5239
	s_branch .LBB6_5240
.LBB6_6814:                             ;   in Loop: Header=BB6_4903 Depth=2
	s_mov_b32 s7, -1
	s_mov_b32 s26, exec_lo
                                        ; implicit-def: $sgpr24
	v_cmpx_eq_u16_e32 0x80, v11
; %bb.6815:                             ;   in Loop: Header=BB6_4903 Depth=2
	s_mov_b32 s24, 0x7f800001
	s_xor_b32 s7, exec_lo, -1
; %bb.6816:                             ;   in Loop: Header=BB6_4903 Depth=2
	s_or_b32 exec_lo, exec_lo, s26
	s_delay_alu instid0(SALU_CYCLE_1)
	s_and_b32 s7, s7, exec_lo
                                        ; implicit-def: $vgpr11
	s_or_saveexec_b32 s25, s25
	v_mov_b32_e32 v10, s24
	s_xor_b32 exec_lo, exec_lo, s25
	s_cbranch_execz .LBB6_5250
.LBB6_6817:                             ;   in Loop: Header=BB6_4903 Depth=2
	v_cmp_ne_u16_e32 vcc_lo, 0, v11
	v_mov_b32_e32 v10, 0
	s_and_not1_b32 s7, s7, exec_lo
	s_and_b32 s24, vcc_lo, exec_lo
	s_delay_alu instid0(SALU_CYCLE_1)
	s_or_b32 s7, s7, s24
	s_or_b32 exec_lo, exec_lo, s25
	s_and_saveexec_b32 s24, s7
	s_cbranch_execnz .LBB6_5251
	s_branch .LBB6_5252
.LBB6_6818:                             ;   in Loop: Header=BB6_4903 Depth=2
	s_mov_b32 s7, -1
	s_mov_b32 s26, exec_lo
                                        ; implicit-def: $sgpr24
	v_cmpx_eq_u16_e32 0x80, v10
; %bb.6819:                             ;   in Loop: Header=BB6_4903 Depth=2
	s_mov_b32 s24, 0x7f800001
	s_xor_b32 s7, exec_lo, -1
; %bb.6820:                             ;   in Loop: Header=BB6_4903 Depth=2
	s_or_b32 exec_lo, exec_lo, s26
	s_delay_alu instid0(SALU_CYCLE_1)
	s_and_b32 s7, s7, exec_lo
	s_or_saveexec_b32 s25, s25
	v_mov_b32_e32 v11, s24
	s_xor_b32 exec_lo, exec_lo, s25
	s_cbranch_execz .LBB6_5262
.LBB6_6821:                             ;   in Loop: Header=BB6_4903 Depth=2
	v_cmp_ne_u16_e32 vcc_lo, 0, v10
	v_mov_b32_e32 v11, 0
	s_and_not1_b32 s7, s7, exec_lo
	s_and_b32 s24, vcc_lo, exec_lo
	s_delay_alu instid0(SALU_CYCLE_1)
	s_or_b32 s7, s7, s24
	s_or_b32 exec_lo, exec_lo, s25
	s_and_saveexec_b32 s24, s7
	s_cbranch_execnz .LBB6_5263
	s_branch .LBB6_5264
.LBB6_6822:                             ;   in Loop: Header=BB6_4903 Depth=2
	s_mov_b32 s7, -1
	s_mov_b32 s26, exec_lo
                                        ; implicit-def: $sgpr24
	v_cmpx_eq_u16_e32 0x80, v12
; %bb.6823:                             ;   in Loop: Header=BB6_4903 Depth=2
	s_mov_b32 s24, 0x7f800001
	s_xor_b32 s7, exec_lo, -1
; %bb.6824:                             ;   in Loop: Header=BB6_4903 Depth=2
	s_or_b32 exec_lo, exec_lo, s26
	s_delay_alu instid0(SALU_CYCLE_1)
	s_and_b32 s7, s7, exec_lo
                                        ; implicit-def: $vgpr12
	s_or_saveexec_b32 s25, s25
	v_mov_b32_e32 v11, s24
	s_xor_b32 exec_lo, exec_lo, s25
	s_cbranch_execz .LBB6_5274
.LBB6_6825:                             ;   in Loop: Header=BB6_4903 Depth=2
	v_cmp_ne_u16_e32 vcc_lo, 0, v12
	v_mov_b32_e32 v11, 0
	s_and_not1_b32 s7, s7, exec_lo
	s_and_b32 s24, vcc_lo, exec_lo
	s_delay_alu instid0(SALU_CYCLE_1)
	s_or_b32 s7, s7, s24
	s_or_b32 exec_lo, exec_lo, s25
	s_and_saveexec_b32 s24, s7
	s_cbranch_execnz .LBB6_5275
	s_branch .LBB6_5276
.LBB6_6826:                             ;   in Loop: Header=BB6_4903 Depth=2
	s_mov_b32 s7, -1
	s_mov_b32 s26, exec_lo
                                        ; implicit-def: $sgpr24
	v_cmpx_eq_u16_e32 0x80, v10
; %bb.6827:                             ;   in Loop: Header=BB6_4903 Depth=2
	s_mov_b32 s24, 0x7f800001
	s_xor_b32 s7, exec_lo, -1
; %bb.6828:                             ;   in Loop: Header=BB6_4903 Depth=2
	s_or_b32 exec_lo, exec_lo, s26
	s_delay_alu instid0(SALU_CYCLE_1)
	s_and_b32 s7, s7, exec_lo
	s_or_saveexec_b32 s25, s25
	v_mov_b32_e32 v11, s24
	s_xor_b32 exec_lo, exec_lo, s25
	s_cbranch_execz .LBB6_5286
.LBB6_6829:                             ;   in Loop: Header=BB6_4903 Depth=2
	v_cmp_ne_u16_e32 vcc_lo, 0, v10
	v_mov_b32_e32 v11, 0
	s_and_not1_b32 s7, s7, exec_lo
	s_and_b32 s24, vcc_lo, exec_lo
	s_delay_alu instid0(SALU_CYCLE_1)
	s_or_b32 s7, s7, s24
	s_or_b32 exec_lo, exec_lo, s25
	s_and_saveexec_b32 s24, s7
	s_cbranch_execnz .LBB6_5287
	s_branch .LBB6_5288
.LBB6_6830:                             ;   in Loop: Header=BB6_4903 Depth=2
	s_mov_b32 s7, -1
	s_mov_b32 s26, exec_lo
                                        ; implicit-def: $sgpr24
	v_cmpx_eq_u16_e32 0x80, v15
; %bb.6831:                             ;   in Loop: Header=BB6_4903 Depth=2
	s_mov_b32 s24, 0x7f800001
	s_xor_b32 s7, exec_lo, -1
; %bb.6832:                             ;   in Loop: Header=BB6_4903 Depth=2
	s_or_b32 exec_lo, exec_lo, s26
	s_delay_alu instid0(SALU_CYCLE_1)
	s_and_b32 s7, s7, exec_lo
                                        ; implicit-def: $vgpr15
	s_or_saveexec_b32 s25, s25
	v_mov_b32_e32 v14, s24
	s_xor_b32 exec_lo, exec_lo, s25
	s_cbranch_execz .LBB6_5298
.LBB6_6833:                             ;   in Loop: Header=BB6_4903 Depth=2
	v_cmp_ne_u16_e32 vcc_lo, 0, v15
	v_mov_b32_e32 v14, 0
	s_and_not1_b32 s7, s7, exec_lo
	s_and_b32 s24, vcc_lo, exec_lo
	s_delay_alu instid0(SALU_CYCLE_1)
	s_or_b32 s7, s7, s24
	s_or_b32 exec_lo, exec_lo, s25
	s_and_saveexec_b32 s24, s7
	s_cbranch_execnz .LBB6_5299
	s_branch .LBB6_5300
.LBB6_6834:                             ;   in Loop: Header=BB6_4903 Depth=2
	s_mov_b32 s7, -1
	s_mov_b32 s26, exec_lo
                                        ; implicit-def: $sgpr24
	v_cmpx_eq_u16_e32 0x80, v14
; %bb.6835:                             ;   in Loop: Header=BB6_4903 Depth=2
	s_mov_b32 s24, 0x7f800001
	s_xor_b32 s7, exec_lo, -1
; %bb.6836:                             ;   in Loop: Header=BB6_4903 Depth=2
	s_or_b32 exec_lo, exec_lo, s26
	s_delay_alu instid0(SALU_CYCLE_1)
	s_and_b32 s7, s7, exec_lo
	s_or_saveexec_b32 s25, s25
	v_mov_b32_e32 v15, s24
	s_xor_b32 exec_lo, exec_lo, s25
	s_cbranch_execz .LBB6_5310
.LBB6_6837:                             ;   in Loop: Header=BB6_4903 Depth=2
	v_cmp_ne_u16_e32 vcc_lo, 0, v14
	v_mov_b32_e32 v15, 0
	s_and_not1_b32 s7, s7, exec_lo
	s_and_b32 s24, vcc_lo, exec_lo
	s_delay_alu instid0(SALU_CYCLE_1)
	s_or_b32 s7, s7, s24
	s_or_b32 exec_lo, exec_lo, s25
	s_and_saveexec_b32 s24, s7
	s_cbranch_execnz .LBB6_5311
	s_branch .LBB6_5312
.LBB6_6838:                             ;   in Loop: Header=BB6_4903 Depth=2
	s_mov_b32 s7, -1
	s_mov_b32 s26, exec_lo
                                        ; implicit-def: $sgpr24
	v_cmpx_eq_u16_e32 0x80, v16
; %bb.6839:                             ;   in Loop: Header=BB6_4903 Depth=2
	s_mov_b32 s24, 0x7f800001
	s_xor_b32 s7, exec_lo, -1
; %bb.6840:                             ;   in Loop: Header=BB6_4903 Depth=2
	s_or_b32 exec_lo, exec_lo, s26
	s_delay_alu instid0(SALU_CYCLE_1)
	s_and_b32 s7, s7, exec_lo
                                        ; implicit-def: $vgpr16
	s_or_saveexec_b32 s25, s25
	v_mov_b32_e32 v15, s24
	s_xor_b32 exec_lo, exec_lo, s25
	s_cbranch_execz .LBB6_5322
.LBB6_6841:                             ;   in Loop: Header=BB6_4903 Depth=2
	v_cmp_ne_u16_e32 vcc_lo, 0, v16
	v_mov_b32_e32 v15, 0
	s_and_not1_b32 s7, s7, exec_lo
	s_and_b32 s24, vcc_lo, exec_lo
	s_delay_alu instid0(SALU_CYCLE_1)
	s_or_b32 s7, s7, s24
	s_or_b32 exec_lo, exec_lo, s25
	s_and_saveexec_b32 s24, s7
	s_cbranch_execnz .LBB6_5323
	s_branch .LBB6_5324
.LBB6_6842:                             ;   in Loop: Header=BB6_4903 Depth=2
	s_mov_b32 s7, -1
	s_mov_b32 s26, exec_lo
                                        ; implicit-def: $sgpr24
	v_cmpx_eq_u16_e32 0x80, v14
; %bb.6843:                             ;   in Loop: Header=BB6_4903 Depth=2
	s_mov_b32 s24, 0x7f800001
	s_xor_b32 s7, exec_lo, -1
; %bb.6844:                             ;   in Loop: Header=BB6_4903 Depth=2
	s_or_b32 exec_lo, exec_lo, s26
	s_delay_alu instid0(SALU_CYCLE_1)
	s_and_b32 s7, s7, exec_lo
	s_or_saveexec_b32 s25, s25
	v_mov_b32_e32 v15, s24
	s_xor_b32 exec_lo, exec_lo, s25
	s_cbranch_execz .LBB6_5334
.LBB6_6845:                             ;   in Loop: Header=BB6_4903 Depth=2
	v_cmp_ne_u16_e32 vcc_lo, 0, v14
	v_mov_b32_e32 v15, 0
	s_and_not1_b32 s7, s7, exec_lo
	s_and_b32 s24, vcc_lo, exec_lo
	s_delay_alu instid0(SALU_CYCLE_1)
	s_or_b32 s7, s7, s24
	s_or_b32 exec_lo, exec_lo, s25
	s_and_saveexec_b32 s24, s7
	s_cbranch_execnz .LBB6_5335
	s_branch .LBB6_5336
.LBB6_6846:                             ;   in Loop: Header=BB6_4903 Depth=2
	s_mov_b32 s7, -1
	s_mov_b32 s26, exec_lo
                                        ; implicit-def: $sgpr24
	v_cmpx_eq_u16_e32 0x80, v14
; %bb.6847:                             ;   in Loop: Header=BB6_4903 Depth=2
	s_mov_b32 s24, 0x7f800001
	s_xor_b32 s7, exec_lo, -1
; %bb.6848:                             ;   in Loop: Header=BB6_4903 Depth=2
	s_or_b32 exec_lo, exec_lo, s26
	s_delay_alu instid0(SALU_CYCLE_1)
	s_and_b32 s7, s7, exec_lo
                                        ; implicit-def: $vgpr14
	s_or_saveexec_b32 s25, s25
	v_mov_b32_e32 v10, s24
	s_xor_b32 exec_lo, exec_lo, s25
	s_cbranch_execz .LBB6_5346
.LBB6_6849:                             ;   in Loop: Header=BB6_4903 Depth=2
	v_cmp_ne_u16_e32 vcc_lo, 0, v14
	v_mov_b32_e32 v10, 0
	s_and_not1_b32 s7, s7, exec_lo
	s_and_b32 s24, vcc_lo, exec_lo
	s_delay_alu instid0(SALU_CYCLE_1)
	s_or_b32 s7, s7, s24
	s_or_b32 exec_lo, exec_lo, s25
	s_and_saveexec_b32 s24, s7
	s_cbranch_execnz .LBB6_5347
	s_branch .LBB6_5348
.LBB6_6850:                             ;   in Loop: Header=BB6_4903 Depth=2
	s_mov_b32 s7, -1
	s_mov_b32 s26, exec_lo
                                        ; implicit-def: $sgpr24
	v_cmpx_eq_u16_e32 0x80, v10
; %bb.6851:                             ;   in Loop: Header=BB6_4903 Depth=2
	s_mov_b32 s24, 0x7f800001
	s_xor_b32 s7, exec_lo, -1
; %bb.6852:                             ;   in Loop: Header=BB6_4903 Depth=2
	s_or_b32 exec_lo, exec_lo, s26
	s_delay_alu instid0(SALU_CYCLE_1)
	s_and_b32 s7, s7, exec_lo
	s_or_saveexec_b32 s25, s25
	v_mov_b32_e32 v14, s24
	s_xor_b32 exec_lo, exec_lo, s25
	s_cbranch_execz .LBB6_5358
.LBB6_6853:                             ;   in Loop: Header=BB6_4903 Depth=2
	v_cmp_ne_u16_e32 vcc_lo, 0, v10
	v_mov_b32_e32 v14, 0
	s_and_not1_b32 s7, s7, exec_lo
	s_and_b32 s24, vcc_lo, exec_lo
	s_delay_alu instid0(SALU_CYCLE_1)
	s_or_b32 s7, s7, s24
	s_or_b32 exec_lo, exec_lo, s25
	s_and_saveexec_b32 s24, s7
	s_cbranch_execnz .LBB6_5359
	s_branch .LBB6_5360
.LBB6_6854:                             ;   in Loop: Header=BB6_4903 Depth=2
	s_mov_b32 s7, -1
	s_mov_b32 s26, exec_lo
                                        ; implicit-def: $sgpr24
	v_cmpx_eq_u16_e32 0x80, v15
; %bb.6855:                             ;   in Loop: Header=BB6_4903 Depth=2
	s_mov_b32 s24, 0x7f800001
	s_xor_b32 s7, exec_lo, -1
; %bb.6856:                             ;   in Loop: Header=BB6_4903 Depth=2
	s_or_b32 exec_lo, exec_lo, s26
	s_delay_alu instid0(SALU_CYCLE_1)
	s_and_b32 s7, s7, exec_lo
                                        ; implicit-def: $vgpr15
	s_or_saveexec_b32 s25, s25
	v_mov_b32_e32 v14, s24
	s_xor_b32 exec_lo, exec_lo, s25
	s_cbranch_execz .LBB6_5370
.LBB6_6857:                             ;   in Loop: Header=BB6_4903 Depth=2
	v_cmp_ne_u16_e32 vcc_lo, 0, v15
	v_mov_b32_e32 v14, 0
	s_and_not1_b32 s7, s7, exec_lo
	s_and_b32 s24, vcc_lo, exec_lo
	s_delay_alu instid0(SALU_CYCLE_1)
	s_or_b32 s7, s7, s24
	s_or_b32 exec_lo, exec_lo, s25
	s_and_saveexec_b32 s24, s7
	s_cbranch_execnz .LBB6_5371
	s_branch .LBB6_5372
.LBB6_6858:                             ;   in Loop: Header=BB6_4903 Depth=2
	s_mov_b32 s7, -1
	s_mov_b32 s26, exec_lo
                                        ; implicit-def: $sgpr24
	v_cmpx_eq_u16_e32 0x80, v10
; %bb.6859:                             ;   in Loop: Header=BB6_4903 Depth=2
	s_mov_b32 s24, 0x7f800001
	s_xor_b32 s7, exec_lo, -1
; %bb.6860:                             ;   in Loop: Header=BB6_4903 Depth=2
	s_or_b32 exec_lo, exec_lo, s26
	s_delay_alu instid0(SALU_CYCLE_1)
	s_and_b32 s7, s7, exec_lo
	s_or_saveexec_b32 s25, s25
	v_mov_b32_e32 v14, s24
	s_xor_b32 exec_lo, exec_lo, s25
	s_cbranch_execz .LBB6_5382
.LBB6_6861:                             ;   in Loop: Header=BB6_4903 Depth=2
	v_cmp_ne_u16_e32 vcc_lo, 0, v10
	v_mov_b32_e32 v14, 0
	s_and_not1_b32 s7, s7, exec_lo
	s_and_b32 s24, vcc_lo, exec_lo
	s_delay_alu instid0(SALU_CYCLE_1)
	s_or_b32 s7, s7, s24
	s_or_b32 exec_lo, exec_lo, s25
	s_and_saveexec_b32 s24, s7
	s_cbranch_execnz .LBB6_5383
	s_branch .LBB6_5384
.LBB6_6862:                             ;   in Loop: Header=BB6_4903 Depth=2
	s_mov_b32 s7, -1
	s_mov_b32 s26, exec_lo
                                        ; implicit-def: $sgpr24
	v_cmpx_eq_u16_e32 0x80, v11
; %bb.6863:                             ;   in Loop: Header=BB6_4903 Depth=2
	s_mov_b32 s24, 0x7f800001
	s_xor_b32 s7, exec_lo, -1
; %bb.6864:                             ;   in Loop: Header=BB6_4903 Depth=2
	s_or_b32 exec_lo, exec_lo, s26
	s_delay_alu instid0(SALU_CYCLE_1)
	s_and_b32 s7, s7, exec_lo
                                        ; implicit-def: $vgpr11
	s_or_saveexec_b32 s25, s25
	v_mov_b32_e32 v10, s24
	s_xor_b32 exec_lo, exec_lo, s25
	s_cbranch_execz .LBB6_5394
.LBB6_6865:                             ;   in Loop: Header=BB6_4903 Depth=2
	v_cmp_ne_u16_e32 vcc_lo, 0, v11
	v_mov_b32_e32 v10, 0
	s_and_not1_b32 s7, s7, exec_lo
	s_and_b32 s24, vcc_lo, exec_lo
	s_delay_alu instid0(SALU_CYCLE_1)
	s_or_b32 s7, s7, s24
	s_or_b32 exec_lo, exec_lo, s25
	s_and_saveexec_b32 s24, s7
	s_cbranch_execnz .LBB6_5395
	s_branch .LBB6_5396
.LBB6_6866:                             ;   in Loop: Header=BB6_4903 Depth=2
	s_mov_b32 s7, -1
	s_mov_b32 s26, exec_lo
                                        ; implicit-def: $sgpr24
	v_cmpx_eq_u16_e32 0x80, v10
; %bb.6867:                             ;   in Loop: Header=BB6_4903 Depth=2
	s_mov_b32 s24, 0x7f800001
	s_xor_b32 s7, exec_lo, -1
; %bb.6868:                             ;   in Loop: Header=BB6_4903 Depth=2
	s_or_b32 exec_lo, exec_lo, s26
	s_delay_alu instid0(SALU_CYCLE_1)
	s_and_b32 s7, s7, exec_lo
	s_or_saveexec_b32 s25, s25
	v_mov_b32_e32 v11, s24
	s_xor_b32 exec_lo, exec_lo, s25
	s_cbranch_execz .LBB6_5406
.LBB6_6869:                             ;   in Loop: Header=BB6_4903 Depth=2
	v_cmp_ne_u16_e32 vcc_lo, 0, v10
	v_mov_b32_e32 v11, 0
	s_and_not1_b32 s7, s7, exec_lo
	s_and_b32 s24, vcc_lo, exec_lo
	s_delay_alu instid0(SALU_CYCLE_1)
	s_or_b32 s7, s7, s24
	s_or_b32 exec_lo, exec_lo, s25
	s_and_saveexec_b32 s24, s7
	s_cbranch_execnz .LBB6_5407
	s_branch .LBB6_5408
.LBB6_6870:                             ;   in Loop: Header=BB6_4903 Depth=2
	s_mov_b32 s7, -1
	s_mov_b32 s26, exec_lo
                                        ; implicit-def: $sgpr24
	v_cmpx_eq_u16_e32 0x80, v14
; %bb.6871:                             ;   in Loop: Header=BB6_4903 Depth=2
	s_mov_b32 s24, 0x7f800001
	s_xor_b32 s7, exec_lo, -1
; %bb.6872:                             ;   in Loop: Header=BB6_4903 Depth=2
	s_or_b32 exec_lo, exec_lo, s26
	s_delay_alu instid0(SALU_CYCLE_1)
	s_and_b32 s7, s7, exec_lo
                                        ; implicit-def: $vgpr14
	s_or_saveexec_b32 s25, s25
	v_mov_b32_e32 v11, s24
	s_xor_b32 exec_lo, exec_lo, s25
	s_cbranch_execz .LBB6_5418
.LBB6_6873:                             ;   in Loop: Header=BB6_4903 Depth=2
	v_cmp_ne_u16_e32 vcc_lo, 0, v14
	v_mov_b32_e32 v11, 0
	s_and_not1_b32 s7, s7, exec_lo
	s_and_b32 s24, vcc_lo, exec_lo
	s_delay_alu instid0(SALU_CYCLE_1)
	s_or_b32 s7, s7, s24
	s_or_b32 exec_lo, exec_lo, s25
	s_and_saveexec_b32 s24, s7
	s_cbranch_execnz .LBB6_5419
	s_branch .LBB6_5420
.LBB6_6874:                             ;   in Loop: Header=BB6_4903 Depth=2
	s_mov_b32 s7, -1
	s_mov_b32 s26, exec_lo
                                        ; implicit-def: $sgpr24
	v_cmpx_eq_u16_e32 0x80, v10
; %bb.6875:                             ;   in Loop: Header=BB6_4903 Depth=2
	s_mov_b32 s24, 0x7f800001
	s_xor_b32 s7, exec_lo, -1
; %bb.6876:                             ;   in Loop: Header=BB6_4903 Depth=2
	s_or_b32 exec_lo, exec_lo, s26
	s_delay_alu instid0(SALU_CYCLE_1)
	s_and_b32 s7, s7, exec_lo
	s_or_saveexec_b32 s25, s25
	v_mov_b32_e32 v11, s24
	s_xor_b32 exec_lo, exec_lo, s25
	s_cbranch_execz .LBB6_5430
.LBB6_6877:                             ;   in Loop: Header=BB6_4903 Depth=2
	v_cmp_ne_u16_e32 vcc_lo, 0, v10
	v_mov_b32_e32 v11, 0
	s_and_not1_b32 s7, s7, exec_lo
	s_and_b32 s24, vcc_lo, exec_lo
	s_delay_alu instid0(SALU_CYCLE_1)
	s_or_b32 s7, s7, s24
	s_or_b32 exec_lo, exec_lo, s25
	s_and_saveexec_b32 s24, s7
	s_cbranch_execnz .LBB6_5431
	s_branch .LBB6_5432
.LBB6_6878:                             ;   in Loop: Header=BB6_4903 Depth=2
	s_mov_b32 s7, -1
	s_mov_b32 s26, exec_lo
                                        ; implicit-def: $sgpr24
	v_cmpx_eq_u16_e32 0x80, v11
; %bb.6879:                             ;   in Loop: Header=BB6_4903 Depth=2
	s_mov_b32 s24, 0x7f800001
	s_xor_b32 s7, exec_lo, -1
; %bb.6880:                             ;   in Loop: Header=BB6_4903 Depth=2
	s_or_b32 exec_lo, exec_lo, s26
	s_delay_alu instid0(SALU_CYCLE_1)
	s_and_b32 s7, s7, exec_lo
                                        ; implicit-def: $vgpr11
	s_or_saveexec_b32 s25, s25
	v_mov_b32_e32 v10, s24
	s_xor_b32 exec_lo, exec_lo, s25
	s_cbranch_execz .LBB6_5442
.LBB6_6881:                             ;   in Loop: Header=BB6_4903 Depth=2
	v_cmp_ne_u16_e32 vcc_lo, 0, v11
	v_mov_b32_e32 v10, 0
	s_and_not1_b32 s7, s7, exec_lo
	s_and_b32 s24, vcc_lo, exec_lo
	s_delay_alu instid0(SALU_CYCLE_1)
	s_or_b32 s7, s7, s24
	s_or_b32 exec_lo, exec_lo, s25
	s_and_saveexec_b32 s24, s7
	s_cbranch_execnz .LBB6_5443
	s_branch .LBB6_5444
.LBB6_6882:                             ;   in Loop: Header=BB6_4903 Depth=2
	s_mov_b32 s7, -1
	s_mov_b32 s26, exec_lo
                                        ; implicit-def: $sgpr24
	v_cmpx_eq_u16_e32 0x80, v10
; %bb.6883:                             ;   in Loop: Header=BB6_4903 Depth=2
	s_mov_b32 s24, 0x7f800001
	s_xor_b32 s7, exec_lo, -1
; %bb.6884:                             ;   in Loop: Header=BB6_4903 Depth=2
	s_or_b32 exec_lo, exec_lo, s26
	s_delay_alu instid0(SALU_CYCLE_1)
	s_and_b32 s7, s7, exec_lo
	s_or_saveexec_b32 s25, s25
	v_mov_b32_e32 v11, s24
	s_xor_b32 exec_lo, exec_lo, s25
	s_cbranch_execz .LBB6_5454
.LBB6_6885:                             ;   in Loop: Header=BB6_4903 Depth=2
	v_cmp_ne_u16_e32 vcc_lo, 0, v10
	v_mov_b32_e32 v11, 0
	s_and_not1_b32 s7, s7, exec_lo
	s_and_b32 s24, vcc_lo, exec_lo
	s_delay_alu instid0(SALU_CYCLE_1)
	s_or_b32 s7, s7, s24
	s_or_b32 exec_lo, exec_lo, s25
	s_and_saveexec_b32 s24, s7
	s_cbranch_execnz .LBB6_5455
	s_branch .LBB6_5456
.LBB6_6886:                             ;   in Loop: Header=BB6_4903 Depth=2
	s_mov_b32 s7, -1
	s_mov_b32 s26, exec_lo
                                        ; implicit-def: $sgpr24
	v_cmpx_eq_u16_e32 0x80, v12
; %bb.6887:                             ;   in Loop: Header=BB6_4903 Depth=2
	s_mov_b32 s24, 0x7f800001
	s_xor_b32 s7, exec_lo, -1
; %bb.6888:                             ;   in Loop: Header=BB6_4903 Depth=2
	s_or_b32 exec_lo, exec_lo, s26
	s_delay_alu instid0(SALU_CYCLE_1)
	s_and_b32 s7, s7, exec_lo
                                        ; implicit-def: $vgpr12
	s_or_saveexec_b32 s25, s25
	v_mov_b32_e32 v11, s24
	s_xor_b32 exec_lo, exec_lo, s25
	s_cbranch_execz .LBB6_5466
.LBB6_6889:                             ;   in Loop: Header=BB6_4903 Depth=2
	v_cmp_ne_u16_e32 vcc_lo, 0, v12
	v_mov_b32_e32 v11, 0
	s_and_not1_b32 s7, s7, exec_lo
	s_and_b32 s24, vcc_lo, exec_lo
	s_delay_alu instid0(SALU_CYCLE_1)
	s_or_b32 s7, s7, s24
	s_or_b32 exec_lo, exec_lo, s25
	s_and_saveexec_b32 s24, s7
	s_cbranch_execnz .LBB6_5467
	s_branch .LBB6_5468
.LBB6_6890:                             ;   in Loop: Header=BB6_4903 Depth=2
	s_mov_b32 s7, -1
	s_mov_b32 s26, exec_lo
                                        ; implicit-def: $sgpr24
	v_cmpx_eq_u16_e32 0x80, v10
; %bb.6891:                             ;   in Loop: Header=BB6_4903 Depth=2
	s_mov_b32 s24, 0x7f800001
	s_xor_b32 s7, exec_lo, -1
; %bb.6892:                             ;   in Loop: Header=BB6_4903 Depth=2
	s_or_b32 exec_lo, exec_lo, s26
	s_delay_alu instid0(SALU_CYCLE_1)
	s_and_b32 s7, s7, exec_lo
	s_or_saveexec_b32 s25, s25
	v_mov_b32_e32 v11, s24
	s_xor_b32 exec_lo, exec_lo, s25
	s_cbranch_execz .LBB6_5478
.LBB6_6893:                             ;   in Loop: Header=BB6_4903 Depth=2
	v_cmp_ne_u16_e32 vcc_lo, 0, v10
	v_mov_b32_e32 v11, 0
	s_and_not1_b32 s7, s7, exec_lo
	s_and_b32 s24, vcc_lo, exec_lo
	s_delay_alu instid0(SALU_CYCLE_1)
	s_or_b32 s7, s7, s24
	s_or_b32 exec_lo, exec_lo, s25
	s_and_saveexec_b32 s24, s7
	s_cbranch_execnz .LBB6_5479
	s_branch .LBB6_5480
.LBB6_6894:                             ;   in Loop: Header=BB6_4903 Depth=2
	s_mov_b32 s7, -1
	s_mov_b32 s26, exec_lo
                                        ; implicit-def: $sgpr24
	v_cmpx_eq_u16_e32 0x80, v15
; %bb.6895:                             ;   in Loop: Header=BB6_4903 Depth=2
	s_mov_b32 s24, 0x7f800001
	s_xor_b32 s7, exec_lo, -1
; %bb.6896:                             ;   in Loop: Header=BB6_4903 Depth=2
	s_or_b32 exec_lo, exec_lo, s26
	s_delay_alu instid0(SALU_CYCLE_1)
	s_and_b32 s7, s7, exec_lo
                                        ; implicit-def: $vgpr15
	s_or_saveexec_b32 s25, s25
	v_mov_b32_e32 v14, s24
	s_xor_b32 exec_lo, exec_lo, s25
	s_cbranch_execz .LBB6_5490
.LBB6_6897:                             ;   in Loop: Header=BB6_4903 Depth=2
	v_cmp_ne_u16_e32 vcc_lo, 0, v15
	v_mov_b32_e32 v14, 0
	s_and_not1_b32 s7, s7, exec_lo
	s_and_b32 s24, vcc_lo, exec_lo
	s_delay_alu instid0(SALU_CYCLE_1)
	s_or_b32 s7, s7, s24
	s_or_b32 exec_lo, exec_lo, s25
	s_and_saveexec_b32 s24, s7
	s_cbranch_execnz .LBB6_5491
	s_branch .LBB6_5492
.LBB6_6898:                             ;   in Loop: Header=BB6_4903 Depth=2
	s_mov_b32 s7, -1
	s_mov_b32 s26, exec_lo
                                        ; implicit-def: $sgpr24
	v_cmpx_eq_u16_e32 0x80, v14
; %bb.6899:                             ;   in Loop: Header=BB6_4903 Depth=2
	s_mov_b32 s24, 0x7f800001
	s_xor_b32 s7, exec_lo, -1
; %bb.6900:                             ;   in Loop: Header=BB6_4903 Depth=2
	s_or_b32 exec_lo, exec_lo, s26
	s_delay_alu instid0(SALU_CYCLE_1)
	s_and_b32 s7, s7, exec_lo
	s_or_saveexec_b32 s25, s25
	v_mov_b32_e32 v15, s24
	s_xor_b32 exec_lo, exec_lo, s25
	s_cbranch_execz .LBB6_5502
.LBB6_6901:                             ;   in Loop: Header=BB6_4903 Depth=2
	v_cmp_ne_u16_e32 vcc_lo, 0, v14
	v_mov_b32_e32 v15, 0
	s_and_not1_b32 s7, s7, exec_lo
	s_and_b32 s24, vcc_lo, exec_lo
	s_delay_alu instid0(SALU_CYCLE_1)
	s_or_b32 s7, s7, s24
	s_or_b32 exec_lo, exec_lo, s25
	s_and_saveexec_b32 s24, s7
	s_cbranch_execnz .LBB6_5503
	s_branch .LBB6_5504
.LBB6_6902:                             ;   in Loop: Header=BB6_4903 Depth=2
	s_mov_b32 s7, -1
	s_mov_b32 s26, exec_lo
                                        ; implicit-def: $sgpr24
	v_cmpx_eq_u16_e32 0x80, v16
; %bb.6903:                             ;   in Loop: Header=BB6_4903 Depth=2
	s_mov_b32 s24, 0x7f800001
	s_xor_b32 s7, exec_lo, -1
; %bb.6904:                             ;   in Loop: Header=BB6_4903 Depth=2
	s_or_b32 exec_lo, exec_lo, s26
	s_delay_alu instid0(SALU_CYCLE_1)
	s_and_b32 s7, s7, exec_lo
                                        ; implicit-def: $vgpr16
	s_or_saveexec_b32 s25, s25
	v_mov_b32_e32 v15, s24
	s_xor_b32 exec_lo, exec_lo, s25
	s_cbranch_execz .LBB6_5514
.LBB6_6905:                             ;   in Loop: Header=BB6_4903 Depth=2
	v_cmp_ne_u16_e32 vcc_lo, 0, v16
	v_mov_b32_e32 v15, 0
	s_and_not1_b32 s7, s7, exec_lo
	s_and_b32 s24, vcc_lo, exec_lo
	s_delay_alu instid0(SALU_CYCLE_1)
	s_or_b32 s7, s7, s24
	s_or_b32 exec_lo, exec_lo, s25
	s_and_saveexec_b32 s24, s7
	s_cbranch_execnz .LBB6_5515
	s_branch .LBB6_5516
.LBB6_6906:                             ;   in Loop: Header=BB6_4903 Depth=2
	s_mov_b32 s7, -1
	s_mov_b32 s26, exec_lo
                                        ; implicit-def: $sgpr24
	v_cmpx_eq_u16_e32 0x80, v14
; %bb.6907:                             ;   in Loop: Header=BB6_4903 Depth=2
	s_mov_b32 s24, 0x7f800001
	s_xor_b32 s7, exec_lo, -1
; %bb.6908:                             ;   in Loop: Header=BB6_4903 Depth=2
	s_or_b32 exec_lo, exec_lo, s26
	s_delay_alu instid0(SALU_CYCLE_1)
	s_and_b32 s7, s7, exec_lo
	s_or_saveexec_b32 s25, s25
	v_mov_b32_e32 v15, s24
	s_xor_b32 exec_lo, exec_lo, s25
	s_cbranch_execz .LBB6_5526
.LBB6_6909:                             ;   in Loop: Header=BB6_4903 Depth=2
	v_cmp_ne_u16_e32 vcc_lo, 0, v14
	v_mov_b32_e32 v15, 0
	s_and_not1_b32 s7, s7, exec_lo
	s_and_b32 s24, vcc_lo, exec_lo
	s_delay_alu instid0(SALU_CYCLE_1)
	s_or_b32 s7, s7, s24
	s_or_b32 exec_lo, exec_lo, s25
	s_and_saveexec_b32 s24, s7
	s_cbranch_execnz .LBB6_5527
	s_branch .LBB6_5528
.LBB6_6910:                             ;   in Loop: Header=BB6_4903 Depth=2
	s_mov_b32 s7, -1
	s_mov_b32 s26, exec_lo
                                        ; implicit-def: $sgpr24
	v_cmpx_eq_u16_e32 0x80, v14
; %bb.6911:                             ;   in Loop: Header=BB6_4903 Depth=2
	s_mov_b32 s24, 0x7f800001
	s_xor_b32 s7, exec_lo, -1
; %bb.6912:                             ;   in Loop: Header=BB6_4903 Depth=2
	s_or_b32 exec_lo, exec_lo, s26
	s_delay_alu instid0(SALU_CYCLE_1)
	s_and_b32 s7, s7, exec_lo
                                        ; implicit-def: $vgpr14
	s_or_saveexec_b32 s25, s25
	v_mov_b32_e32 v10, s24
	s_xor_b32 exec_lo, exec_lo, s25
	s_cbranch_execz .LBB6_5538
.LBB6_6913:                             ;   in Loop: Header=BB6_4903 Depth=2
	v_cmp_ne_u16_e32 vcc_lo, 0, v14
	v_mov_b32_e32 v10, 0
	s_and_not1_b32 s7, s7, exec_lo
	s_and_b32 s24, vcc_lo, exec_lo
	s_delay_alu instid0(SALU_CYCLE_1)
	s_or_b32 s7, s7, s24
	s_or_b32 exec_lo, exec_lo, s25
	s_and_saveexec_b32 s24, s7
	s_cbranch_execnz .LBB6_5539
	s_branch .LBB6_5540
.LBB6_6914:                             ;   in Loop: Header=BB6_4903 Depth=2
	s_mov_b32 s7, -1
	s_mov_b32 s26, exec_lo
                                        ; implicit-def: $sgpr24
	v_cmpx_eq_u16_e32 0x80, v10
; %bb.6915:                             ;   in Loop: Header=BB6_4903 Depth=2
	s_mov_b32 s24, 0x7f800001
	s_xor_b32 s7, exec_lo, -1
; %bb.6916:                             ;   in Loop: Header=BB6_4903 Depth=2
	s_or_b32 exec_lo, exec_lo, s26
	s_delay_alu instid0(SALU_CYCLE_1)
	s_and_b32 s7, s7, exec_lo
	s_or_saveexec_b32 s25, s25
	v_mov_b32_e32 v14, s24
	s_xor_b32 exec_lo, exec_lo, s25
	s_cbranch_execz .LBB6_5550
.LBB6_6917:                             ;   in Loop: Header=BB6_4903 Depth=2
	v_cmp_ne_u16_e32 vcc_lo, 0, v10
	v_mov_b32_e32 v14, 0
	s_and_not1_b32 s7, s7, exec_lo
	s_and_b32 s24, vcc_lo, exec_lo
	s_delay_alu instid0(SALU_CYCLE_1)
	s_or_b32 s7, s7, s24
	s_or_b32 exec_lo, exec_lo, s25
	s_and_saveexec_b32 s24, s7
	s_cbranch_execnz .LBB6_5551
	s_branch .LBB6_5552
.LBB6_6918:                             ;   in Loop: Header=BB6_4903 Depth=2
	s_mov_b32 s7, -1
	s_mov_b32 s26, exec_lo
                                        ; implicit-def: $sgpr24
	v_cmpx_eq_u16_e32 0x80, v15
; %bb.6919:                             ;   in Loop: Header=BB6_4903 Depth=2
	s_mov_b32 s24, 0x7f800001
	s_xor_b32 s7, exec_lo, -1
; %bb.6920:                             ;   in Loop: Header=BB6_4903 Depth=2
	s_or_b32 exec_lo, exec_lo, s26
	s_delay_alu instid0(SALU_CYCLE_1)
	s_and_b32 s7, s7, exec_lo
                                        ; implicit-def: $vgpr15
	s_or_saveexec_b32 s25, s25
	v_mov_b32_e32 v14, s24
	s_xor_b32 exec_lo, exec_lo, s25
	s_cbranch_execz .LBB6_5562
.LBB6_6921:                             ;   in Loop: Header=BB6_4903 Depth=2
	v_cmp_ne_u16_e32 vcc_lo, 0, v15
	v_mov_b32_e32 v14, 0
	s_and_not1_b32 s7, s7, exec_lo
	s_and_b32 s24, vcc_lo, exec_lo
	s_delay_alu instid0(SALU_CYCLE_1)
	s_or_b32 s7, s7, s24
	s_or_b32 exec_lo, exec_lo, s25
	s_and_saveexec_b32 s24, s7
	s_cbranch_execnz .LBB6_5563
	s_branch .LBB6_5564
.LBB6_6922:                             ;   in Loop: Header=BB6_4903 Depth=2
	s_mov_b32 s7, -1
	s_mov_b32 s26, exec_lo
                                        ; implicit-def: $sgpr24
	v_cmpx_eq_u16_e32 0x80, v10
; %bb.6923:                             ;   in Loop: Header=BB6_4903 Depth=2
	s_mov_b32 s24, 0x7f800001
	s_xor_b32 s7, exec_lo, -1
; %bb.6924:                             ;   in Loop: Header=BB6_4903 Depth=2
	s_or_b32 exec_lo, exec_lo, s26
	s_delay_alu instid0(SALU_CYCLE_1)
	s_and_b32 s7, s7, exec_lo
	s_or_saveexec_b32 s25, s25
	v_mov_b32_e32 v14, s24
	s_xor_b32 exec_lo, exec_lo, s25
	s_cbranch_execz .LBB6_5574
.LBB6_6925:                             ;   in Loop: Header=BB6_4903 Depth=2
	v_cmp_ne_u16_e32 vcc_lo, 0, v10
	v_mov_b32_e32 v14, 0
	s_and_not1_b32 s7, s7, exec_lo
	s_and_b32 s24, vcc_lo, exec_lo
	s_delay_alu instid0(SALU_CYCLE_1)
	s_or_b32 s7, s7, s24
	s_or_b32 exec_lo, exec_lo, s25
	s_and_saveexec_b32 s24, s7
	s_cbranch_execnz .LBB6_5575
	s_branch .LBB6_5576
.LBB6_6926:                             ;   in Loop: Header=BB6_4903 Depth=2
	s_mov_b32 s7, -1
	s_mov_b32 s26, exec_lo
                                        ; implicit-def: $sgpr24
	v_cmpx_eq_u16_e32 0x80, v11
; %bb.6927:                             ;   in Loop: Header=BB6_4903 Depth=2
	s_mov_b32 s24, 0x7f800001
	s_xor_b32 s7, exec_lo, -1
; %bb.6928:                             ;   in Loop: Header=BB6_4903 Depth=2
	s_or_b32 exec_lo, exec_lo, s26
	s_delay_alu instid0(SALU_CYCLE_1)
	s_and_b32 s7, s7, exec_lo
                                        ; implicit-def: $vgpr11
	s_or_saveexec_b32 s25, s25
	v_mov_b32_e32 v10, s24
	s_xor_b32 exec_lo, exec_lo, s25
	s_cbranch_execz .LBB6_5586
.LBB6_6929:                             ;   in Loop: Header=BB6_4903 Depth=2
	v_cmp_ne_u16_e32 vcc_lo, 0, v11
	v_mov_b32_e32 v10, 0
	s_and_not1_b32 s7, s7, exec_lo
	s_and_b32 s24, vcc_lo, exec_lo
	s_delay_alu instid0(SALU_CYCLE_1)
	s_or_b32 s7, s7, s24
	s_or_b32 exec_lo, exec_lo, s25
	s_and_saveexec_b32 s24, s7
	s_cbranch_execnz .LBB6_5587
	s_branch .LBB6_5588
.LBB6_6930:                             ;   in Loop: Header=BB6_4903 Depth=2
	s_mov_b32 s7, -1
	s_mov_b32 s26, exec_lo
                                        ; implicit-def: $sgpr24
	v_cmpx_eq_u16_e32 0x80, v10
; %bb.6931:                             ;   in Loop: Header=BB6_4903 Depth=2
	s_mov_b32 s24, 0x7f800001
	s_xor_b32 s7, exec_lo, -1
; %bb.6932:                             ;   in Loop: Header=BB6_4903 Depth=2
	s_or_b32 exec_lo, exec_lo, s26
	s_delay_alu instid0(SALU_CYCLE_1)
	s_and_b32 s7, s7, exec_lo
	s_or_saveexec_b32 s25, s25
	v_mov_b32_e32 v11, s24
	s_xor_b32 exec_lo, exec_lo, s25
	s_cbranch_execz .LBB6_5598
.LBB6_6933:                             ;   in Loop: Header=BB6_4903 Depth=2
	v_cmp_ne_u16_e32 vcc_lo, 0, v10
	v_mov_b32_e32 v11, 0
	s_and_not1_b32 s7, s7, exec_lo
	s_and_b32 s24, vcc_lo, exec_lo
	s_delay_alu instid0(SALU_CYCLE_1)
	s_or_b32 s7, s7, s24
	s_or_b32 exec_lo, exec_lo, s25
	s_and_saveexec_b32 s24, s7
	s_cbranch_execnz .LBB6_5599
	s_branch .LBB6_5600
.LBB6_6934:                             ;   in Loop: Header=BB6_4903 Depth=2
	s_mov_b32 s7, -1
	s_mov_b32 s26, exec_lo
                                        ; implicit-def: $sgpr24
	v_cmpx_eq_u16_e32 0x80, v14
; %bb.6935:                             ;   in Loop: Header=BB6_4903 Depth=2
	s_mov_b32 s24, 0x7f800001
	s_xor_b32 s7, exec_lo, -1
; %bb.6936:                             ;   in Loop: Header=BB6_4903 Depth=2
	s_or_b32 exec_lo, exec_lo, s26
	s_delay_alu instid0(SALU_CYCLE_1)
	s_and_b32 s7, s7, exec_lo
                                        ; implicit-def: $vgpr14
	s_or_saveexec_b32 s25, s25
	v_mov_b32_e32 v11, s24
	s_xor_b32 exec_lo, exec_lo, s25
	s_cbranch_execz .LBB6_5610
.LBB6_6937:                             ;   in Loop: Header=BB6_4903 Depth=2
	v_cmp_ne_u16_e32 vcc_lo, 0, v14
	v_mov_b32_e32 v11, 0
	s_and_not1_b32 s7, s7, exec_lo
	s_and_b32 s24, vcc_lo, exec_lo
	s_delay_alu instid0(SALU_CYCLE_1)
	s_or_b32 s7, s7, s24
	s_or_b32 exec_lo, exec_lo, s25
	s_and_saveexec_b32 s24, s7
	s_cbranch_execnz .LBB6_5611
	s_branch .LBB6_5612
.LBB6_6938:                             ;   in Loop: Header=BB6_4903 Depth=2
	s_mov_b32 s7, -1
	s_mov_b32 s26, exec_lo
                                        ; implicit-def: $sgpr24
	v_cmpx_eq_u16_e32 0x80, v10
; %bb.6939:                             ;   in Loop: Header=BB6_4903 Depth=2
	s_mov_b32 s24, 0x7f800001
	s_xor_b32 s7, exec_lo, -1
; %bb.6940:                             ;   in Loop: Header=BB6_4903 Depth=2
	s_or_b32 exec_lo, exec_lo, s26
	s_delay_alu instid0(SALU_CYCLE_1)
	s_and_b32 s7, s7, exec_lo
	s_or_saveexec_b32 s25, s25
	v_mov_b32_e32 v11, s24
	s_xor_b32 exec_lo, exec_lo, s25
	s_cbranch_execz .LBB6_5622
.LBB6_6941:                             ;   in Loop: Header=BB6_4903 Depth=2
	v_cmp_ne_u16_e32 vcc_lo, 0, v10
	v_mov_b32_e32 v11, 0
	s_and_not1_b32 s7, s7, exec_lo
	s_and_b32 s24, vcc_lo, exec_lo
	s_delay_alu instid0(SALU_CYCLE_1)
	s_or_b32 s7, s7, s24
	s_or_b32 exec_lo, exec_lo, s25
	s_and_saveexec_b32 s24, s7
	s_cbranch_execnz .LBB6_5623
	s_branch .LBB6_5624
.LBB6_6942:                             ;   in Loop: Header=BB6_4903 Depth=2
	s_mov_b32 s7, -1
	s_mov_b32 s26, exec_lo
                                        ; implicit-def: $sgpr24
	v_cmpx_eq_u16_e32 0x80, v11
; %bb.6943:                             ;   in Loop: Header=BB6_4903 Depth=2
	s_mov_b32 s24, 0x7f800001
	s_xor_b32 s7, exec_lo, -1
; %bb.6944:                             ;   in Loop: Header=BB6_4903 Depth=2
	s_or_b32 exec_lo, exec_lo, s26
	s_delay_alu instid0(SALU_CYCLE_1)
	s_and_b32 s7, s7, exec_lo
                                        ; implicit-def: $vgpr11
	s_or_saveexec_b32 s25, s25
	v_mov_b32_e32 v10, s24
	s_xor_b32 exec_lo, exec_lo, s25
	s_cbranch_execz .LBB6_5634
.LBB6_6945:                             ;   in Loop: Header=BB6_4903 Depth=2
	v_cmp_ne_u16_e32 vcc_lo, 0, v11
	v_mov_b32_e32 v10, 0
	s_and_not1_b32 s7, s7, exec_lo
	s_and_b32 s24, vcc_lo, exec_lo
	s_delay_alu instid0(SALU_CYCLE_1)
	s_or_b32 s7, s7, s24
	s_or_b32 exec_lo, exec_lo, s25
	s_and_saveexec_b32 s24, s7
	s_cbranch_execnz .LBB6_5635
	s_branch .LBB6_5636
.LBB6_6946:                             ;   in Loop: Header=BB6_4903 Depth=2
	s_mov_b32 s7, -1
	s_mov_b32 s26, exec_lo
                                        ; implicit-def: $sgpr24
	v_cmpx_eq_u16_e32 0x80, v10
; %bb.6947:                             ;   in Loop: Header=BB6_4903 Depth=2
	s_mov_b32 s24, 0x7f800001
	s_xor_b32 s7, exec_lo, -1
; %bb.6948:                             ;   in Loop: Header=BB6_4903 Depth=2
	s_or_b32 exec_lo, exec_lo, s26
	s_delay_alu instid0(SALU_CYCLE_1)
	s_and_b32 s7, s7, exec_lo
	s_or_saveexec_b32 s25, s25
	v_mov_b32_e32 v11, s24
	s_xor_b32 exec_lo, exec_lo, s25
	s_cbranch_execz .LBB6_5646
.LBB6_6949:                             ;   in Loop: Header=BB6_4903 Depth=2
	v_cmp_ne_u16_e32 vcc_lo, 0, v10
	v_mov_b32_e32 v11, 0
	s_and_not1_b32 s7, s7, exec_lo
	s_and_b32 s24, vcc_lo, exec_lo
	s_delay_alu instid0(SALU_CYCLE_1)
	s_or_b32 s7, s7, s24
	s_or_b32 exec_lo, exec_lo, s25
	s_and_saveexec_b32 s24, s7
	s_cbranch_execnz .LBB6_5647
	s_branch .LBB6_5648
.LBB6_6950:                             ;   in Loop: Header=BB6_4903 Depth=2
	s_mov_b32 s7, -1
	s_mov_b32 s26, exec_lo
                                        ; implicit-def: $sgpr24
	v_cmpx_eq_u16_e32 0x80, v12
; %bb.6951:                             ;   in Loop: Header=BB6_4903 Depth=2
	s_mov_b32 s24, 0x7f800001
	s_xor_b32 s7, exec_lo, -1
; %bb.6952:                             ;   in Loop: Header=BB6_4903 Depth=2
	s_or_b32 exec_lo, exec_lo, s26
	s_delay_alu instid0(SALU_CYCLE_1)
	s_and_b32 s7, s7, exec_lo
                                        ; implicit-def: $vgpr12
	s_or_saveexec_b32 s25, s25
	v_mov_b32_e32 v11, s24
	s_xor_b32 exec_lo, exec_lo, s25
	s_cbranch_execz .LBB6_5658
.LBB6_6953:                             ;   in Loop: Header=BB6_4903 Depth=2
	v_cmp_ne_u16_e32 vcc_lo, 0, v12
	v_mov_b32_e32 v11, 0
	s_and_not1_b32 s7, s7, exec_lo
	s_and_b32 s24, vcc_lo, exec_lo
	s_delay_alu instid0(SALU_CYCLE_1)
	s_or_b32 s7, s7, s24
	s_or_b32 exec_lo, exec_lo, s25
	s_and_saveexec_b32 s24, s7
	s_cbranch_execnz .LBB6_5659
	s_branch .LBB6_5660
.LBB6_6954:                             ;   in Loop: Header=BB6_4903 Depth=2
	s_mov_b32 s7, -1
	s_mov_b32 s26, exec_lo
                                        ; implicit-def: $sgpr24
	v_cmpx_eq_u16_e32 0x80, v10
; %bb.6955:                             ;   in Loop: Header=BB6_4903 Depth=2
	s_mov_b32 s24, 0x7f800001
	s_xor_b32 s7, exec_lo, -1
; %bb.6956:                             ;   in Loop: Header=BB6_4903 Depth=2
	s_or_b32 exec_lo, exec_lo, s26
	s_delay_alu instid0(SALU_CYCLE_1)
	s_and_b32 s7, s7, exec_lo
	s_or_saveexec_b32 s25, s25
	v_mov_b32_e32 v11, s24
	s_xor_b32 exec_lo, exec_lo, s25
	s_cbranch_execz .LBB6_5670
.LBB6_6957:                             ;   in Loop: Header=BB6_4903 Depth=2
	v_cmp_ne_u16_e32 vcc_lo, 0, v10
	v_mov_b32_e32 v11, 0
	s_and_not1_b32 s7, s7, exec_lo
	s_and_b32 s24, vcc_lo, exec_lo
	s_delay_alu instid0(SALU_CYCLE_1)
	s_or_b32 s7, s7, s24
	s_or_b32 exec_lo, exec_lo, s25
	s_and_saveexec_b32 s24, s7
	s_cbranch_execnz .LBB6_5671
	s_branch .LBB6_5672
.LBB6_6958:                             ;   in Loop: Header=BB6_4903 Depth=2
	s_mov_b32 s7, -1
	s_mov_b32 s25, exec_lo
                                        ; implicit-def: $sgpr23
	v_cmpx_eq_u16_e32 0x80, v90
; %bb.6959:                             ;   in Loop: Header=BB6_4903 Depth=2
	s_mov_b32 s23, 0x7f800001
	s_xor_b32 s7, exec_lo, -1
; %bb.6960:                             ;   in Loop: Header=BB6_4903 Depth=2
	s_or_b32 exec_lo, exec_lo, s25
	s_delay_alu instid0(SALU_CYCLE_1)
	s_and_b32 s7, s7, exec_lo
                                        ; implicit-def: $vgpr90
	s_or_saveexec_b32 s24, s24
	v_mov_b32_e32 v89, s23
	s_xor_b32 exec_lo, exec_lo, s24
	s_cbranch_execz .LBB6_5682
.LBB6_6961:                             ;   in Loop: Header=BB6_4903 Depth=2
	v_cmp_ne_u16_e32 vcc_lo, 0, v90
	v_mov_b32_e32 v89, 0
	s_and_not1_b32 s7, s7, exec_lo
	s_and_b32 s23, vcc_lo, exec_lo
	s_delay_alu instid0(SALU_CYCLE_1)
	s_or_b32 s7, s7, s23
	s_or_b32 exec_lo, exec_lo, s24
	s_and_saveexec_b32 s23, s7
	s_cbranch_execnz .LBB6_5683
	s_branch .LBB6_5684
.LBB6_6962:                             ;   in Loop: Header=BB6_4903 Depth=2
	s_mov_b32 s7, -1
	s_mov_b32 s25, exec_lo
                                        ; implicit-def: $sgpr23
	v_cmpx_eq_u16_e32 0x80, v90
; %bb.6963:                             ;   in Loop: Header=BB6_4903 Depth=2
	s_mov_b32 s23, 0x7f800001
	s_xor_b32 s7, exec_lo, -1
; %bb.6964:                             ;   in Loop: Header=BB6_4903 Depth=2
	s_or_b32 exec_lo, exec_lo, s25
	s_delay_alu instid0(SALU_CYCLE_1)
	s_and_b32 s7, s7, exec_lo
                                        ; implicit-def: $vgpr90
	s_or_saveexec_b32 s24, s24
	v_mov_b32_e32 v113, s23
	s_xor_b32 exec_lo, exec_lo, s24
	s_cbranch_execz .LBB6_5686
.LBB6_6965:                             ;   in Loop: Header=BB6_4903 Depth=2
	v_cmp_ne_u16_e32 vcc_lo, 0, v90
	v_mov_b32_e32 v113, 0
	s_and_not1_b32 s7, s7, exec_lo
	s_and_b32 s23, vcc_lo, exec_lo
	s_delay_alu instid0(SALU_CYCLE_1)
	s_or_b32 s7, s7, s23
	s_or_b32 exec_lo, exec_lo, s24
	s_and_saveexec_b32 s23, s7
	s_cbranch_execnz .LBB6_5687
	s_branch .LBB6_5688
.LBB6_6966:                             ;   in Loop: Header=BB6_4903 Depth=2
	s_mov_b32 s7, -1
	s_mov_b32 s25, exec_lo
                                        ; implicit-def: $sgpr23
	v_cmpx_eq_u16_e32 0x80, v90
; %bb.6967:                             ;   in Loop: Header=BB6_4903 Depth=2
	s_mov_b32 s23, 0x7f800001
	s_xor_b32 s7, exec_lo, -1
; %bb.6968:                             ;   in Loop: Header=BB6_4903 Depth=2
	s_or_b32 exec_lo, exec_lo, s25
	s_delay_alu instid0(SALU_CYCLE_1)
	s_and_b32 s7, s7, exec_lo
                                        ; implicit-def: $vgpr90
	s_or_saveexec_b32 s24, s24
	v_mov_b32_e32 v89, s23
	s_xor_b32 exec_lo, exec_lo, s24
	s_cbranch_execz .LBB6_5698
.LBB6_6969:                             ;   in Loop: Header=BB6_4903 Depth=2
	v_cmp_ne_u16_e32 vcc_lo, 0, v90
	v_mov_b32_e32 v89, 0
	s_and_not1_b32 s7, s7, exec_lo
	s_and_b32 s23, vcc_lo, exec_lo
	s_delay_alu instid0(SALU_CYCLE_1)
	s_or_b32 s7, s7, s23
	s_or_b32 exec_lo, exec_lo, s24
	s_and_saveexec_b32 s23, s7
	s_cbranch_execnz .LBB6_5699
	s_branch .LBB6_5700
.LBB6_6970:                             ;   in Loop: Header=BB6_4903 Depth=2
	s_mov_b32 s7, -1
	s_mov_b32 s25, exec_lo
                                        ; implicit-def: $sgpr23
	v_cmpx_eq_u16_e32 0x80, v115
; %bb.6971:                             ;   in Loop: Header=BB6_4903 Depth=2
	s_mov_b32 s23, 0x7f800001
	s_xor_b32 s7, exec_lo, -1
; %bb.6972:                             ;   in Loop: Header=BB6_4903 Depth=2
	s_or_b32 exec_lo, exec_lo, s25
	s_delay_alu instid0(SALU_CYCLE_1)
	s_and_b32 s7, s7, exec_lo
	s_or_saveexec_b32 s24, s24
	v_mov_b32_e32 v90, s23
	s_xor_b32 exec_lo, exec_lo, s24
	s_cbranch_execz .LBB6_5702
.LBB6_6973:                             ;   in Loop: Header=BB6_4903 Depth=2
	v_cmp_ne_u16_e32 vcc_lo, 0, v115
	v_mov_b32_e32 v90, 0
	s_and_not1_b32 s7, s7, exec_lo
	s_and_b32 s23, vcc_lo, exec_lo
	s_delay_alu instid0(SALU_CYCLE_1)
	s_or_b32 s7, s7, s23
	s_or_b32 exec_lo, exec_lo, s24
	s_and_saveexec_b32 s23, s7
	s_cbranch_execnz .LBB6_5703
	s_branch .LBB6_5704
.LBB6_6974:                             ;   in Loop: Header=BB6_4903 Depth=2
	s_mov_b32 s7, -1
	s_mov_b32 s25, exec_lo
                                        ; implicit-def: $sgpr23
	v_cmpx_eq_u16_e32 0x80, v90
; %bb.6975:                             ;   in Loop: Header=BB6_4903 Depth=2
	s_mov_b32 s23, 0x7f800001
	s_xor_b32 s7, exec_lo, -1
; %bb.6976:                             ;   in Loop: Header=BB6_4903 Depth=2
	s_or_b32 exec_lo, exec_lo, s25
	s_delay_alu instid0(SALU_CYCLE_1)
	s_and_b32 s7, s7, exec_lo
                                        ; implicit-def: $vgpr90
	s_or_saveexec_b32 s24, s24
	v_mov_b32_e32 v89, s23
	s_xor_b32 exec_lo, exec_lo, s24
	s_cbranch_execz .LBB6_5714
.LBB6_6977:                             ;   in Loop: Header=BB6_4903 Depth=2
	v_cmp_ne_u16_e32 vcc_lo, 0, v90
	v_mov_b32_e32 v89, 0
	s_and_not1_b32 s7, s7, exec_lo
	s_and_b32 s23, vcc_lo, exec_lo
	s_delay_alu instid0(SALU_CYCLE_1)
	s_or_b32 s7, s7, s23
	s_or_b32 exec_lo, exec_lo, s24
	s_and_saveexec_b32 s23, s7
	s_cbranch_execnz .LBB6_5715
	s_branch .LBB6_5716
.LBB6_6978:                             ;   in Loop: Header=BB6_4903 Depth=2
	s_mov_b32 s7, -1
	s_mov_b32 s25, exec_lo
                                        ; implicit-def: $sgpr23
	v_cmpx_eq_u16_e32 0x80, v91
; %bb.6979:                             ;   in Loop: Header=BB6_4903 Depth=2
	s_mov_b32 s23, 0x7f800001
	s_xor_b32 s7, exec_lo, -1
; %bb.6980:                             ;   in Loop: Header=BB6_4903 Depth=2
	s_or_b32 exec_lo, exec_lo, s25
	s_delay_alu instid0(SALU_CYCLE_1)
	s_and_b32 s7, s7, exec_lo
                                        ; implicit-def: $vgpr91
	s_or_saveexec_b32 s24, s24
	v_mov_b32_e32 v90, s23
	s_xor_b32 exec_lo, exec_lo, s24
	s_cbranch_execz .LBB6_5718
.LBB6_6981:                             ;   in Loop: Header=BB6_4903 Depth=2
	v_cmp_ne_u16_e32 vcc_lo, 0, v91
	v_mov_b32_e32 v90, 0
	s_and_not1_b32 s7, s7, exec_lo
	s_and_b32 s23, vcc_lo, exec_lo
	s_delay_alu instid0(SALU_CYCLE_1)
	s_or_b32 s7, s7, s23
	s_or_b32 exec_lo, exec_lo, s24
	s_and_saveexec_b32 s23, s7
	s_cbranch_execnz .LBB6_5719
	s_branch .LBB6_5720
.LBB6_6982:                             ;   in Loop: Header=BB6_4903 Depth=2
	s_mov_b32 s7, -1
	s_mov_b32 s25, exec_lo
                                        ; implicit-def: $sgpr23
	v_cmpx_eq_u16_e32 0x80, v90
; %bb.6983:                             ;   in Loop: Header=BB6_4903 Depth=2
	s_mov_b32 s23, 0x7f800001
	s_xor_b32 s7, exec_lo, -1
; %bb.6984:                             ;   in Loop: Header=BB6_4903 Depth=2
	s_or_b32 exec_lo, exec_lo, s25
	s_delay_alu instid0(SALU_CYCLE_1)
	s_and_b32 s7, s7, exec_lo
	s_or_saveexec_b32 s24, s24
	v_mov_b32_e32 v89, s23
	s_xor_b32 exec_lo, exec_lo, s24
	s_cbranch_execz .LBB6_5730
.LBB6_6985:                             ;   in Loop: Header=BB6_4903 Depth=2
	v_cmp_ne_u16_e32 vcc_lo, 0, v90
	v_mov_b32_e32 v89, 0
	s_and_not1_b32 s7, s7, exec_lo
	s_and_b32 s23, vcc_lo, exec_lo
	s_delay_alu instid0(SALU_CYCLE_1)
	s_or_b32 s7, s7, s23
	s_or_b32 exec_lo, exec_lo, s24
	s_and_saveexec_b32 s23, s7
	s_cbranch_execnz .LBB6_5731
	s_branch .LBB6_5732
.LBB6_6986:                             ;   in Loop: Header=BB6_4903 Depth=2
	s_mov_b32 s7, -1
	s_mov_b32 s25, exec_lo
                                        ; implicit-def: $sgpr23
	v_cmpx_eq_u16_e64 0x80, v149
; %bb.6987:                             ;   in Loop: Header=BB6_4903 Depth=2
	s_mov_b32 s23, 0x7f800001
	s_xor_b32 s7, exec_lo, -1
; %bb.6988:                             ;   in Loop: Header=BB6_4903 Depth=2
	s_or_b32 exec_lo, exec_lo, s25
	s_delay_alu instid0(SALU_CYCLE_1)
	s_and_b32 s7, s7, exec_lo
	s_or_saveexec_b32 s24, s24
	v_mov_b32_e32 v90, s23
	s_xor_b32 exec_lo, exec_lo, s24
	s_cbranch_execz .LBB6_5734
.LBB6_6989:                             ;   in Loop: Header=BB6_4903 Depth=2
	v_cmp_ne_u16_e64 vcc_lo, 0, v149
	v_mov_b32_e32 v90, 0
	s_and_not1_b32 s7, s7, exec_lo
	s_delay_alu instid0(VALU_DEP_2) | instskip(NEXT) | instid1(SALU_CYCLE_1)
	s_and_b32 s23, vcc_lo, exec_lo
	s_or_b32 s7, s7, s23
	s_or_b32 exec_lo, exec_lo, s24
	s_and_saveexec_b32 s23, s7
	s_cbranch_execnz .LBB6_5735
	s_branch .LBB6_5736
.LBB6_6990:                             ;   in Loop: Header=BB6_4903 Depth=2
	s_mov_b32 s7, -1
	s_mov_b32 s25, exec_lo
                                        ; implicit-def: $sgpr23
	v_cmpx_eq_u16_e64 0x80, v149
; %bb.6991:                             ;   in Loop: Header=BB6_4903 Depth=2
	s_mov_b32 s23, 0x7f800001
	s_xor_b32 s7, exec_lo, -1
; %bb.6992:                             ;   in Loop: Header=BB6_4903 Depth=2
	s_or_b32 exec_lo, exec_lo, s25
	s_delay_alu instid0(SALU_CYCLE_1)
	s_and_b32 s7, s7, exec_lo
                                        ; implicit-def: $vgpr149
	s_or_saveexec_b32 s24, s24
	v_mov_b32_e32 v145, s23
	s_xor_b32 exec_lo, exec_lo, s24
	s_cbranch_execz .LBB6_5746
.LBB6_6993:                             ;   in Loop: Header=BB6_4903 Depth=2
	v_cmp_ne_u16_e64 vcc_lo, 0, v149
	v_mov_b32_e32 v145, 0
	s_and_not1_b32 s7, s7, exec_lo
	s_delay_alu instid0(VALU_DEP_2) | instskip(NEXT) | instid1(SALU_CYCLE_1)
	s_and_b32 s23, vcc_lo, exec_lo
	s_or_b32 s7, s7, s23
	s_or_b32 exec_lo, exec_lo, s24
	s_and_saveexec_b32 s23, s7
	s_cbranch_execnz .LBB6_5747
	s_branch .LBB6_5748
.LBB6_6994:                             ;   in Loop: Header=BB6_4903 Depth=2
	s_mov_b32 s7, -1
	s_mov_b32 s25, exec_lo
                                        ; implicit-def: $sgpr23
	v_cmpx_eq_u16_e32 0x80, v89
; %bb.6995:                             ;   in Loop: Header=BB6_4903 Depth=2
	s_mov_b32 s23, 0x7f800001
	s_xor_b32 s7, exec_lo, -1
; %bb.6996:                             ;   in Loop: Header=BB6_4903 Depth=2
	s_or_b32 exec_lo, exec_lo, s25
	s_delay_alu instid0(SALU_CYCLE_1)
	s_and_b32 s7, s7, exec_lo
                                        ; implicit-def: $vgpr89
	s_or_saveexec_b32 s24, s24
	v_mov_b32_e32 v149, s23
	s_xor_b32 exec_lo, exec_lo, s24
	s_cbranch_execz .LBB6_5750
.LBB6_6997:                             ;   in Loop: Header=BB6_4903 Depth=2
	v_cmp_ne_u16_e32 vcc_lo, 0, v89
	v_mov_b32_e32 v149, 0
	s_and_not1_b32 s7, s7, exec_lo
	s_and_b32 s23, vcc_lo, exec_lo
	s_delay_alu instid0(SALU_CYCLE_1)
	s_or_b32 s7, s7, s23
	s_or_b32 exec_lo, exec_lo, s24
	s_and_saveexec_b32 s23, s7
	s_cbranch_execnz .LBB6_5751
	s_branch .LBB6_5752
.LBB6_6998:                             ;   in Loop: Header=BB6_4903 Depth=2
	s_mov_b32 s7, -1
	s_mov_b32 s25, exec_lo
                                        ; implicit-def: $sgpr23
	v_cmpx_eq_u16_e32 0x80, v89
; %bb.6999:                             ;   in Loop: Header=BB6_4903 Depth=2
	s_mov_b32 s23, 0x7f800001
	s_xor_b32 s7, exec_lo, -1
; %bb.7000:                             ;   in Loop: Header=BB6_4903 Depth=2
	s_or_b32 exec_lo, exec_lo, s25
	s_delay_alu instid0(SALU_CYCLE_1)
	s_and_b32 s7, s7, exec_lo
	s_or_saveexec_b32 s24, s24
	v_mov_b32_e32 v149, s23
	s_xor_b32 exec_lo, exec_lo, s24
	s_cbranch_execz .LBB6_5762
.LBB6_7001:                             ;   in Loop: Header=BB6_4903 Depth=2
	v_cmp_ne_u16_e32 vcc_lo, 0, v89
	v_mov_b32_e32 v149, 0
	s_and_not1_b32 s7, s7, exec_lo
	s_and_b32 s23, vcc_lo, exec_lo
	s_delay_alu instid0(SALU_CYCLE_1)
	s_or_b32 s7, s7, s23
	s_or_b32 exec_lo, exec_lo, s24
	s_and_saveexec_b32 s23, s7
	s_cbranch_execnz .LBB6_5763
	s_branch .LBB6_5764
.LBB6_7002:                             ;   in Loop: Header=BB6_4903 Depth=2
	s_mov_b32 s7, -1
	s_mov_b32 s25, exec_lo
                                        ; implicit-def: $sgpr23
	v_cmpx_eq_u16_e32 0x80, v89
; %bb.7003:                             ;   in Loop: Header=BB6_4903 Depth=2
	s_mov_b32 s23, 0x7f800001
	s_xor_b32 s7, exec_lo, -1
; %bb.7004:                             ;   in Loop: Header=BB6_4903 Depth=2
	s_or_b32 exec_lo, exec_lo, s25
	s_delay_alu instid0(SALU_CYCLE_1)
	s_and_b32 s7, s7, exec_lo
	s_or_saveexec_b32 s24, s24
	v_mov_b32_e32 v90, s23
	s_xor_b32 exec_lo, exec_lo, s24
	s_cbranch_execz .LBB6_5766
.LBB6_7005:                             ;   in Loop: Header=BB6_4903 Depth=2
	v_cmp_ne_u16_e32 vcc_lo, 0, v89
	v_mov_b32_e32 v90, 0
	s_and_not1_b32 s7, s7, exec_lo
	s_and_b32 s23, vcc_lo, exec_lo
	s_delay_alu instid0(SALU_CYCLE_1)
	s_or_b32 s7, s7, s23
	s_or_b32 exec_lo, exec_lo, s24
	s_and_saveexec_b32 s23, s7
	s_cbranch_execnz .LBB6_5767
	s_branch .LBB6_5768
.LBB6_7006:                             ;   in Loop: Header=BB6_4903 Depth=2
	s_mov_b32 s7, -1
	s_mov_b32 s25, exec_lo
                                        ; implicit-def: $sgpr23
	v_cmpx_eq_u16_e32 0x80, v89
; %bb.7007:                             ;   in Loop: Header=BB6_4903 Depth=2
	s_mov_b32 s23, 0x7f800001
	s_xor_b32 s7, exec_lo, -1
; %bb.7008:                             ;   in Loop: Header=BB6_4903 Depth=2
	s_or_b32 exec_lo, exec_lo, s25
	s_delay_alu instid0(SALU_CYCLE_1)
	s_and_b32 s7, s7, exec_lo
                                        ; implicit-def: $vgpr89
	s_or_saveexec_b32 s24, s24
	v_mov_b32_e32 v162, s23
	s_xor_b32 exec_lo, exec_lo, s24
	s_cbranch_execz .LBB6_5778
.LBB6_7009:                             ;   in Loop: Header=BB6_4903 Depth=2
	v_cmp_ne_u16_e32 vcc_lo, 0, v89
	v_mov_b32_e32 v162, 0
	s_and_not1_b32 s7, s7, exec_lo
	s_and_b32 s23, vcc_lo, exec_lo
	s_delay_alu instid0(SALU_CYCLE_1)
	s_or_b32 s7, s7, s23
	s_or_b32 exec_lo, exec_lo, s24
	v_lshl_or_b32 v79, v79, 16, v88
	s_and_saveexec_b32 s23, s7
	s_cbranch_execnz .LBB6_5779
	s_branch .LBB6_5780
.LBB6_7010:                             ;   in Loop: Header=BB6_4903 Depth=2
	s_mov_b32 s7, -1
	s_mov_b32 s25, exec_lo
                                        ; implicit-def: $sgpr23
	v_cmpx_eq_u16_e32 0x80, v90
; %bb.7011:                             ;   in Loop: Header=BB6_4903 Depth=2
	s_mov_b32 s23, 0x7f800001
	s_xor_b32 s7, exec_lo, -1
; %bb.7012:                             ;   in Loop: Header=BB6_4903 Depth=2
	s_or_b32 exec_lo, exec_lo, s25
	s_delay_alu instid0(SALU_CYCLE_1)
	s_and_b32 s7, s7, exec_lo
                                        ; implicit-def: $vgpr90
	s_or_saveexec_b32 s24, s24
	v_mov_b32_e32 v89, s23
	s_xor_b32 exec_lo, exec_lo, s24
	s_cbranch_execz .LBB6_5782
.LBB6_7013:                             ;   in Loop: Header=BB6_4903 Depth=2
	v_cmp_ne_u16_e32 vcc_lo, 0, v90
	v_mov_b32_e32 v89, 0
	s_and_not1_b32 s7, s7, exec_lo
	s_and_b32 s23, vcc_lo, exec_lo
	s_delay_alu instid0(SALU_CYCLE_1)
	s_or_b32 s7, s7, s23
	s_or_b32 exec_lo, exec_lo, s24
	s_and_saveexec_b32 s23, s7
	s_cbranch_execnz .LBB6_5783
	s_branch .LBB6_5784
.LBB6_7014:                             ;   in Loop: Header=BB6_4903 Depth=2
	s_mov_b32 s7, -1
	s_mov_b32 s25, exec_lo
                                        ; implicit-def: $sgpr23
	v_cmpx_eq_u16_e32 0x80, v89
; %bb.7015:                             ;   in Loop: Header=BB6_4903 Depth=2
	s_mov_b32 s23, 0x7f800001
	s_xor_b32 s7, exec_lo, -1
; %bb.7016:                             ;   in Loop: Header=BB6_4903 Depth=2
	s_or_b32 exec_lo, exec_lo, s25
	s_delay_alu instid0(SALU_CYCLE_1)
	s_and_b32 s7, s7, exec_lo
	s_or_saveexec_b32 s24, s24
	v_mov_b32_e32 v88, s23
	s_xor_b32 exec_lo, exec_lo, s24
	s_cbranch_execz .LBB6_5794
.LBB6_7017:                             ;   in Loop: Header=BB6_4903 Depth=2
	v_cmp_ne_u16_e32 vcc_lo, 0, v89
	v_mov_b32_e32 v88, 0
	s_and_not1_b32 s7, s7, exec_lo
	s_and_b32 s23, vcc_lo, exec_lo
	s_delay_alu instid0(SALU_CYCLE_1)
	s_or_b32 s7, s7, s23
	s_or_b32 exec_lo, exec_lo, s24
	s_and_saveexec_b32 s23, s7
	s_cbranch_execnz .LBB6_5795
	s_branch .LBB6_5796
.LBB6_7018:                             ;   in Loop: Header=BB6_4903 Depth=2
	s_mov_b32 s7, -1
	s_mov_b32 s25, exec_lo
                                        ; implicit-def: $sgpr23
	v_cmpx_eq_u16_e32 0x80, v79
; %bb.7019:                             ;   in Loop: Header=BB6_4903 Depth=2
	s_mov_b32 s23, 0x7f800001
	s_xor_b32 s7, exec_lo, -1
; %bb.7020:                             ;   in Loop: Header=BB6_4903 Depth=2
	s_or_b32 exec_lo, exec_lo, s25
	s_delay_alu instid0(SALU_CYCLE_1)
	s_and_b32 s7, s7, exec_lo
	s_or_saveexec_b32 s24, s24
	v_mov_b32_e32 v89, s23
	s_xor_b32 exec_lo, exec_lo, s24
	s_cbranch_execz .LBB6_5798
.LBB6_7021:                             ;   in Loop: Header=BB6_4903 Depth=2
	v_cmp_ne_u16_e32 vcc_lo, 0, v79
	v_mov_b32_e32 v89, 0
	s_and_not1_b32 s7, s7, exec_lo
	s_and_b32 s23, vcc_lo, exec_lo
	s_delay_alu instid0(SALU_CYCLE_1)
	s_or_b32 s7, s7, s23
	s_or_b32 exec_lo, exec_lo, s24
	s_and_saveexec_b32 s23, s7
	s_cbranch_execnz .LBB6_5799
	s_branch .LBB6_5800
.LBB6_7022:                             ;   in Loop: Header=BB6_4903 Depth=2
	s_mov_b32 s7, -1
	s_mov_b32 s25, exec_lo
                                        ; implicit-def: $sgpr23
	v_cmpx_eq_u16_e32 0x80, v88
; %bb.7023:                             ;   in Loop: Header=BB6_4903 Depth=2
	s_mov_b32 s23, 0x7f800001
	s_xor_b32 s7, exec_lo, -1
; %bb.7024:                             ;   in Loop: Header=BB6_4903 Depth=2
	s_or_b32 exec_lo, exec_lo, s25
	s_delay_alu instid0(SALU_CYCLE_1)
	s_and_b32 s7, s7, exec_lo
                                        ; implicit-def: $vgpr88
	s_or_saveexec_b32 s24, s24
	v_mov_b32_e32 v79, s23
	s_xor_b32 exec_lo, exec_lo, s24
	s_cbranch_execz .LBB6_5810
.LBB6_7025:                             ;   in Loop: Header=BB6_4903 Depth=2
	v_cmp_ne_u16_e32 vcc_lo, 0, v88
	v_mov_b32_e32 v79, 0
	s_and_not1_b32 s7, s7, exec_lo
	s_and_b32 s23, vcc_lo, exec_lo
	s_delay_alu instid0(SALU_CYCLE_1)
	s_or_b32 s7, s7, s23
	s_or_b32 exec_lo, exec_lo, s24
	s_and_saveexec_b32 s23, s7
	s_cbranch_execnz .LBB6_5811
	s_branch .LBB6_5812
.LBB6_7026:                             ;   in Loop: Header=BB6_4903 Depth=2
	s_mov_b32 s7, -1
	s_mov_b32 s25, exec_lo
                                        ; implicit-def: $sgpr23
	v_cmpx_eq_u16_e32 0x80, v88
; %bb.7027:                             ;   in Loop: Header=BB6_4903 Depth=2
	s_mov_b32 s23, 0x7f800001
	s_xor_b32 s7, exec_lo, -1
; %bb.7028:                             ;   in Loop: Header=BB6_4903 Depth=2
	s_or_b32 exec_lo, exec_lo, s25
	s_delay_alu instid0(SALU_CYCLE_1)
	s_and_b32 s7, s7, exec_lo
                                        ; implicit-def: $vgpr88
	s_or_saveexec_b32 s24, s24
	v_mov_b32_e32 v176, s23
	s_xor_b32 exec_lo, exec_lo, s24
	s_cbranch_execz .LBB6_5814
.LBB6_7029:                             ;   in Loop: Header=BB6_4903 Depth=2
	v_cmp_ne_u16_e32 vcc_lo, 0, v88
	v_mov_b32_e32 v176, 0
	s_and_not1_b32 s7, s7, exec_lo
	s_and_b32 s23, vcc_lo, exec_lo
	s_delay_alu instid0(SALU_CYCLE_1)
	s_or_b32 s7, s7, s23
	s_or_b32 exec_lo, exec_lo, s24
	s_and_saveexec_b32 s23, s7
	s_cbranch_execnz .LBB6_5815
	s_branch .LBB6_5816
.LBB6_7030:                             ;   in Loop: Header=BB6_4903 Depth=2
	s_mov_b32 s7, -1
	s_mov_b32 s25, exec_lo
                                        ; implicit-def: $sgpr23
	v_cmpx_eq_u16_e32 0x80, v88
; %bb.7031:                             ;   in Loop: Header=BB6_4903 Depth=2
	s_mov_b32 s23, 0x7f800001
	s_xor_b32 s7, exec_lo, -1
; %bb.7032:                             ;   in Loop: Header=BB6_4903 Depth=2
	s_or_b32 exec_lo, exec_lo, s25
	s_delay_alu instid0(SALU_CYCLE_1)
	s_and_b32 s7, s7, exec_lo
                                        ; implicit-def: $vgpr88
	s_or_saveexec_b32 s24, s24
	v_mov_b32_e32 v79, s23
	s_xor_b32 exec_lo, exec_lo, s24
	s_cbranch_execz .LBB6_5826
.LBB6_7033:                             ;   in Loop: Header=BB6_4903 Depth=2
	v_cmp_ne_u16_e32 vcc_lo, 0, v88
	v_mov_b32_e32 v79, 0
	s_and_not1_b32 s7, s7, exec_lo
	s_and_b32 s23, vcc_lo, exec_lo
	s_delay_alu instid0(SALU_CYCLE_1)
	s_or_b32 s7, s7, s23
	s_or_b32 exec_lo, exec_lo, s24
	s_and_saveexec_b32 s23, s7
	s_cbranch_execnz .LBB6_5827
	s_branch .LBB6_5828
.LBB6_7034:                             ;   in Loop: Header=BB6_4903 Depth=2
	s_mov_b32 s7, -1
	s_mov_b32 s25, exec_lo
                                        ; implicit-def: $sgpr23
	v_cmpx_eq_u16_e64 0x80, v181
; %bb.7035:                             ;   in Loop: Header=BB6_4903 Depth=2
	s_mov_b32 s23, 0x7f800001
	s_xor_b32 s7, exec_lo, -1
; %bb.7036:                             ;   in Loop: Header=BB6_4903 Depth=2
	s_or_b32 exec_lo, exec_lo, s25
	s_delay_alu instid0(SALU_CYCLE_1)
	s_and_b32 s7, s7, exec_lo
	s_or_saveexec_b32 s24, s24
	v_mov_b32_e32 v88, s23
	s_xor_b32 exec_lo, exec_lo, s24
	s_cbranch_execz .LBB6_5830
.LBB6_7037:                             ;   in Loop: Header=BB6_4903 Depth=2
	v_cmp_ne_u16_e64 vcc_lo, 0, v181
	v_mov_b32_e32 v88, 0
	s_and_not1_b32 s7, s7, exec_lo
	s_delay_alu instid0(VALU_DEP_2) | instskip(NEXT) | instid1(SALU_CYCLE_1)
	s_and_b32 s23, vcc_lo, exec_lo
	s_or_b32 s7, s7, s23
	s_or_b32 exec_lo, exec_lo, s24
	s_and_saveexec_b32 s23, s7
	s_cbranch_execnz .LBB6_5831
	s_branch .LBB6_5832
.LBB6_7038:                             ;   in Loop: Header=BB6_4903 Depth=2
	s_mov_b32 s7, -1
	s_mov_b32 s25, exec_lo
                                        ; implicit-def: $sgpr23
	v_cmpx_eq_u16_e32 0x80, v88
; %bb.7039:                             ;   in Loop: Header=BB6_4903 Depth=2
	s_mov_b32 s23, 0x7f800001
	s_xor_b32 s7, exec_lo, -1
; %bb.7040:                             ;   in Loop: Header=BB6_4903 Depth=2
	s_or_b32 exec_lo, exec_lo, s25
	s_delay_alu instid0(SALU_CYCLE_1)
	s_and_b32 s7, s7, exec_lo
                                        ; implicit-def: $vgpr88
	s_or_saveexec_b32 s24, s24
	v_mov_b32_e32 v79, s23
	s_xor_b32 exec_lo, exec_lo, s24
	s_cbranch_execz .LBB6_5842
.LBB6_7041:                             ;   in Loop: Header=BB6_4903 Depth=2
	v_cmp_ne_u16_e32 vcc_lo, 0, v88
	v_mov_b32_e32 v79, 0
	s_and_not1_b32 s7, s7, exec_lo
	s_and_b32 s23, vcc_lo, exec_lo
	s_delay_alu instid0(SALU_CYCLE_1)
	s_or_b32 s7, s7, s23
	s_or_b32 exec_lo, exec_lo, s24
	s_and_saveexec_b32 s23, s7
	s_cbranch_execnz .LBB6_5843
	s_branch .LBB6_5844
.LBB6_7042:                             ;   in Loop: Header=BB6_4903 Depth=2
	s_mov_b32 s7, -1
	s_mov_b32 s25, exec_lo
                                        ; implicit-def: $sgpr23
	v_cmpx_eq_u16_e32 0x80, v89
; %bb.7043:                             ;   in Loop: Header=BB6_4903 Depth=2
	s_mov_b32 s23, 0x7f800001
	s_xor_b32 s7, exec_lo, -1
; %bb.7044:                             ;   in Loop: Header=BB6_4903 Depth=2
	s_or_b32 exec_lo, exec_lo, s25
	s_delay_alu instid0(SALU_CYCLE_1)
	s_and_b32 s7, s7, exec_lo
                                        ; implicit-def: $vgpr89
	s_or_saveexec_b32 s24, s24
	v_mov_b32_e32 v88, s23
	s_xor_b32 exec_lo, exec_lo, s24
	s_cbranch_execz .LBB6_5846
.LBB6_7045:                             ;   in Loop: Header=BB6_4903 Depth=2
	v_cmp_ne_u16_e32 vcc_lo, 0, v89
	v_mov_b32_e32 v88, 0
	s_and_not1_b32 s7, s7, exec_lo
	s_and_b32 s23, vcc_lo, exec_lo
	s_delay_alu instid0(SALU_CYCLE_1)
	s_or_b32 s7, s7, s23
	s_or_b32 exec_lo, exec_lo, s24
	s_and_saveexec_b32 s23, s7
	s_cbranch_execnz .LBB6_5847
	s_branch .LBB6_5848
.LBB6_7046:                             ;   in Loop: Header=BB6_4903 Depth=2
	s_mov_b32 s7, -1
	s_mov_b32 s25, exec_lo
                                        ; implicit-def: $sgpr23
	v_cmpx_eq_u16_e32 0x80, v88
; %bb.7047:                             ;   in Loop: Header=BB6_4903 Depth=2
	s_mov_b32 s23, 0x7f800001
	s_xor_b32 s7, exec_lo, -1
; %bb.7048:                             ;   in Loop: Header=BB6_4903 Depth=2
	s_or_b32 exec_lo, exec_lo, s25
	s_delay_alu instid0(SALU_CYCLE_1)
	s_and_b32 s7, s7, exec_lo
	s_or_saveexec_b32 s24, s24
	v_mov_b32_e32 v79, s23
	s_xor_b32 exec_lo, exec_lo, s24
	s_cbranch_execz .LBB6_5858
.LBB6_7049:                             ;   in Loop: Header=BB6_4903 Depth=2
	v_cmp_ne_u16_e32 vcc_lo, 0, v88
	v_mov_b32_e32 v79, 0
	s_and_not1_b32 s7, s7, exec_lo
	s_and_b32 s23, vcc_lo, exec_lo
	s_delay_alu instid0(SALU_CYCLE_1)
	s_or_b32 s7, s7, s23
	s_or_b32 exec_lo, exec_lo, s24
	s_and_saveexec_b32 s23, s7
	s_cbranch_execnz .LBB6_5859
	s_branch .LBB6_5860
.LBB6_7050:                             ;   in Loop: Header=BB6_4903 Depth=2
	s_mov_b32 s7, -1
	s_mov_b32 s25, exec_lo
                                        ; implicit-def: $sgpr23
	v_cmpx_eq_u16_e32 0x80, v60
; %bb.7051:                             ;   in Loop: Header=BB6_4903 Depth=2
	s_mov_b32 s23, 0x7f800001
	s_xor_b32 s7, exec_lo, -1
; %bb.7052:                             ;   in Loop: Header=BB6_4903 Depth=2
	s_or_b32 exec_lo, exec_lo, s25
	s_delay_alu instid0(SALU_CYCLE_1)
	s_and_b32 s7, s7, exec_lo
	s_or_saveexec_b32 s24, s24
	v_mov_b32_e32 v88, s23
	s_xor_b32 exec_lo, exec_lo, s24
	s_cbranch_execz .LBB6_5862
.LBB6_7053:                             ;   in Loop: Header=BB6_4903 Depth=2
	v_cmp_ne_u16_e32 vcc_lo, 0, v60
	v_mov_b32_e32 v88, 0
	s_and_not1_b32 s7, s7, exec_lo
	s_and_b32 s23, vcc_lo, exec_lo
	s_delay_alu instid0(SALU_CYCLE_1)
	s_or_b32 s7, s7, s23
	s_or_b32 exec_lo, exec_lo, s24
	s_and_saveexec_b32 s23, s7
	s_cbranch_execnz .LBB6_5863
	s_branch .LBB6_5864
.LBB6_7054:                             ;   in Loop: Header=BB6_4903 Depth=2
	s_mov_b32 s7, -1
	s_mov_b32 s25, exec_lo
                                        ; implicit-def: $sgpr23
	v_cmpx_eq_u16_e32 0x80, v60
; %bb.7055:                             ;   in Loop: Header=BB6_4903 Depth=2
	s_mov_b32 s23, 0x7f800001
	s_xor_b32 s7, exec_lo, -1
; %bb.7056:                             ;   in Loop: Header=BB6_4903 Depth=2
	s_or_b32 exec_lo, exec_lo, s25
	s_delay_alu instid0(SALU_CYCLE_1)
	s_and_b32 s7, s7, exec_lo
                                        ; implicit-def: $vgpr60
	s_or_saveexec_b32 s24, s24
	v_mov_b32_e32 v58, s23
	s_xor_b32 exec_lo, exec_lo, s24
	s_cbranch_execz .LBB6_5874
.LBB6_7057:                             ;   in Loop: Header=BB6_4903 Depth=2
	v_cmp_ne_u16_e32 vcc_lo, 0, v60
	v_mov_b32_e32 v58, 0
	s_and_not1_b32 s7, s7, exec_lo
	s_and_b32 s23, vcc_lo, exec_lo
	s_delay_alu instid0(SALU_CYCLE_1)
	s_or_b32 s7, s7, s23
	s_or_b32 exec_lo, exec_lo, s24
	s_and_saveexec_b32 s23, s7
	s_cbranch_execnz .LBB6_5875
	s_branch .LBB6_5876
.LBB6_7058:                             ;   in Loop: Header=BB6_4903 Depth=2
	s_mov_b32 s7, -1
	s_mov_b32 s25, exec_lo
                                        ; implicit-def: $sgpr23
	v_cmpx_eq_u16_e32 0x80, v79
; %bb.7059:                             ;   in Loop: Header=BB6_4903 Depth=2
	s_mov_b32 s23, 0x7f800001
	s_xor_b32 s7, exec_lo, -1
; %bb.7060:                             ;   in Loop: Header=BB6_4903 Depth=2
	s_or_b32 exec_lo, exec_lo, s25
	s_delay_alu instid0(SALU_CYCLE_1)
	s_and_b32 s7, s7, exec_lo
                                        ; implicit-def: $vgpr79
	s_or_saveexec_b32 s24, s24
	v_mov_b32_e32 v60, s23
	s_xor_b32 exec_lo, exec_lo, s24
	s_cbranch_execz .LBB6_5878
.LBB6_7061:                             ;   in Loop: Header=BB6_4903 Depth=2
	v_cmp_ne_u16_e32 vcc_lo, 0, v79
	v_mov_b32_e32 v60, 0
	s_and_not1_b32 s7, s7, exec_lo
	s_and_b32 s23, vcc_lo, exec_lo
	s_delay_alu instid0(SALU_CYCLE_1)
	s_or_b32 s7, s7, s23
	s_or_b32 exec_lo, exec_lo, s24
	s_and_saveexec_b32 s23, s7
	s_cbranch_execnz .LBB6_5879
	s_branch .LBB6_5880
.LBB6_7062:                             ;   in Loop: Header=BB6_4903 Depth=2
	s_mov_b32 s7, -1
	s_mov_b32 s25, exec_lo
                                        ; implicit-def: $sgpr23
	v_cmpx_eq_u16_e32 0x80, v79
; %bb.7063:                             ;   in Loop: Header=BB6_4903 Depth=2
	s_mov_b32 s23, 0x7f800001
	s_xor_b32 s7, exec_lo, -1
; %bb.7064:                             ;   in Loop: Header=BB6_4903 Depth=2
	s_or_b32 exec_lo, exec_lo, s25
	s_delay_alu instid0(SALU_CYCLE_1)
	s_and_b32 s7, s7, exec_lo
	s_or_saveexec_b32 s24, s24
	v_mov_b32_e32 v60, s23
	s_xor_b32 exec_lo, exec_lo, s24
	s_cbranch_execz .LBB6_5890
.LBB6_7065:                             ;   in Loop: Header=BB6_4903 Depth=2
	v_cmp_ne_u16_e32 vcc_lo, 0, v79
	v_mov_b32_e32 v60, 0
	s_and_not1_b32 s7, s7, exec_lo
	s_and_b32 s23, vcc_lo, exec_lo
	s_delay_alu instid0(SALU_CYCLE_1)
	s_or_b32 s7, s7, s23
	s_or_b32 exec_lo, exec_lo, s24
	s_and_saveexec_b32 s23, s7
	s_cbranch_execnz .LBB6_5891
	s_branch .LBB6_5892
.LBB6_7066:                             ;   in Loop: Header=BB6_4903 Depth=2
	s_mov_b32 s7, -1
	s_mov_b32 s25, exec_lo
                                        ; implicit-def: $sgpr23
	v_cmpx_eq_u16_e32 0x80, v79
; %bb.7067:                             ;   in Loop: Header=BB6_4903 Depth=2
	s_mov_b32 s23, 0x7f800001
	s_xor_b32 s7, exec_lo, -1
; %bb.7068:                             ;   in Loop: Header=BB6_4903 Depth=2
	s_or_b32 exec_lo, exec_lo, s25
	s_delay_alu instid0(SALU_CYCLE_1)
	s_and_b32 s7, s7, exec_lo
	s_or_saveexec_b32 s24, s24
	v_mov_b32_e32 v88, s23
	s_xor_b32 exec_lo, exec_lo, s24
	s_cbranch_execz .LBB6_5894
.LBB6_7069:                             ;   in Loop: Header=BB6_4903 Depth=2
	v_cmp_ne_u16_e32 vcc_lo, 0, v79
	v_mov_b32_e32 v88, 0
	s_and_not1_b32 s7, s7, exec_lo
	s_and_b32 s23, vcc_lo, exec_lo
	s_delay_alu instid0(SALU_CYCLE_1)
	s_or_b32 s7, s7, s23
	s_or_b32 exec_lo, exec_lo, s24
	s_and_saveexec_b32 s23, s7
	s_cbranch_execnz .LBB6_5895
	s_branch .LBB6_5896
.LBB6_7070:                             ;   in Loop: Header=BB6_4903 Depth=2
	s_mov_b32 s7, -1
	s_mov_b32 s25, exec_lo
                                        ; implicit-def: $sgpr23
	v_cmpx_eq_u16_e32 0x80, v79
; %bb.7071:                             ;   in Loop: Header=BB6_4903 Depth=2
	s_mov_b32 s23, 0x7f800001
	s_xor_b32 s7, exec_lo, -1
; %bb.7072:                             ;   in Loop: Header=BB6_4903 Depth=2
	s_or_b32 exec_lo, exec_lo, s25
	s_delay_alu instid0(SALU_CYCLE_1)
	s_and_b32 s7, s7, exec_lo
                                        ; implicit-def: $vgpr79
	s_or_saveexec_b32 s24, s24
	v_mov_b32_e32 v75, s23
	s_xor_b32 exec_lo, exec_lo, s24
	s_cbranch_execz .LBB6_5906
.LBB6_7073:                             ;   in Loop: Header=BB6_4903 Depth=2
	v_cmp_ne_u16_e32 vcc_lo, 0, v79
	v_mov_b32_e32 v75, 0
	s_and_not1_b32 s7, s7, exec_lo
	s_and_b32 s23, vcc_lo, exec_lo
	s_delay_alu instid0(SALU_CYCLE_1)
	s_or_b32 s7, s7, s23
	s_or_b32 exec_lo, exec_lo, s24
	v_lshl_or_b32 v77, v77, 16, v78
	s_and_saveexec_b32 s23, s7
	s_cbranch_execnz .LBB6_5907
	s_branch .LBB6_5908
.LBB6_7074:                             ;   in Loop: Header=BB6_4903 Depth=2
	s_mov_b32 s7, -1
	s_mov_b32 s25, exec_lo
                                        ; implicit-def: $sgpr23
	v_cmpx_eq_u16_e32 0x80, v88
; %bb.7075:                             ;   in Loop: Header=BB6_4903 Depth=2
	s_mov_b32 s23, 0x7f800001
	s_xor_b32 s7, exec_lo, -1
; %bb.7076:                             ;   in Loop: Header=BB6_4903 Depth=2
	s_or_b32 exec_lo, exec_lo, s25
	s_delay_alu instid0(SALU_CYCLE_1)
	s_and_b32 s7, s7, exec_lo
                                        ; implicit-def: $vgpr88
	s_or_saveexec_b32 s24, s24
	v_mov_b32_e32 v79, s23
	s_xor_b32 exec_lo, exec_lo, s24
	s_cbranch_execz .LBB6_5910
.LBB6_7077:                             ;   in Loop: Header=BB6_4903 Depth=2
	v_cmp_ne_u16_e32 vcc_lo, 0, v88
	v_mov_b32_e32 v79, 0
	s_and_not1_b32 s7, s7, exec_lo
	s_and_b32 s23, vcc_lo, exec_lo
	s_delay_alu instid0(SALU_CYCLE_1)
	s_or_b32 s7, s7, s23
	s_or_b32 exec_lo, exec_lo, s24
	s_and_saveexec_b32 s23, s7
	s_cbranch_execnz .LBB6_5911
	s_branch .LBB6_5912
.LBB6_7078:                             ;   in Loop: Header=BB6_4903 Depth=2
	s_mov_b32 s7, -1
	s_mov_b32 s25, exec_lo
                                        ; implicit-def: $sgpr23
	v_cmpx_eq_u16_e32 0x80, v79
; %bb.7079:                             ;   in Loop: Header=BB6_4903 Depth=2
	s_mov_b32 s23, 0x7f800001
	s_xor_b32 s7, exec_lo, -1
; %bb.7080:                             ;   in Loop: Header=BB6_4903 Depth=2
	s_or_b32 exec_lo, exec_lo, s25
	s_delay_alu instid0(SALU_CYCLE_1)
	s_and_b32 s7, s7, exec_lo
	s_or_saveexec_b32 s24, s24
	v_mov_b32_e32 v78, s23
	s_xor_b32 exec_lo, exec_lo, s24
	s_cbranch_execz .LBB6_5922
.LBB6_7081:                             ;   in Loop: Header=BB6_4903 Depth=2
	v_cmp_ne_u16_e32 vcc_lo, 0, v79
	v_mov_b32_e32 v78, 0
	s_and_not1_b32 s7, s7, exec_lo
	s_and_b32 s23, vcc_lo, exec_lo
	s_delay_alu instid0(SALU_CYCLE_1)
	s_or_b32 s7, s7, s23
	s_or_b32 exec_lo, exec_lo, s24
	s_and_saveexec_b32 s23, s7
	s_cbranch_execnz .LBB6_5923
	s_branch .LBB6_5924
.LBB6_7082:                             ;   in Loop: Header=BB6_4903 Depth=2
	s_mov_b32 s7, -1
	s_mov_b32 s25, exec_lo
                                        ; implicit-def: $sgpr23
	v_cmpx_eq_u16_e32 0x80, v77
; %bb.7083:                             ;   in Loop: Header=BB6_4903 Depth=2
	s_mov_b32 s23, 0x7f800001
	s_xor_b32 s7, exec_lo, -1
; %bb.7084:                             ;   in Loop: Header=BB6_4903 Depth=2
	s_or_b32 exec_lo, exec_lo, s25
	s_delay_alu instid0(SALU_CYCLE_1)
	s_and_b32 s7, s7, exec_lo
	s_or_saveexec_b32 s24, s24
	v_mov_b32_e32 v79, s23
	s_xor_b32 exec_lo, exec_lo, s24
	s_cbranch_execz .LBB6_5926
.LBB6_7085:                             ;   in Loop: Header=BB6_4903 Depth=2
	v_cmp_ne_u16_e32 vcc_lo, 0, v77
	v_mov_b32_e32 v79, 0
	s_and_not1_b32 s7, s7, exec_lo
	s_and_b32 s23, vcc_lo, exec_lo
	s_delay_alu instid0(SALU_CYCLE_1)
	s_or_b32 s7, s7, s23
	s_or_b32 exec_lo, exec_lo, s24
	s_and_saveexec_b32 s23, s7
	s_cbranch_execnz .LBB6_5927
	s_branch .LBB6_5928
.LBB6_7086:                             ;   in Loop: Header=BB6_4903 Depth=2
	s_mov_b32 s7, -1
	s_mov_b32 s25, exec_lo
                                        ; implicit-def: $sgpr23
	v_cmpx_eq_u16_e32 0x80, v78
; %bb.7087:                             ;   in Loop: Header=BB6_4903 Depth=2
	s_mov_b32 s23, 0x7f800001
	s_xor_b32 s7, exec_lo, -1
; %bb.7088:                             ;   in Loop: Header=BB6_4903 Depth=2
	s_or_b32 exec_lo, exec_lo, s25
	s_delay_alu instid0(SALU_CYCLE_1)
	s_and_b32 s7, s7, exec_lo
                                        ; implicit-def: $vgpr78
	s_or_saveexec_b32 s24, s24
	v_mov_b32_e32 v77, s23
	s_xor_b32 exec_lo, exec_lo, s24
	s_cbranch_execz .LBB6_5938
.LBB6_7089:                             ;   in Loop: Header=BB6_4903 Depth=2
	v_cmp_ne_u16_e32 vcc_lo, 0, v78
	v_mov_b32_e32 v77, 0
	s_and_not1_b32 s7, s7, exec_lo
	s_and_b32 s23, vcc_lo, exec_lo
	s_delay_alu instid0(SALU_CYCLE_1)
	s_or_b32 s7, s7, s23
	s_or_b32 exec_lo, exec_lo, s24
	s_and_saveexec_b32 s23, s7
	s_cbranch_execnz .LBB6_5939
	s_branch .LBB6_5940
.LBB6_7090:                             ;   in Loop: Header=BB6_4903 Depth=2
	s_mov_b32 s7, -1
	s_mov_b32 s25, exec_lo
                                        ; implicit-def: $sgpr23
	v_cmpx_eq_u16_e32 0x80, v78
; %bb.7091:                             ;   in Loop: Header=BB6_4903 Depth=2
	s_mov_b32 s23, 0x7f800001
	s_xor_b32 s7, exec_lo, -1
; %bb.7092:                             ;   in Loop: Header=BB6_4903 Depth=2
	s_or_b32 exec_lo, exec_lo, s25
	s_delay_alu instid0(SALU_CYCLE_1)
	s_and_b32 s7, s7, exec_lo
                                        ; implicit-def: $vgpr78
	s_or_saveexec_b32 s24, s24
	v_mov_b32_e32 v76, s23
	s_xor_b32 exec_lo, exec_lo, s24
	s_cbranch_execz .LBB6_5942
.LBB6_7093:                             ;   in Loop: Header=BB6_4903 Depth=2
	v_cmp_ne_u16_e32 vcc_lo, 0, v78
	v_mov_b32_e32 v76, 0
	s_and_not1_b32 s7, s7, exec_lo
	s_and_b32 s23, vcc_lo, exec_lo
	s_delay_alu instid0(SALU_CYCLE_1)
	s_or_b32 s7, s7, s23
	s_or_b32 exec_lo, exec_lo, s24
	s_and_saveexec_b32 s23, s7
	s_cbranch_execnz .LBB6_5943
	s_branch .LBB6_5944
.LBB6_7094:                             ;   in Loop: Header=BB6_4903 Depth=2
	s_mov_b32 s7, -1
	s_mov_b32 s25, exec_lo
                                        ; implicit-def: $sgpr23
	v_cmpx_eq_u16_e32 0x80, v78
; %bb.7095:                             ;   in Loop: Header=BB6_4903 Depth=2
	s_mov_b32 s23, 0x7f800001
	s_xor_b32 s7, exec_lo, -1
; %bb.7096:                             ;   in Loop: Header=BB6_4903 Depth=2
	s_or_b32 exec_lo, exec_lo, s25
	s_delay_alu instid0(SALU_CYCLE_1)
	s_and_b32 s7, s7, exec_lo
                                        ; implicit-def: $vgpr78
	s_or_saveexec_b32 s24, s24
	v_mov_b32_e32 v77, s23
	s_xor_b32 exec_lo, exec_lo, s24
	s_cbranch_execz .LBB6_5954
.LBB6_7097:                             ;   in Loop: Header=BB6_4903 Depth=2
	v_cmp_ne_u16_e32 vcc_lo, 0, v78
	v_mov_b32_e32 v77, 0
	s_and_not1_b32 s7, s7, exec_lo
	s_and_b32 s23, vcc_lo, exec_lo
	s_delay_alu instid0(SALU_CYCLE_1)
	s_or_b32 s7, s7, s23
	s_or_b32 exec_lo, exec_lo, s24
	s_and_saveexec_b32 s23, s7
	s_cbranch_execnz .LBB6_5955
	s_branch .LBB6_5956
.LBB6_7098:                             ;   in Loop: Header=BB6_4903 Depth=2
	s_mov_b32 s7, -1
	s_mov_b32 s25, exec_lo
                                        ; implicit-def: $sgpr23
	v_cmpx_eq_u16_e32 0x80, v73
; %bb.7099:                             ;   in Loop: Header=BB6_4903 Depth=2
	s_mov_b32 s23, 0x7f800001
	s_xor_b32 s7, exec_lo, -1
; %bb.7100:                             ;   in Loop: Header=BB6_4903 Depth=2
	s_or_b32 exec_lo, exec_lo, s25
	s_delay_alu instid0(SALU_CYCLE_1)
	s_and_b32 s7, s7, exec_lo
	s_or_saveexec_b32 s24, s24
	v_mov_b32_e32 v78, s23
	s_xor_b32 exec_lo, exec_lo, s24
	s_cbranch_execz .LBB6_5958
.LBB6_7101:                             ;   in Loop: Header=BB6_4903 Depth=2
	v_cmp_ne_u16_e32 vcc_lo, 0, v73
	v_mov_b32_e32 v78, 0
	s_and_not1_b32 s7, s7, exec_lo
	s_and_b32 s23, vcc_lo, exec_lo
	s_delay_alu instid0(SALU_CYCLE_1)
	s_or_b32 s7, s7, s23
	s_or_b32 exec_lo, exec_lo, s24
	s_and_saveexec_b32 s23, s7
	s_cbranch_execnz .LBB6_5959
	s_branch .LBB6_5960
.LBB6_7102:                             ;   in Loop: Header=BB6_4903 Depth=2
	s_mov_b32 s7, -1
	s_mov_b32 s25, exec_lo
                                        ; implicit-def: $sgpr23
	v_cmpx_eq_u16_e32 0x80, v78
; %bb.7103:                             ;   in Loop: Header=BB6_4903 Depth=2
	s_mov_b32 s23, 0x7f800001
	s_xor_b32 s7, exec_lo, -1
; %bb.7104:                             ;   in Loop: Header=BB6_4903 Depth=2
	s_or_b32 exec_lo, exec_lo, s25
	s_delay_alu instid0(SALU_CYCLE_1)
	s_and_b32 s7, s7, exec_lo
                                        ; implicit-def: $vgpr78
	s_or_saveexec_b32 s24, s24
	v_mov_b32_e32 v77, s23
	s_xor_b32 exec_lo, exec_lo, s24
	s_cbranch_execz .LBB6_5970
.LBB6_7105:                             ;   in Loop: Header=BB6_4903 Depth=2
	v_cmp_ne_u16_e32 vcc_lo, 0, v78
	v_mov_b32_e32 v77, 0
	s_and_not1_b32 s7, s7, exec_lo
	s_and_b32 s23, vcc_lo, exec_lo
	s_delay_alu instid0(SALU_CYCLE_1)
	s_or_b32 s7, s7, s23
	s_or_b32 exec_lo, exec_lo, s24
	s_and_saveexec_b32 s23, s7
	s_cbranch_execnz .LBB6_5971
	s_branch .LBB6_5972
.LBB6_7106:                             ;   in Loop: Header=BB6_4903 Depth=2
	s_mov_b32 s7, -1
	s_mov_b32 s25, exec_lo
                                        ; implicit-def: $sgpr23
	v_cmpx_eq_u16_e32 0x80, v79
; %bb.7107:                             ;   in Loop: Header=BB6_4903 Depth=2
	s_mov_b32 s23, 0x7f800001
	s_xor_b32 s7, exec_lo, -1
; %bb.7108:                             ;   in Loop: Header=BB6_4903 Depth=2
	s_or_b32 exec_lo, exec_lo, s25
	s_delay_alu instid0(SALU_CYCLE_1)
	s_and_b32 s7, s7, exec_lo
                                        ; implicit-def: $vgpr79
	s_or_saveexec_b32 s24, s24
	v_mov_b32_e32 v78, s23
	s_xor_b32 exec_lo, exec_lo, s24
	s_cbranch_execz .LBB6_5974
.LBB6_7109:                             ;   in Loop: Header=BB6_4903 Depth=2
	v_cmp_ne_u16_e32 vcc_lo, 0, v79
	v_mov_b32_e32 v78, 0
	s_and_not1_b32 s7, s7, exec_lo
	s_and_b32 s23, vcc_lo, exec_lo
	s_delay_alu instid0(SALU_CYCLE_1)
	s_or_b32 s7, s7, s23
	s_or_b32 exec_lo, exec_lo, s24
	s_and_saveexec_b32 s23, s7
	s_cbranch_execnz .LBB6_5975
	s_branch .LBB6_5976
.LBB6_7110:                             ;   in Loop: Header=BB6_4903 Depth=2
	s_mov_b32 s7, -1
	s_mov_b32 s25, exec_lo
                                        ; implicit-def: $sgpr23
	v_cmpx_eq_u16_e32 0x80, v78
; %bb.7111:                             ;   in Loop: Header=BB6_4903 Depth=2
	s_mov_b32 s23, 0x7f800001
	s_xor_b32 s7, exec_lo, -1
; %bb.7112:                             ;   in Loop: Header=BB6_4903 Depth=2
	s_or_b32 exec_lo, exec_lo, s25
	s_delay_alu instid0(SALU_CYCLE_1)
	s_and_b32 s7, s7, exec_lo
	s_or_saveexec_b32 s24, s24
	v_mov_b32_e32 v77, s23
	s_xor_b32 exec_lo, exec_lo, s24
	s_cbranch_execz .LBB6_5986
.LBB6_7113:                             ;   in Loop: Header=BB6_4903 Depth=2
	v_cmp_ne_u16_e32 vcc_lo, 0, v78
	v_mov_b32_e32 v77, 0
	s_and_not1_b32 s7, s7, exec_lo
	s_and_b32 s23, vcc_lo, exec_lo
	s_delay_alu instid0(SALU_CYCLE_1)
	s_or_b32 s7, s7, s23
	s_or_b32 exec_lo, exec_lo, s24
	s_and_saveexec_b32 s23, s7
	s_cbranch_execnz .LBB6_5987
	s_branch .LBB6_5988
.LBB6_7114:                             ;   in Loop: Header=BB6_4903 Depth=2
	s_mov_b32 s7, -1
	s_mov_b32 s25, exec_lo
                                        ; implicit-def: $sgpr23
	v_cmpx_eq_u16_e32 0x80, v62
; %bb.7115:                             ;   in Loop: Header=BB6_4903 Depth=2
	s_mov_b32 s23, 0x7f800001
	s_xor_b32 s7, exec_lo, -1
; %bb.7116:                             ;   in Loop: Header=BB6_4903 Depth=2
	s_or_b32 exec_lo, exec_lo, s25
	s_delay_alu instid0(SALU_CYCLE_1)
	s_and_b32 s7, s7, exec_lo
	s_or_saveexec_b32 s24, s24
	v_mov_b32_e32 v78, s23
	s_xor_b32 exec_lo, exec_lo, s24
	s_cbranch_execz .LBB6_5990
.LBB6_7117:                             ;   in Loop: Header=BB6_4903 Depth=2
	v_cmp_ne_u16_e32 vcc_lo, 0, v62
	v_mov_b32_e32 v78, 0
	s_and_not1_b32 s7, s7, exec_lo
	s_and_b32 s23, vcc_lo, exec_lo
	s_delay_alu instid0(SALU_CYCLE_1)
	s_or_b32 s7, s7, s23
	s_or_b32 exec_lo, exec_lo, s24
	s_and_saveexec_b32 s23, s7
	s_cbranch_execnz .LBB6_5991
	s_branch .LBB6_5992
.LBB6_7118:                             ;   in Loop: Header=BB6_4903 Depth=2
	s_mov_b32 s7, -1
	s_mov_b32 s25, exec_lo
                                        ; implicit-def: $sgpr23
	v_cmpx_eq_u16_e32 0x80, v62
; %bb.7119:                             ;   in Loop: Header=BB6_4903 Depth=2
	s_mov_b32 s23, 0x7f800001
	s_xor_b32 s7, exec_lo, -1
; %bb.7120:                             ;   in Loop: Header=BB6_4903 Depth=2
	s_or_b32 exec_lo, exec_lo, s25
	s_delay_alu instid0(SALU_CYCLE_1)
	s_and_b32 s7, s7, exec_lo
                                        ; implicit-def: $vgpr62
	s_or_saveexec_b32 s24, s24
	v_mov_b32_e32 v61, s23
	s_xor_b32 exec_lo, exec_lo, s24
	s_cbranch_execz .LBB6_6002
.LBB6_7121:                             ;   in Loop: Header=BB6_4903 Depth=2
	v_cmp_ne_u16_e32 vcc_lo, 0, v62
	v_mov_b32_e32 v61, 0
	s_and_not1_b32 s7, s7, exec_lo
	s_and_b32 s23, vcc_lo, exec_lo
	s_delay_alu instid0(SALU_CYCLE_1)
	s_or_b32 s7, s7, s23
	s_or_b32 exec_lo, exec_lo, s24
	s_and_saveexec_b32 s23, s7
	s_cbranch_execnz .LBB6_6003
	s_branch .LBB6_6004
.LBB6_7122:                             ;   in Loop: Header=BB6_4903 Depth=2
	s_mov_b32 s7, -1
	s_mov_b32 s25, exec_lo
                                        ; implicit-def: $sgpr23
	v_cmpx_eq_u16_e32 0x80, v77
; %bb.7123:                             ;   in Loop: Header=BB6_4903 Depth=2
	s_mov_b32 s23, 0x7f800001
	s_xor_b32 s7, exec_lo, -1
; %bb.7124:                             ;   in Loop: Header=BB6_4903 Depth=2
	s_or_b32 exec_lo, exec_lo, s25
	s_delay_alu instid0(SALU_CYCLE_1)
	s_and_b32 s7, s7, exec_lo
                                        ; implicit-def: $vgpr77
	s_or_saveexec_b32 s24, s24
	v_mov_b32_e32 v62, s23
	s_xor_b32 exec_lo, exec_lo, s24
	s_cbranch_execz .LBB6_6006
.LBB6_7125:                             ;   in Loop: Header=BB6_4903 Depth=2
	v_cmp_ne_u16_e32 vcc_lo, 0, v77
	v_mov_b32_e32 v62, 0
	s_and_not1_b32 s7, s7, exec_lo
	s_and_b32 s23, vcc_lo, exec_lo
	s_delay_alu instid0(SALU_CYCLE_1)
	s_or_b32 s7, s7, s23
	s_or_b32 exec_lo, exec_lo, s24
	s_and_saveexec_b32 s23, s7
	s_cbranch_execnz .LBB6_6007
	s_branch .LBB6_6008
.LBB6_7126:                             ;   in Loop: Header=BB6_4903 Depth=2
	s_mov_b32 s7, -1
	s_mov_b32 s25, exec_lo
                                        ; implicit-def: $sgpr23
	v_cmpx_eq_u16_e32 0x80, v77
; %bb.7127:                             ;   in Loop: Header=BB6_4903 Depth=2
	s_mov_b32 s23, 0x7f800001
	s_xor_b32 s7, exec_lo, -1
; %bb.7128:                             ;   in Loop: Header=BB6_4903 Depth=2
	s_or_b32 exec_lo, exec_lo, s25
	s_delay_alu instid0(SALU_CYCLE_1)
	s_and_b32 s7, s7, exec_lo
	s_or_saveexec_b32 s24, s24
	v_mov_b32_e32 v62, s23
	s_xor_b32 exec_lo, exec_lo, s24
	s_cbranch_execz .LBB6_6018
.LBB6_7129:                             ;   in Loop: Header=BB6_4903 Depth=2
	v_cmp_ne_u16_e32 vcc_lo, 0, v77
	v_mov_b32_e32 v62, 0
	s_and_not1_b32 s7, s7, exec_lo
	s_and_b32 s23, vcc_lo, exec_lo
	s_delay_alu instid0(SALU_CYCLE_1)
	s_or_b32 s7, s7, s23
	s_or_b32 exec_lo, exec_lo, s24
	s_and_saveexec_b32 s23, s7
	s_cbranch_execnz .LBB6_6019
	s_branch .LBB6_6020
.LBB6_7130:                             ;   in Loop: Header=BB6_4903 Depth=2
	s_mov_b32 s7, -1
	s_mov_b32 s25, exec_lo
                                        ; implicit-def: $sgpr23
	v_cmpx_eq_u16_e32 0x80, v77
; %bb.7131:                             ;   in Loop: Header=BB6_4903 Depth=2
	s_mov_b32 s23, 0x7f800001
	s_xor_b32 s7, exec_lo, -1
; %bb.7132:                             ;   in Loop: Header=BB6_4903 Depth=2
	s_or_b32 exec_lo, exec_lo, s25
	s_delay_alu instid0(SALU_CYCLE_1)
	s_and_b32 s7, s7, exec_lo
	s_or_saveexec_b32 s24, s24
	v_mov_b32_e32 v78, s23
	s_xor_b32 exec_lo, exec_lo, s24
	s_cbranch_execz .LBB6_6022
.LBB6_7133:                             ;   in Loop: Header=BB6_4903 Depth=2
	v_cmp_ne_u16_e32 vcc_lo, 0, v77
	v_mov_b32_e32 v78, 0
	s_and_not1_b32 s7, s7, exec_lo
	s_and_b32 s23, vcc_lo, exec_lo
	s_delay_alu instid0(SALU_CYCLE_1)
	s_or_b32 s7, s7, s23
	s_or_b32 exec_lo, exec_lo, s24
	s_and_saveexec_b32 s23, s7
	s_cbranch_execnz .LBB6_6023
	s_branch .LBB6_6024
.LBB6_7134:                             ;   in Loop: Header=BB6_4903 Depth=2
	s_mov_b32 s7, -1
	s_mov_b32 s25, exec_lo
                                        ; implicit-def: $sgpr23
	v_cmpx_eq_u16_e32 0x80, v77
; %bb.7135:                             ;   in Loop: Header=BB6_4903 Depth=2
	s_mov_b32 s23, 0x7f800001
	s_xor_b32 s7, exec_lo, -1
; %bb.7136:                             ;   in Loop: Header=BB6_4903 Depth=2
	s_or_b32 exec_lo, exec_lo, s25
	s_delay_alu instid0(SALU_CYCLE_1)
	s_and_b32 s7, s7, exec_lo
                                        ; implicit-def: $vgpr77
	s_or_saveexec_b32 s24, s24
	v_mov_b32_e32 v59, s23
	s_xor_b32 exec_lo, exec_lo, s24
	s_cbranch_execz .LBB6_6034
.LBB6_7137:                             ;   in Loop: Header=BB6_4903 Depth=2
	v_cmp_ne_u16_e32 vcc_lo, 0, v77
	v_mov_b32_e32 v59, 0
	s_and_not1_b32 s7, s7, exec_lo
	s_and_b32 s23, vcc_lo, exec_lo
	s_delay_alu instid0(SALU_CYCLE_1)
	s_or_b32 s7, s7, s23
	s_or_b32 exec_lo, exec_lo, s24
	v_lshl_or_b32 v63, v63, 16, v74
	s_and_saveexec_b32 s23, s7
	s_cbranch_execnz .LBB6_6035
	s_branch .LBB6_6036
.LBB6_7138:                             ;   in Loop: Header=BB6_4903 Depth=2
	s_mov_b32 s7, -1
	s_mov_b32 s25, exec_lo
                                        ; implicit-def: $sgpr23
	v_cmpx_eq_u16_e32 0x80, v78
; %bb.7139:                             ;   in Loop: Header=BB6_4903 Depth=2
	s_mov_b32 s23, 0x7f800001
	s_xor_b32 s7, exec_lo, -1
; %bb.7140:                             ;   in Loop: Header=BB6_4903 Depth=2
	s_or_b32 exec_lo, exec_lo, s25
	s_delay_alu instid0(SALU_CYCLE_1)
	s_and_b32 s7, s7, exec_lo
                                        ; implicit-def: $vgpr78
	s_or_saveexec_b32 s24, s24
	v_mov_b32_e32 v77, s23
	s_xor_b32 exec_lo, exec_lo, s24
	s_cbranch_execz .LBB6_6038
.LBB6_7141:                             ;   in Loop: Header=BB6_4903 Depth=2
	v_cmp_ne_u16_e32 vcc_lo, 0, v78
	v_mov_b32_e32 v77, 0
	s_and_not1_b32 s7, s7, exec_lo
	s_and_b32 s23, vcc_lo, exec_lo
	s_delay_alu instid0(SALU_CYCLE_1)
	s_or_b32 s7, s7, s23
	s_or_b32 exec_lo, exec_lo, s24
	s_and_saveexec_b32 s23, s7
	s_cbranch_execnz .LBB6_6039
	s_branch .LBB6_6040
.LBB6_7142:                             ;   in Loop: Header=BB6_4903 Depth=2
	s_mov_b32 s7, -1
	s_mov_b32 s25, exec_lo
                                        ; implicit-def: $sgpr23
	v_cmpx_eq_u16_e32 0x80, v77
; %bb.7143:                             ;   in Loop: Header=BB6_4903 Depth=2
	s_mov_b32 s23, 0x7f800001
	s_xor_b32 s7, exec_lo, -1
; %bb.7144:                             ;   in Loop: Header=BB6_4903 Depth=2
	s_or_b32 exec_lo, exec_lo, s25
	s_delay_alu instid0(SALU_CYCLE_1)
	s_and_b32 s7, s7, exec_lo
	s_or_saveexec_b32 s24, s24
	v_mov_b32_e32 v74, s23
	s_xor_b32 exec_lo, exec_lo, s24
	s_cbranch_execz .LBB6_6050
.LBB6_7145:                             ;   in Loop: Header=BB6_4903 Depth=2
	v_cmp_ne_u16_e32 vcc_lo, 0, v77
	v_mov_b32_e32 v74, 0
	s_and_not1_b32 s7, s7, exec_lo
	s_and_b32 s23, vcc_lo, exec_lo
	s_delay_alu instid0(SALU_CYCLE_1)
	s_or_b32 s7, s7, s23
	s_or_b32 exec_lo, exec_lo, s24
	s_and_saveexec_b32 s23, s7
	s_cbranch_execnz .LBB6_6051
	s_branch .LBB6_6052
.LBB6_7146:                             ;   in Loop: Header=BB6_4903 Depth=2
	s_mov_b32 s7, -1
	s_mov_b32 s25, exec_lo
                                        ; implicit-def: $sgpr23
	v_cmpx_eq_u16_e32 0x80, v63
; %bb.7147:                             ;   in Loop: Header=BB6_4903 Depth=2
	s_mov_b32 s23, 0x7f800001
	s_xor_b32 s7, exec_lo, -1
; %bb.7148:                             ;   in Loop: Header=BB6_4903 Depth=2
	s_or_b32 exec_lo, exec_lo, s25
	s_delay_alu instid0(SALU_CYCLE_1)
	s_and_b32 s7, s7, exec_lo
	s_or_saveexec_b32 s24, s24
	v_mov_b32_e32 v77, s23
	s_xor_b32 exec_lo, exec_lo, s24
	s_cbranch_execz .LBB6_6054
.LBB6_7149:                             ;   in Loop: Header=BB6_4903 Depth=2
	v_cmp_ne_u16_e32 vcc_lo, 0, v63
	v_mov_b32_e32 v77, 0
	s_and_not1_b32 s7, s7, exec_lo
	s_and_b32 s23, vcc_lo, exec_lo
	s_delay_alu instid0(SALU_CYCLE_1)
	s_or_b32 s7, s7, s23
	s_or_b32 exec_lo, exec_lo, s24
	s_and_saveexec_b32 s23, s7
	s_cbranch_execnz .LBB6_6055
	s_branch .LBB6_6056
.LBB6_7150:                             ;   in Loop: Header=BB6_4903 Depth=2
	s_mov_b32 s7, -1
	s_mov_b32 s25, exec_lo
                                        ; implicit-def: $sgpr23
	v_cmpx_eq_u16_e32 0x80, v74
; %bb.7151:                             ;   in Loop: Header=BB6_4903 Depth=2
	s_mov_b32 s23, 0x7f800001
	s_xor_b32 s7, exec_lo, -1
; %bb.7152:                             ;   in Loop: Header=BB6_4903 Depth=2
	s_or_b32 exec_lo, exec_lo, s25
	s_delay_alu instid0(SALU_CYCLE_1)
	s_and_b32 s7, s7, exec_lo
                                        ; implicit-def: $vgpr74
	s_or_saveexec_b32 s24, s24
	v_mov_b32_e32 v63, s23
	s_xor_b32 exec_lo, exec_lo, s24
	s_cbranch_execz .LBB6_6066
.LBB6_7153:                             ;   in Loop: Header=BB6_4903 Depth=2
	v_cmp_ne_u16_e32 vcc_lo, 0, v74
	v_mov_b32_e32 v63, 0
	s_and_not1_b32 s7, s7, exec_lo
	s_and_b32 s23, vcc_lo, exec_lo
	s_delay_alu instid0(SALU_CYCLE_1)
	s_or_b32 s7, s7, s23
	s_or_b32 exec_lo, exec_lo, s24
	s_and_saveexec_b32 s23, s7
	s_cbranch_execnz .LBB6_6067
	s_branch .LBB6_6068
.LBB6_7154:                             ;   in Loop: Header=BB6_4903 Depth=2
	s_mov_b32 s7, -1
	s_mov_b32 s25, exec_lo
                                        ; implicit-def: $sgpr23
	v_cmpx_eq_u16_e32 0x80, v74
; %bb.7155:                             ;   in Loop: Header=BB6_4903 Depth=2
	s_mov_b32 s23, 0x7f800001
	s_xor_b32 s7, exec_lo, -1
; %bb.7156:                             ;   in Loop: Header=BB6_4903 Depth=2
	s_or_b32 exec_lo, exec_lo, s25
	s_delay_alu instid0(SALU_CYCLE_1)
	s_and_b32 s7, s7, exec_lo
                                        ; implicit-def: $vgpr74
	s_or_saveexec_b32 s24, s24
	v_mov_b32_e32 v57, s23
	s_xor_b32 exec_lo, exec_lo, s24
	s_cbranch_execz .LBB6_6070
.LBB6_7157:                             ;   in Loop: Header=BB6_4903 Depth=2
	v_cmp_ne_u16_e32 vcc_lo, 0, v74
	v_mov_b32_e32 v57, 0
	s_and_not1_b32 s7, s7, exec_lo
	s_and_b32 s23, vcc_lo, exec_lo
	s_delay_alu instid0(SALU_CYCLE_1)
	s_or_b32 s7, s7, s23
	s_or_b32 exec_lo, exec_lo, s24
	s_and_saveexec_b32 s23, s7
	s_cbranch_execnz .LBB6_6071
	s_branch .LBB6_6072
.LBB6_7158:                             ;   in Loop: Header=BB6_4903 Depth=2
	s_mov_b32 s7, -1
	s_mov_b32 s25, exec_lo
                                        ; implicit-def: $sgpr23
	v_cmpx_eq_u16_e32 0x80, v74
; %bb.7159:                             ;   in Loop: Header=BB6_4903 Depth=2
	s_mov_b32 s23, 0x7f800001
	s_xor_b32 s7, exec_lo, -1
; %bb.7160:                             ;   in Loop: Header=BB6_4903 Depth=2
	s_or_b32 exec_lo, exec_lo, s25
	s_delay_alu instid0(SALU_CYCLE_1)
	s_and_b32 s7, s7, exec_lo
                                        ; implicit-def: $vgpr74
	s_or_saveexec_b32 s24, s24
	v_mov_b32_e32 v63, s23
	s_xor_b32 exec_lo, exec_lo, s24
	s_cbranch_execz .LBB6_6082
.LBB6_7161:                             ;   in Loop: Header=BB6_4903 Depth=2
	v_cmp_ne_u16_e32 vcc_lo, 0, v74
	v_mov_b32_e32 v63, 0
	s_and_not1_b32 s7, s7, exec_lo
	s_and_b32 s23, vcc_lo, exec_lo
	s_delay_alu instid0(SALU_CYCLE_1)
	s_or_b32 s7, s7, s23
	s_or_b32 exec_lo, exec_lo, s24
	s_and_saveexec_b32 s23, s7
	s_cbranch_execnz .LBB6_6083
	s_branch .LBB6_6084
.LBB6_7162:                             ;   in Loop: Header=BB6_4903 Depth=2
	s_mov_b32 s7, -1
	s_mov_b32 s25, exec_lo
                                        ; implicit-def: $sgpr23
	v_cmpx_eq_u16_e32 0x80, v47
; %bb.7163:                             ;   in Loop: Header=BB6_4903 Depth=2
	s_mov_b32 s23, 0x7f800001
	s_xor_b32 s7, exec_lo, -1
; %bb.7164:                             ;   in Loop: Header=BB6_4903 Depth=2
	s_or_b32 exec_lo, exec_lo, s25
	s_delay_alu instid0(SALU_CYCLE_1)
	s_and_b32 s7, s7, exec_lo
	s_or_saveexec_b32 s24, s24
	v_mov_b32_e32 v74, s23
	s_xor_b32 exec_lo, exec_lo, s24
	s_cbranch_execz .LBB6_6086
.LBB6_7165:                             ;   in Loop: Header=BB6_4903 Depth=2
	v_cmp_ne_u16_e32 vcc_lo, 0, v47
	v_mov_b32_e32 v74, 0
	s_and_not1_b32 s7, s7, exec_lo
	s_and_b32 s23, vcc_lo, exec_lo
	s_delay_alu instid0(SALU_CYCLE_1)
	s_or_b32 s7, s7, s23
	s_or_b32 exec_lo, exec_lo, s24
	s_and_saveexec_b32 s23, s7
	s_cbranch_execnz .LBB6_6087
	s_branch .LBB6_6088
.LBB6_7166:                             ;   in Loop: Header=BB6_4903 Depth=2
	s_mov_b32 s7, -1
	s_mov_b32 s25, exec_lo
                                        ; implicit-def: $sgpr23
	v_cmpx_eq_u16_e32 0x80, v74
; %bb.7167:                             ;   in Loop: Header=BB6_4903 Depth=2
	s_mov_b32 s23, 0x7f800001
	s_xor_b32 s7, exec_lo, -1
; %bb.7168:                             ;   in Loop: Header=BB6_4903 Depth=2
	s_or_b32 exec_lo, exec_lo, s25
	s_delay_alu instid0(SALU_CYCLE_1)
	s_and_b32 s7, s7, exec_lo
                                        ; implicit-def: $vgpr74
	s_or_saveexec_b32 s24, s24
	v_mov_b32_e32 v63, s23
	s_xor_b32 exec_lo, exec_lo, s24
	s_cbranch_execz .LBB6_6098
.LBB6_7169:                             ;   in Loop: Header=BB6_4903 Depth=2
	v_cmp_ne_u16_e32 vcc_lo, 0, v74
	v_mov_b32_e32 v63, 0
	s_and_not1_b32 s7, s7, exec_lo
	s_and_b32 s23, vcc_lo, exec_lo
	s_delay_alu instid0(SALU_CYCLE_1)
	s_or_b32 s7, s7, s23
	s_or_b32 exec_lo, exec_lo, s24
	s_and_saveexec_b32 s23, s7
	s_cbranch_execnz .LBB6_6099
	s_branch .LBB6_6100
.LBB6_7170:                             ;   in Loop: Header=BB6_4903 Depth=2
	s_mov_b32 s7, -1
	s_mov_b32 s25, exec_lo
                                        ; implicit-def: $sgpr23
	v_cmpx_eq_u16_e32 0x80, v77
; %bb.7171:                             ;   in Loop: Header=BB6_4903 Depth=2
	s_mov_b32 s23, 0x7f800001
	s_xor_b32 s7, exec_lo, -1
; %bb.7172:                             ;   in Loop: Header=BB6_4903 Depth=2
	s_or_b32 exec_lo, exec_lo, s25
	s_delay_alu instid0(SALU_CYCLE_1)
	s_and_b32 s7, s7, exec_lo
                                        ; implicit-def: $vgpr77
	s_or_saveexec_b32 s24, s24
	v_mov_b32_e32 v74, s23
	s_xor_b32 exec_lo, exec_lo, s24
	s_cbranch_execz .LBB6_6102
.LBB6_7173:                             ;   in Loop: Header=BB6_4903 Depth=2
	v_cmp_ne_u16_e32 vcc_lo, 0, v77
	v_mov_b32_e32 v74, 0
	s_and_not1_b32 s7, s7, exec_lo
	s_and_b32 s23, vcc_lo, exec_lo
	s_delay_alu instid0(SALU_CYCLE_1)
	s_or_b32 s7, s7, s23
	s_or_b32 exec_lo, exec_lo, s24
	s_and_saveexec_b32 s23, s7
	s_cbranch_execnz .LBB6_6103
	s_branch .LBB6_6104
.LBB6_7174:                             ;   in Loop: Header=BB6_4903 Depth=2
	s_mov_b32 s7, -1
	s_mov_b32 s25, exec_lo
                                        ; implicit-def: $sgpr23
	v_cmpx_eq_u16_e32 0x80, v74
; %bb.7175:                             ;   in Loop: Header=BB6_4903 Depth=2
	s_mov_b32 s23, 0x7f800001
	s_xor_b32 s7, exec_lo, -1
; %bb.7176:                             ;   in Loop: Header=BB6_4903 Depth=2
	s_or_b32 exec_lo, exec_lo, s25
	s_delay_alu instid0(SALU_CYCLE_1)
	s_and_b32 s7, s7, exec_lo
	s_or_saveexec_b32 s24, s24
	v_mov_b32_e32 v63, s23
	s_xor_b32 exec_lo, exec_lo, s24
	s_cbranch_execz .LBB6_6114
.LBB6_7177:                             ;   in Loop: Header=BB6_4903 Depth=2
	v_cmp_ne_u16_e32 vcc_lo, 0, v74
	v_mov_b32_e32 v63, 0
	s_and_not1_b32 s7, s7, exec_lo
	s_and_b32 s23, vcc_lo, exec_lo
	s_delay_alu instid0(SALU_CYCLE_1)
	s_or_b32 s7, s7, s23
	s_or_b32 exec_lo, exec_lo, s24
	s_and_saveexec_b32 s23, s7
	s_cbranch_execnz .LBB6_6115
	s_branch .LBB6_6116
.LBB6_7178:                             ;   in Loop: Header=BB6_4903 Depth=2
	s_mov_b32 s7, -1
	s_mov_b32 s25, exec_lo
                                        ; implicit-def: $sgpr23
	v_cmpx_eq_u16_e32 0x80, v44
; %bb.7179:                             ;   in Loop: Header=BB6_4903 Depth=2
	s_mov_b32 s23, 0x7f800001
	s_xor_b32 s7, exec_lo, -1
; %bb.7180:                             ;   in Loop: Header=BB6_4903 Depth=2
	s_or_b32 exec_lo, exec_lo, s25
	s_delay_alu instid0(SALU_CYCLE_1)
	s_and_b32 s7, s7, exec_lo
	s_or_saveexec_b32 s24, s24
	v_mov_b32_e32 v74, s23
	s_xor_b32 exec_lo, exec_lo, s24
	s_cbranch_execz .LBB6_6118
.LBB6_7181:                             ;   in Loop: Header=BB6_4903 Depth=2
	v_cmp_ne_u16_e32 vcc_lo, 0, v44
	v_mov_b32_e32 v74, 0
	s_and_not1_b32 s7, s7, exec_lo
	s_and_b32 s23, vcc_lo, exec_lo
	s_delay_alu instid0(SALU_CYCLE_1)
	s_or_b32 s7, s7, s23
	s_or_b32 exec_lo, exec_lo, s24
	s_and_saveexec_b32 s23, s7
	s_cbranch_execnz .LBB6_6119
	s_branch .LBB6_6120
.LBB6_7182:                             ;   in Loop: Header=BB6_4903 Depth=2
	s_mov_b32 s7, -1
	s_mov_b32 s25, exec_lo
                                        ; implicit-def: $sgpr23
	v_cmpx_eq_u16_e32 0x80, v44
; %bb.7183:                             ;   in Loop: Header=BB6_4903 Depth=2
	s_mov_b32 s23, 0x7f800001
	s_xor_b32 s7, exec_lo, -1
; %bb.7184:                             ;   in Loop: Header=BB6_4903 Depth=2
	s_or_b32 exec_lo, exec_lo, s25
	s_delay_alu instid0(SALU_CYCLE_1)
	s_and_b32 s7, s7, exec_lo
                                        ; implicit-def: $vgpr44
	s_or_saveexec_b32 s24, s24
	v_mov_b32_e32 v43, s23
	s_xor_b32 exec_lo, exec_lo, s24
	s_cbranch_execz .LBB6_6130
.LBB6_7185:                             ;   in Loop: Header=BB6_4903 Depth=2
	v_cmp_ne_u16_e32 vcc_lo, 0, v44
	v_mov_b32_e32 v43, 0
	s_and_not1_b32 s7, s7, exec_lo
	s_and_b32 s23, vcc_lo, exec_lo
	s_delay_alu instid0(SALU_CYCLE_1)
	s_or_b32 s7, s7, s23
	s_or_b32 exec_lo, exec_lo, s24
	s_and_saveexec_b32 s23, s7
	s_cbranch_execnz .LBB6_6131
	s_branch .LBB6_6132
.LBB6_7186:                             ;   in Loop: Header=BB6_4903 Depth=2
	s_mov_b32 s7, -1
	s_mov_b32 s25, exec_lo
                                        ; implicit-def: $sgpr23
	v_cmpx_eq_u16_e32 0x80, v63
; %bb.7187:                             ;   in Loop: Header=BB6_4903 Depth=2
	s_mov_b32 s23, 0x7f800001
	s_xor_b32 s7, exec_lo, -1
; %bb.7188:                             ;   in Loop: Header=BB6_4903 Depth=2
	s_or_b32 exec_lo, exec_lo, s25
	s_delay_alu instid0(SALU_CYCLE_1)
	s_and_b32 s7, s7, exec_lo
                                        ; implicit-def: $vgpr63
	s_or_saveexec_b32 s24, s24
	v_mov_b32_e32 v44, s23
	s_xor_b32 exec_lo, exec_lo, s24
	s_cbranch_execz .LBB6_6134
.LBB6_7189:                             ;   in Loop: Header=BB6_4903 Depth=2
	v_cmp_ne_u16_e32 vcc_lo, 0, v63
	v_mov_b32_e32 v44, 0
	s_and_not1_b32 s7, s7, exec_lo
	s_and_b32 s23, vcc_lo, exec_lo
	s_delay_alu instid0(SALU_CYCLE_1)
	s_or_b32 s7, s7, s23
	s_or_b32 exec_lo, exec_lo, s24
	s_and_saveexec_b32 s23, s7
	s_cbranch_execnz .LBB6_6135
	s_branch .LBB6_6136
.LBB6_7190:                             ;   in Loop: Header=BB6_4903 Depth=2
	s_mov_b32 s7, -1
	s_mov_b32 s25, exec_lo
                                        ; implicit-def: $sgpr23
	v_cmpx_eq_u16_e32 0x80, v63
; %bb.7191:                             ;   in Loop: Header=BB6_4903 Depth=2
	s_mov_b32 s23, 0x7f800001
	s_xor_b32 s7, exec_lo, -1
; %bb.7192:                             ;   in Loop: Header=BB6_4903 Depth=2
	s_or_b32 exec_lo, exec_lo, s25
	s_delay_alu instid0(SALU_CYCLE_1)
	s_and_b32 s7, s7, exec_lo
	s_or_saveexec_b32 s24, s24
	v_mov_b32_e32 v44, s23
	s_xor_b32 exec_lo, exec_lo, s24
	s_cbranch_execz .LBB6_6146
.LBB6_7193:                             ;   in Loop: Header=BB6_4903 Depth=2
	v_cmp_ne_u16_e32 vcc_lo, 0, v63
	v_mov_b32_e32 v44, 0
	s_and_not1_b32 s7, s7, exec_lo
	s_and_b32 s23, vcc_lo, exec_lo
	s_delay_alu instid0(SALU_CYCLE_1)
	s_or_b32 s7, s7, s23
	s_or_b32 exec_lo, exec_lo, s24
	s_and_saveexec_b32 s23, s7
	s_cbranch_execnz .LBB6_6147
	s_branch .LBB6_6148
.LBB6_7194:                             ;   in Loop: Header=BB6_4903 Depth=2
	s_mov_b32 s7, -1
	s_mov_b32 s25, exec_lo
                                        ; implicit-def: $sgpr23
	v_cmpx_eq_u16_e32 0x80, v63
; %bb.7195:                             ;   in Loop: Header=BB6_4903 Depth=2
	s_mov_b32 s23, 0x7f800001
	s_xor_b32 s7, exec_lo, -1
; %bb.7196:                             ;   in Loop: Header=BB6_4903 Depth=2
	s_or_b32 exec_lo, exec_lo, s25
	s_delay_alu instid0(SALU_CYCLE_1)
	s_and_b32 s7, s7, exec_lo
	s_or_saveexec_b32 s24, s24
	v_mov_b32_e32 v74, s23
	s_xor_b32 exec_lo, exec_lo, s24
	s_cbranch_execz .LBB6_6150
.LBB6_7197:                             ;   in Loop: Header=BB6_4903 Depth=2
	v_cmp_ne_u16_e32 vcc_lo, 0, v63
	v_mov_b32_e32 v74, 0
	s_and_not1_b32 s7, s7, exec_lo
	s_and_b32 s23, vcc_lo, exec_lo
	s_delay_alu instid0(SALU_CYCLE_1)
	s_or_b32 s7, s7, s23
	s_or_b32 exec_lo, exec_lo, s24
	s_and_saveexec_b32 s23, s7
	s_cbranch_execnz .LBB6_6151
	s_branch .LBB6_6152
.LBB6_7198:                             ;   in Loop: Header=BB6_4903 Depth=2
	s_mov_b32 s7, -1
	s_mov_b32 s25, exec_lo
                                        ; implicit-def: $sgpr23
	v_cmpx_eq_u16_e32 0x80, v63
; %bb.7199:                             ;   in Loop: Header=BB6_4903 Depth=2
	s_mov_b32 s23, 0x7f800001
	s_xor_b32 s7, exec_lo, -1
; %bb.7200:                             ;   in Loop: Header=BB6_4903 Depth=2
	s_or_b32 exec_lo, exec_lo, s25
	s_delay_alu instid0(SALU_CYCLE_1)
	s_and_b32 s7, s7, exec_lo
                                        ; implicit-def: $vgpr63
	s_or_saveexec_b32 s24, s24
	v_mov_b32_e32 v42, s23
	s_xor_b32 exec_lo, exec_lo, s24
	s_cbranch_execz .LBB6_6162
.LBB6_7201:                             ;   in Loop: Header=BB6_4903 Depth=2
	v_cmp_ne_u16_e32 vcc_lo, 0, v63
	v_mov_b32_e32 v42, 0
	s_and_not1_b32 s7, s7, exec_lo
	s_and_b32 s23, vcc_lo, exec_lo
	s_delay_alu instid0(SALU_CYCLE_1)
	s_or_b32 s7, s7, s23
	s_or_b32 exec_lo, exec_lo, s24
	v_lshl_or_b32 v45, v45, 16, v56
	s_and_saveexec_b32 s23, s7
	s_cbranch_execnz .LBB6_6163
	s_branch .LBB6_6164
.LBB6_7202:                             ;   in Loop: Header=BB6_4903 Depth=2
	s_mov_b32 s7, -1
	s_mov_b32 s25, exec_lo
                                        ; implicit-def: $sgpr23
	v_cmpx_eq_u16_e32 0x80, v74
; %bb.7203:                             ;   in Loop: Header=BB6_4903 Depth=2
	s_mov_b32 s23, 0x7f800001
	s_xor_b32 s7, exec_lo, -1
; %bb.7204:                             ;   in Loop: Header=BB6_4903 Depth=2
	s_or_b32 exec_lo, exec_lo, s25
	s_delay_alu instid0(SALU_CYCLE_1)
	s_and_b32 s7, s7, exec_lo
                                        ; implicit-def: $vgpr74
	s_or_saveexec_b32 s24, s24
	v_mov_b32_e32 v63, s23
	s_xor_b32 exec_lo, exec_lo, s24
	s_cbranch_execz .LBB6_6166
.LBB6_7205:                             ;   in Loop: Header=BB6_4903 Depth=2
	v_cmp_ne_u16_e32 vcc_lo, 0, v74
	v_mov_b32_e32 v63, 0
	s_and_not1_b32 s7, s7, exec_lo
	s_and_b32 s23, vcc_lo, exec_lo
	s_delay_alu instid0(SALU_CYCLE_1)
	s_or_b32 s7, s7, s23
	s_or_b32 exec_lo, exec_lo, s24
	s_and_saveexec_b32 s23, s7
	s_cbranch_execnz .LBB6_6167
	s_branch .LBB6_6168
.LBB6_7206:                             ;   in Loop: Header=BB6_4903 Depth=2
	s_mov_b32 s7, -1
	s_mov_b32 s25, exec_lo
                                        ; implicit-def: $sgpr23
	v_cmpx_eq_u16_e32 0x80, v63
; %bb.7207:                             ;   in Loop: Header=BB6_4903 Depth=2
	s_mov_b32 s23, 0x7f800001
	s_xor_b32 s7, exec_lo, -1
; %bb.7208:                             ;   in Loop: Header=BB6_4903 Depth=2
	s_or_b32 exec_lo, exec_lo, s25
	s_delay_alu instid0(SALU_CYCLE_1)
	s_and_b32 s7, s7, exec_lo
	s_or_saveexec_b32 s24, s24
	v_mov_b32_e32 v56, s23
	s_xor_b32 exec_lo, exec_lo, s24
	s_cbranch_execz .LBB6_6178
.LBB6_7209:                             ;   in Loop: Header=BB6_4903 Depth=2
	v_cmp_ne_u16_e32 vcc_lo, 0, v63
	v_mov_b32_e32 v56, 0
	s_and_not1_b32 s7, s7, exec_lo
	s_and_b32 s23, vcc_lo, exec_lo
	s_delay_alu instid0(SALU_CYCLE_1)
	s_or_b32 s7, s7, s23
	s_or_b32 exec_lo, exec_lo, s24
	s_and_saveexec_b32 s23, s7
	s_cbranch_execnz .LBB6_6179
	s_branch .LBB6_6180
.LBB6_7210:                             ;   in Loop: Header=BB6_4903 Depth=2
	s_mov_b32 s7, -1
	s_mov_b32 s25, exec_lo
                                        ; implicit-def: $sgpr23
	v_cmpx_eq_u16_e32 0x80, v45
; %bb.7211:                             ;   in Loop: Header=BB6_4903 Depth=2
	s_mov_b32 s23, 0x7f800001
	s_xor_b32 s7, exec_lo, -1
; %bb.7212:                             ;   in Loop: Header=BB6_4903 Depth=2
	s_or_b32 exec_lo, exec_lo, s25
	s_delay_alu instid0(SALU_CYCLE_1)
	s_and_b32 s7, s7, exec_lo
	s_or_saveexec_b32 s24, s24
	v_mov_b32_e32 v63, s23
	s_xor_b32 exec_lo, exec_lo, s24
	s_cbranch_execz .LBB6_6182
.LBB6_7213:                             ;   in Loop: Header=BB6_4903 Depth=2
	v_cmp_ne_u16_e32 vcc_lo, 0, v45
	v_mov_b32_e32 v63, 0
	s_and_not1_b32 s7, s7, exec_lo
	s_and_b32 s23, vcc_lo, exec_lo
	s_delay_alu instid0(SALU_CYCLE_1)
	s_or_b32 s7, s7, s23
	s_or_b32 exec_lo, exec_lo, s24
	s_and_saveexec_b32 s23, s7
	s_cbranch_execnz .LBB6_6183
	s_branch .LBB6_6184
.LBB6_7214:                             ;   in Loop: Header=BB6_4903 Depth=2
	s_mov_b32 s7, -1
	s_mov_b32 s25, exec_lo
                                        ; implicit-def: $sgpr23
	v_cmpx_eq_u16_e32 0x80, v56
; %bb.7215:                             ;   in Loop: Header=BB6_4903 Depth=2
	s_mov_b32 s23, 0x7f800001
	s_xor_b32 s7, exec_lo, -1
; %bb.7216:                             ;   in Loop: Header=BB6_4903 Depth=2
	s_or_b32 exec_lo, exec_lo, s25
	s_delay_alu instid0(SALU_CYCLE_1)
	s_and_b32 s7, s7, exec_lo
                                        ; implicit-def: $vgpr56
	s_or_saveexec_b32 s24, s24
	v_mov_b32_e32 v45, s23
	s_xor_b32 exec_lo, exec_lo, s24
	s_cbranch_execz .LBB6_6194
.LBB6_7217:                             ;   in Loop: Header=BB6_4903 Depth=2
	v_cmp_ne_u16_e32 vcc_lo, 0, v56
	v_mov_b32_e32 v45, 0
	s_and_not1_b32 s7, s7, exec_lo
	s_and_b32 s23, vcc_lo, exec_lo
	s_delay_alu instid0(SALU_CYCLE_1)
	s_or_b32 s7, s7, s23
	s_or_b32 exec_lo, exec_lo, s24
	s_and_saveexec_b32 s23, s7
	s_cbranch_execnz .LBB6_6195
	s_branch .LBB6_6196
.LBB6_7218:                             ;   in Loop: Header=BB6_4903 Depth=2
	s_mov_b32 s7, -1
	s_mov_b32 s25, exec_lo
                                        ; implicit-def: $sgpr23
	v_cmpx_eq_u16_e32 0x80, v56
; %bb.7219:                             ;   in Loop: Header=BB6_4903 Depth=2
	s_mov_b32 s23, 0x7f800001
	s_xor_b32 s7, exec_lo, -1
; %bb.7220:                             ;   in Loop: Header=BB6_4903 Depth=2
	s_or_b32 exec_lo, exec_lo, s25
	s_delay_alu instid0(SALU_CYCLE_1)
	s_and_b32 s7, s7, exec_lo
                                        ; implicit-def: $vgpr56
	s_or_saveexec_b32 s24, s24
	v_mov_b32_e32 v40, s23
	s_xor_b32 exec_lo, exec_lo, s24
	s_cbranch_execz .LBB6_6198
.LBB6_7221:                             ;   in Loop: Header=BB6_4903 Depth=2
	v_cmp_ne_u16_e32 vcc_lo, 0, v56
	v_mov_b32_e32 v40, 0
	s_and_not1_b32 s7, s7, exec_lo
	s_and_b32 s23, vcc_lo, exec_lo
	s_delay_alu instid0(SALU_CYCLE_1)
	s_or_b32 s7, s7, s23
	s_or_b32 exec_lo, exec_lo, s24
	s_and_saveexec_b32 s23, s7
	s_cbranch_execnz .LBB6_6199
	s_branch .LBB6_6200
.LBB6_7222:                             ;   in Loop: Header=BB6_4903 Depth=2
	s_mov_b32 s7, -1
	s_mov_b32 s25, exec_lo
                                        ; implicit-def: $sgpr23
	v_cmpx_eq_u16_e32 0x80, v56
; %bb.7223:                             ;   in Loop: Header=BB6_4903 Depth=2
	s_mov_b32 s23, 0x7f800001
	s_xor_b32 s7, exec_lo, -1
; %bb.7224:                             ;   in Loop: Header=BB6_4903 Depth=2
	s_or_b32 exec_lo, exec_lo, s25
	s_delay_alu instid0(SALU_CYCLE_1)
	s_and_b32 s7, s7, exec_lo
                                        ; implicit-def: $vgpr56
	s_or_saveexec_b32 s24, s24
	v_mov_b32_e32 v45, s23
	s_xor_b32 exec_lo, exec_lo, s24
	s_cbranch_execz .LBB6_6210
.LBB6_7225:                             ;   in Loop: Header=BB6_4903 Depth=2
	v_cmp_ne_u16_e32 vcc_lo, 0, v56
	v_mov_b32_e32 v45, 0
	s_and_not1_b32 s7, s7, exec_lo
	s_and_b32 s23, vcc_lo, exec_lo
	s_delay_alu instid0(SALU_CYCLE_1)
	s_or_b32 s7, s7, s23
	s_or_b32 exec_lo, exec_lo, s24
	s_and_saveexec_b32 s23, s7
	s_cbranch_execnz .LBB6_6211
	s_branch .LBB6_6212
.LBB6_7226:                             ;   in Loop: Header=BB6_4903 Depth=2
	s_mov_b32 s7, -1
	s_mov_b32 s25, exec_lo
                                        ; implicit-def: $sgpr23
	v_cmpx_eq_u16_e64 0x80, v182
; %bb.7227:                             ;   in Loop: Header=BB6_4903 Depth=2
	s_mov_b32 s23, 0x7f800001
	s_xor_b32 s7, exec_lo, -1
; %bb.7228:                             ;   in Loop: Header=BB6_4903 Depth=2
	s_or_b32 exec_lo, exec_lo, s25
	s_delay_alu instid0(SALU_CYCLE_1)
	s_and_b32 s7, s7, exec_lo
	s_or_saveexec_b32 s24, s24
	v_mov_b32_e32 v56, s23
	s_xor_b32 exec_lo, exec_lo, s24
	s_cbranch_execz .LBB6_6214
.LBB6_7229:                             ;   in Loop: Header=BB6_4903 Depth=2
	v_cmp_ne_u16_e64 vcc_lo, 0, v182
	v_mov_b32_e32 v56, 0
	s_and_not1_b32 s7, s7, exec_lo
	s_delay_alu instid0(VALU_DEP_2) | instskip(NEXT) | instid1(SALU_CYCLE_1)
	s_and_b32 s23, vcc_lo, exec_lo
	s_or_b32 s7, s7, s23
	s_or_b32 exec_lo, exec_lo, s24
	s_and_saveexec_b32 s23, s7
	s_cbranch_execnz .LBB6_6215
	s_branch .LBB6_6216
.LBB6_7230:                             ;   in Loop: Header=BB6_4903 Depth=2
	s_mov_b32 s7, -1
	s_mov_b32 s25, exec_lo
                                        ; implicit-def: $sgpr23
	v_cmpx_eq_u16_e32 0x80, v56
; %bb.7231:                             ;   in Loop: Header=BB6_4903 Depth=2
	s_mov_b32 s23, 0x7f800001
	s_xor_b32 s7, exec_lo, -1
; %bb.7232:                             ;   in Loop: Header=BB6_4903 Depth=2
	s_or_b32 exec_lo, exec_lo, s25
	s_delay_alu instid0(SALU_CYCLE_1)
	s_and_b32 s7, s7, exec_lo
                                        ; implicit-def: $vgpr56
	s_or_saveexec_b32 s24, s24
	v_mov_b32_e32 v45, s23
	s_xor_b32 exec_lo, exec_lo, s24
	s_cbranch_execz .LBB6_6226
.LBB6_7233:                             ;   in Loop: Header=BB6_4903 Depth=2
	v_cmp_ne_u16_e32 vcc_lo, 0, v56
	v_mov_b32_e32 v45, 0
	s_and_not1_b32 s7, s7, exec_lo
	s_and_b32 s23, vcc_lo, exec_lo
	s_delay_alu instid0(SALU_CYCLE_1)
	s_or_b32 s7, s7, s23
	s_or_b32 exec_lo, exec_lo, s24
	s_and_saveexec_b32 s23, s7
	s_cbranch_execnz .LBB6_6227
	s_branch .LBB6_6228
.LBB6_7234:                             ;   in Loop: Header=BB6_4903 Depth=2
	s_mov_b32 s7, -1
	s_mov_b32 s25, exec_lo
                                        ; implicit-def: $sgpr23
	v_cmpx_eq_u16_e32 0x80, v63
; %bb.7235:                             ;   in Loop: Header=BB6_4903 Depth=2
	s_mov_b32 s23, 0x7f800001
	s_xor_b32 s7, exec_lo, -1
; %bb.7236:                             ;   in Loop: Header=BB6_4903 Depth=2
	s_or_b32 exec_lo, exec_lo, s25
	s_delay_alu instid0(SALU_CYCLE_1)
	s_and_b32 s7, s7, exec_lo
                                        ; implicit-def: $vgpr63
	s_or_saveexec_b32 s24, s24
	v_mov_b32_e32 v56, s23
	s_xor_b32 exec_lo, exec_lo, s24
	s_cbranch_execz .LBB6_6230
.LBB6_7237:                             ;   in Loop: Header=BB6_4903 Depth=2
	v_cmp_ne_u16_e32 vcc_lo, 0, v63
	v_mov_b32_e32 v56, 0
	s_and_not1_b32 s7, s7, exec_lo
	s_and_b32 s23, vcc_lo, exec_lo
	s_delay_alu instid0(SALU_CYCLE_1)
	s_or_b32 s7, s7, s23
	s_or_b32 exec_lo, exec_lo, s24
	s_and_saveexec_b32 s23, s7
	s_cbranch_execnz .LBB6_6231
	s_branch .LBB6_6232
.LBB6_7238:                             ;   in Loop: Header=BB6_4903 Depth=2
	s_mov_b32 s7, -1
	s_mov_b32 s25, exec_lo
                                        ; implicit-def: $sgpr23
	v_cmpx_eq_u16_e32 0x80, v56
; %bb.7239:                             ;   in Loop: Header=BB6_4903 Depth=2
	s_mov_b32 s23, 0x7f800001
	s_xor_b32 s7, exec_lo, -1
; %bb.7240:                             ;   in Loop: Header=BB6_4903 Depth=2
	s_or_b32 exec_lo, exec_lo, s25
	s_delay_alu instid0(SALU_CYCLE_1)
	s_and_b32 s7, s7, exec_lo
	s_or_saveexec_b32 s24, s24
	v_mov_b32_e32 v45, s23
	s_xor_b32 exec_lo, exec_lo, s24
	s_cbranch_execz .LBB6_6242
.LBB6_7241:                             ;   in Loop: Header=BB6_4903 Depth=2
	v_cmp_ne_u16_e32 vcc_lo, 0, v56
	v_mov_b32_e32 v45, 0
	s_and_not1_b32 s7, s7, exec_lo
	s_and_b32 s23, vcc_lo, exec_lo
	s_delay_alu instid0(SALU_CYCLE_1)
	s_or_b32 s7, s7, s23
	s_or_b32 exec_lo, exec_lo, s24
	s_and_saveexec_b32 s23, s7
	s_cbranch_execnz .LBB6_6243
	s_branch .LBB6_6244
.LBB6_7242:                             ;   in Loop: Header=BB6_4903 Depth=2
	s_mov_b32 s7, -1
	s_mov_b32 s25, exec_lo
                                        ; implicit-def: $sgpr23
	v_cmpx_eq_u16_e64 0x80, v178
; %bb.7243:                             ;   in Loop: Header=BB6_4903 Depth=2
	s_mov_b32 s23, 0x7f800001
	s_xor_b32 s7, exec_lo, -1
; %bb.7244:                             ;   in Loop: Header=BB6_4903 Depth=2
	s_or_b32 exec_lo, exec_lo, s25
	s_delay_alu instid0(SALU_CYCLE_1)
	s_and_b32 s7, s7, exec_lo
	s_or_saveexec_b32 s24, s24
	v_mov_b32_e32 v56, s23
	s_xor_b32 exec_lo, exec_lo, s24
	s_cbranch_execz .LBB6_6246
.LBB6_7245:                             ;   in Loop: Header=BB6_4903 Depth=2
	v_cmp_ne_u16_e64 vcc_lo, 0, v178
	v_mov_b32_e32 v56, 0
	s_and_not1_b32 s7, s7, exec_lo
	s_delay_alu instid0(VALU_DEP_2) | instskip(NEXT) | instid1(SALU_CYCLE_1)
	s_and_b32 s23, vcc_lo, exec_lo
	s_or_b32 s7, s7, s23
	s_or_b32 exec_lo, exec_lo, s24
	s_and_saveexec_b32 s23, s7
	s_cbranch_execnz .LBB6_6247
	s_branch .LBB6_6248
.LBB6_7246:                             ;   in Loop: Header=BB6_4903 Depth=2
	s_mov_b32 s7, -1
	s_mov_b32 s25, exec_lo
                                        ; implicit-def: $sgpr23
	v_cmpx_eq_u16_e64 0x80, v178
; %bb.7247:                             ;   in Loop: Header=BB6_4903 Depth=2
	s_mov_b32 s23, 0x7f800001
	s_xor_b32 s7, exec_lo, -1
; %bb.7248:                             ;   in Loop: Header=BB6_4903 Depth=2
	s_or_b32 exec_lo, exec_lo, s25
	s_delay_alu instid0(SALU_CYCLE_1)
	s_and_b32 s7, s7, exec_lo
                                        ; implicit-def: $vgpr178
	s_or_saveexec_b32 s24, s24
	v_mov_b32_e32 v177, s23
	s_xor_b32 exec_lo, exec_lo, s24
	s_cbranch_execz .LBB6_6258
.LBB6_7249:                             ;   in Loop: Header=BB6_4903 Depth=2
	v_cmp_ne_u16_e64 vcc_lo, 0, v178
	v_mov_b32_e32 v177, 0
	s_and_not1_b32 s7, s7, exec_lo
	s_delay_alu instid0(VALU_DEP_2) | instskip(NEXT) | instid1(SALU_CYCLE_1)
	s_and_b32 s23, vcc_lo, exec_lo
	s_or_b32 s7, s7, s23
	s_or_b32 exec_lo, exec_lo, s24
	s_and_saveexec_b32 s23, s7
	s_cbranch_execnz .LBB6_6259
	s_branch .LBB6_6260
.LBB6_7250:                             ;   in Loop: Header=BB6_4903 Depth=2
	s_mov_b32 s7, -1
	s_mov_b32 s25, exec_lo
                                        ; implicit-def: $sgpr23
	v_cmpx_eq_u16_e32 0x80, v45
; %bb.7251:                             ;   in Loop: Header=BB6_4903 Depth=2
	s_mov_b32 s23, 0x7f800001
	s_xor_b32 s7, exec_lo, -1
; %bb.7252:                             ;   in Loop: Header=BB6_4903 Depth=2
	s_or_b32 exec_lo, exec_lo, s25
	s_delay_alu instid0(SALU_CYCLE_1)
	s_and_b32 s7, s7, exec_lo
                                        ; implicit-def: $vgpr45
	s_or_saveexec_b32 s24, s24
	v_mov_b32_e32 v178, s23
	s_xor_b32 exec_lo, exec_lo, s24
	s_cbranch_execz .LBB6_6262
.LBB6_7253:                             ;   in Loop: Header=BB6_4903 Depth=2
	v_cmp_ne_u16_e32 vcc_lo, 0, v45
	v_mov_b32_e32 v178, 0
	s_and_not1_b32 s7, s7, exec_lo
	s_and_b32 s23, vcc_lo, exec_lo
	s_delay_alu instid0(SALU_CYCLE_1)
	s_or_b32 s7, s7, s23
	s_or_b32 exec_lo, exec_lo, s24
	s_and_saveexec_b32 s23, s7
	s_cbranch_execnz .LBB6_6263
	s_branch .LBB6_6264
.LBB6_7254:                             ;   in Loop: Header=BB6_4903 Depth=2
	s_mov_b32 s7, -1
	s_mov_b32 s25, exec_lo
                                        ; implicit-def: $sgpr23
	v_cmpx_eq_u16_e32 0x80, v45
; %bb.7255:                             ;   in Loop: Header=BB6_4903 Depth=2
	s_mov_b32 s23, 0x7f800001
	s_xor_b32 s7, exec_lo, -1
; %bb.7256:                             ;   in Loop: Header=BB6_4903 Depth=2
	s_or_b32 exec_lo, exec_lo, s25
	s_delay_alu instid0(SALU_CYCLE_1)
	s_and_b32 s7, s7, exec_lo
	s_or_saveexec_b32 s24, s24
	v_mov_b32_e32 v178, s23
	s_xor_b32 exec_lo, exec_lo, s24
	s_cbranch_execz .LBB6_6274
.LBB6_7257:                             ;   in Loop: Header=BB6_4903 Depth=2
	v_cmp_ne_u16_e32 vcc_lo, 0, v45
	v_mov_b32_e32 v178, 0
	s_and_not1_b32 s7, s7, exec_lo
	s_and_b32 s23, vcc_lo, exec_lo
	s_delay_alu instid0(SALU_CYCLE_1)
	s_or_b32 s7, s7, s23
	s_or_b32 exec_lo, exec_lo, s24
	s_and_saveexec_b32 s23, s7
	s_cbranch_execnz .LBB6_6275
	s_branch .LBB6_6276
.LBB6_7258:                             ;   in Loop: Header=BB6_4903 Depth=2
	s_mov_b32 s7, -1
	s_mov_b32 s25, exec_lo
                                        ; implicit-def: $sgpr23
	v_cmpx_eq_u16_e32 0x80, v45
; %bb.7259:                             ;   in Loop: Header=BB6_4903 Depth=2
	s_mov_b32 s23, 0x7f800001
	s_xor_b32 s7, exec_lo, -1
; %bb.7260:                             ;   in Loop: Header=BB6_4903 Depth=2
	s_or_b32 exec_lo, exec_lo, s25
	s_delay_alu instid0(SALU_CYCLE_1)
	s_and_b32 s7, s7, exec_lo
	s_or_saveexec_b32 s24, s24
	v_mov_b32_e32 v56, s23
	s_xor_b32 exec_lo, exec_lo, s24
	s_cbranch_execz .LBB6_6278
.LBB6_7261:                             ;   in Loop: Header=BB6_4903 Depth=2
	v_cmp_ne_u16_e32 vcc_lo, 0, v45
	v_mov_b32_e32 v56, 0
	s_and_not1_b32 s7, s7, exec_lo
	s_and_b32 s23, vcc_lo, exec_lo
	s_delay_alu instid0(SALU_CYCLE_1)
	s_or_b32 s7, s7, s23
	s_or_b32 exec_lo, exec_lo, s24
	s_and_saveexec_b32 s23, s7
	s_cbranch_execnz .LBB6_6279
	s_branch .LBB6_6280
.LBB6_7262:                             ;   in Loop: Header=BB6_4903 Depth=2
	s_mov_b32 s7, -1
	s_mov_b32 s25, exec_lo
                                        ; implicit-def: $sgpr23
	v_cmpx_eq_u16_e32 0x80, v45
; %bb.7263:                             ;   in Loop: Header=BB6_4903 Depth=2
	s_mov_b32 s23, 0x7f800001
	s_xor_b32 s7, exec_lo, -1
; %bb.7264:                             ;   in Loop: Header=BB6_4903 Depth=2
	s_or_b32 exec_lo, exec_lo, s25
	s_delay_alu instid0(SALU_CYCLE_1)
	s_and_b32 s7, s7, exec_lo
                                        ; implicit-def: $vgpr45
	s_or_saveexec_b32 s24, s24
	v_mov_b32_e32 v167, s23
	s_xor_b32 exec_lo, exec_lo, s24
	s_cbranch_execz .LBB6_6290
.LBB6_7265:                             ;   in Loop: Header=BB6_4903 Depth=2
	v_cmp_ne_u16_e32 vcc_lo, 0, v45
	v_mov_b32_e32 v167, 0
	s_and_not1_b32 s7, s7, exec_lo
	s_and_b32 s23, vcc_lo, exec_lo
	s_delay_alu instid0(SALU_CYCLE_1)
	s_or_b32 s7, s7, s23
	s_or_b32 exec_lo, exec_lo, s24
	v_lshl_or_b32 v179, v179, 16, v183
	s_and_saveexec_b32 s23, s7
	s_cbranch_execnz .LBB6_6291
	s_branch .LBB6_6292
.LBB6_7266:                             ;   in Loop: Header=BB6_4903 Depth=2
	s_mov_b32 s7, -1
	s_mov_b32 s25, exec_lo
                                        ; implicit-def: $sgpr23
	v_cmpx_eq_u16_e32 0x80, v56
; %bb.7267:                             ;   in Loop: Header=BB6_4903 Depth=2
	s_mov_b32 s23, 0x7f800001
	s_xor_b32 s7, exec_lo, -1
; %bb.7268:                             ;   in Loop: Header=BB6_4903 Depth=2
	s_or_b32 exec_lo, exec_lo, s25
	s_delay_alu instid0(SALU_CYCLE_1)
	s_and_b32 s7, s7, exec_lo
                                        ; implicit-def: $vgpr56
	s_or_saveexec_b32 s24, s24
	v_mov_b32_e32 v45, s23
	s_xor_b32 exec_lo, exec_lo, s24
	s_cbranch_execz .LBB6_6294
.LBB6_7269:                             ;   in Loop: Header=BB6_4903 Depth=2
	v_cmp_ne_u16_e32 vcc_lo, 0, v56
	v_mov_b32_e32 v45, 0
	s_and_not1_b32 s7, s7, exec_lo
	s_and_b32 s23, vcc_lo, exec_lo
	s_delay_alu instid0(SALU_CYCLE_1)
	s_or_b32 s7, s7, s23
	s_or_b32 exec_lo, exec_lo, s24
	s_and_saveexec_b32 s23, s7
	s_cbranch_execnz .LBB6_6295
	s_branch .LBB6_6296
.LBB6_7270:                             ;   in Loop: Header=BB6_4903 Depth=2
	s_mov_b32 s7, -1
	s_mov_b32 s25, exec_lo
                                        ; implicit-def: $sgpr23
	v_cmpx_eq_u16_e32 0x80, v45
; %bb.7271:                             ;   in Loop: Header=BB6_4903 Depth=2
	s_mov_b32 s23, 0x7f800001
	s_xor_b32 s7, exec_lo, -1
; %bb.7272:                             ;   in Loop: Header=BB6_4903 Depth=2
	s_or_b32 exec_lo, exec_lo, s25
	s_delay_alu instid0(SALU_CYCLE_1)
	s_and_b32 s7, s7, exec_lo
	s_or_saveexec_b32 s24, s24
	v_mov_b32_e32 v183, s23
	s_xor_b32 exec_lo, exec_lo, s24
	s_cbranch_execz .LBB6_6306
.LBB6_7273:                             ;   in Loop: Header=BB6_4903 Depth=2
	v_cmp_ne_u16_e32 vcc_lo, 0, v45
	v_mov_b32_e32 v183, 0
	s_and_not1_b32 s7, s7, exec_lo
	s_and_b32 s23, vcc_lo, exec_lo
	s_delay_alu instid0(SALU_CYCLE_1)
	s_or_b32 s7, s7, s23
	s_or_b32 exec_lo, exec_lo, s24
	s_and_saveexec_b32 s23, s7
	s_cbranch_execnz .LBB6_6307
	s_branch .LBB6_6308
.LBB6_7274:                             ;   in Loop: Header=BB6_4903 Depth=2
	s_mov_b32 s7, -1
	s_mov_b32 s25, exec_lo
                                        ; implicit-def: $sgpr23
	v_cmpx_eq_u16_e64 0x80, v179
; %bb.7275:                             ;   in Loop: Header=BB6_4903 Depth=2
	s_mov_b32 s23, 0x7f800001
	s_xor_b32 s7, exec_lo, -1
; %bb.7276:                             ;   in Loop: Header=BB6_4903 Depth=2
	s_or_b32 exec_lo, exec_lo, s25
	s_delay_alu instid0(SALU_CYCLE_1)
	s_and_b32 s7, s7, exec_lo
	s_or_saveexec_b32 s24, s24
	v_mov_b32_e32 v45, s23
	s_xor_b32 exec_lo, exec_lo, s24
	s_cbranch_execz .LBB6_6310
.LBB6_7277:                             ;   in Loop: Header=BB6_4903 Depth=2
	v_cmp_ne_u16_e64 vcc_lo, 0, v179
	v_mov_b32_e32 v45, 0
	s_and_not1_b32 s7, s7, exec_lo
	s_delay_alu instid0(VALU_DEP_2) | instskip(NEXT) | instid1(SALU_CYCLE_1)
	s_and_b32 s23, vcc_lo, exec_lo
	s_or_b32 s7, s7, s23
	s_or_b32 exec_lo, exec_lo, s24
	s_and_saveexec_b32 s23, s7
	s_cbranch_execnz .LBB6_6311
	s_branch .LBB6_6312
.LBB6_7278:                             ;   in Loop: Header=BB6_4903 Depth=2
	s_mov_b32 s7, -1
	s_mov_b32 s25, exec_lo
                                        ; implicit-def: $sgpr23
	v_cmpx_eq_u16_e64 0x80, v183
; %bb.7279:                             ;   in Loop: Header=BB6_4903 Depth=2
	s_mov_b32 s23, 0x7f800001
	s_xor_b32 s7, exec_lo, -1
; %bb.7280:                             ;   in Loop: Header=BB6_4903 Depth=2
	s_or_b32 exec_lo, exec_lo, s25
	s_delay_alu instid0(SALU_CYCLE_1)
	s_and_b32 s7, s7, exec_lo
                                        ; implicit-def: $vgpr183
	s_or_saveexec_b32 s24, s24
	v_mov_b32_e32 v179, s23
	s_xor_b32 exec_lo, exec_lo, s24
	s_cbranch_execz .LBB6_6322
.LBB6_7281:                             ;   in Loop: Header=BB6_4903 Depth=2
	v_cmp_ne_u16_e64 vcc_lo, 0, v183
	v_mov_b32_e32 v179, 0
	s_and_not1_b32 s7, s7, exec_lo
	s_delay_alu instid0(VALU_DEP_2) | instskip(NEXT) | instid1(SALU_CYCLE_1)
	s_and_b32 s23, vcc_lo, exec_lo
	s_or_b32 s7, s7, s23
	s_or_b32 exec_lo, exec_lo, s24
	s_and_saveexec_b32 s23, s7
	s_cbranch_execnz .LBB6_6323
	s_branch .LBB6_6324
.LBB6_7282:                             ;   in Loop: Header=BB6_4903 Depth=2
	s_mov_b32 s7, -1
	s_mov_b32 s25, exec_lo
                                        ; implicit-def: $sgpr23
	v_cmpx_eq_u16_e64 0x80, v183
; %bb.7283:                             ;   in Loop: Header=BB6_4903 Depth=2
	s_mov_b32 s23, 0x7f800001
	s_xor_b32 s7, exec_lo, -1
; %bb.7284:                             ;   in Loop: Header=BB6_4903 Depth=2
	s_or_b32 exec_lo, exec_lo, s25
	s_delay_alu instid0(SALU_CYCLE_1)
	s_and_b32 s7, s7, exec_lo
                                        ; implicit-def: $vgpr183
	s_or_saveexec_b32 s24, s24
	v_mov_b32_e32 v166, s23
	s_xor_b32 exec_lo, exec_lo, s24
	s_cbranch_execz .LBB6_6326
.LBB6_7285:                             ;   in Loop: Header=BB6_4903 Depth=2
	v_cmp_ne_u16_e64 vcc_lo, 0, v183
	v_mov_b32_e32 v166, 0
	s_and_not1_b32 s7, s7, exec_lo
	s_delay_alu instid0(VALU_DEP_2) | instskip(NEXT) | instid1(SALU_CYCLE_1)
	s_and_b32 s23, vcc_lo, exec_lo
	s_or_b32 s7, s7, s23
	s_or_b32 exec_lo, exec_lo, s24
	s_and_saveexec_b32 s23, s7
	s_cbranch_execnz .LBB6_6327
	s_branch .LBB6_6328
.LBB6_7286:                             ;   in Loop: Header=BB6_4903 Depth=2
	s_mov_b32 s7, -1
	s_mov_b32 s25, exec_lo
                                        ; implicit-def: $sgpr23
	v_cmpx_eq_u16_e64 0x80, v183
; %bb.7287:                             ;   in Loop: Header=BB6_4903 Depth=2
	s_mov_b32 s23, 0x7f800001
	s_xor_b32 s7, exec_lo, -1
; %bb.7288:                             ;   in Loop: Header=BB6_4903 Depth=2
	s_or_b32 exec_lo, exec_lo, s25
	s_delay_alu instid0(SALU_CYCLE_1)
	s_and_b32 s7, s7, exec_lo
                                        ; implicit-def: $vgpr183
	s_or_saveexec_b32 s24, s24
	v_mov_b32_e32 v179, s23
	s_xor_b32 exec_lo, exec_lo, s24
	s_cbranch_execz .LBB6_6338
.LBB6_7289:                             ;   in Loop: Header=BB6_4903 Depth=2
	v_cmp_ne_u16_e64 vcc_lo, 0, v183
	v_mov_b32_e32 v179, 0
	s_and_not1_b32 s7, s7, exec_lo
	s_delay_alu instid0(VALU_DEP_2) | instskip(NEXT) | instid1(SALU_CYCLE_1)
	s_and_b32 s23, vcc_lo, exec_lo
	s_or_b32 s7, s7, s23
	s_or_b32 exec_lo, exec_lo, s24
	s_and_saveexec_b32 s23, s7
	s_cbranch_execnz .LBB6_6339
	s_branch .LBB6_6340
.LBB6_7290:                             ;   in Loop: Header=BB6_4903 Depth=2
	s_mov_b32 s7, -1
	s_mov_b32 s25, exec_lo
                                        ; implicit-def: $sgpr23
	v_cmpx_eq_u16_e64 0x80, v164
; %bb.7291:                             ;   in Loop: Header=BB6_4903 Depth=2
	s_mov_b32 s23, 0x7f800001
	s_xor_b32 s7, exec_lo, -1
; %bb.7292:                             ;   in Loop: Header=BB6_4903 Depth=2
	s_or_b32 exec_lo, exec_lo, s25
	s_delay_alu instid0(SALU_CYCLE_1)
	s_and_b32 s7, s7, exec_lo
	s_or_saveexec_b32 s24, s24
	v_mov_b32_e32 v183, s23
	s_xor_b32 exec_lo, exec_lo, s24
	s_cbranch_execz .LBB6_6342
.LBB6_7293:                             ;   in Loop: Header=BB6_4903 Depth=2
	v_cmp_ne_u16_e64 vcc_lo, 0, v164
	v_mov_b32_e32 v183, 0
	s_and_not1_b32 s7, s7, exec_lo
	s_delay_alu instid0(VALU_DEP_2) | instskip(NEXT) | instid1(SALU_CYCLE_1)
	s_and_b32 s23, vcc_lo, exec_lo
	s_or_b32 s7, s7, s23
	s_or_b32 exec_lo, exec_lo, s24
	s_and_saveexec_b32 s23, s7
	s_cbranch_execnz .LBB6_6343
	s_branch .LBB6_6344
.LBB6_7294:                             ;   in Loop: Header=BB6_4903 Depth=2
	s_mov_b32 s7, -1
	s_mov_b32 s25, exec_lo
                                        ; implicit-def: $sgpr23
	v_cmpx_eq_u16_e64 0x80, v183
; %bb.7295:                             ;   in Loop: Header=BB6_4903 Depth=2
	s_mov_b32 s23, 0x7f800001
	s_xor_b32 s7, exec_lo, -1
; %bb.7296:                             ;   in Loop: Header=BB6_4903 Depth=2
	s_or_b32 exec_lo, exec_lo, s25
	s_delay_alu instid0(SALU_CYCLE_1)
	s_and_b32 s7, s7, exec_lo
                                        ; implicit-def: $vgpr183
	s_or_saveexec_b32 s24, s24
	v_mov_b32_e32 v179, s23
	s_xor_b32 exec_lo, exec_lo, s24
	s_cbranch_execz .LBB6_6354
.LBB6_7297:                             ;   in Loop: Header=BB6_4903 Depth=2
	v_cmp_ne_u16_e64 vcc_lo, 0, v183
	v_mov_b32_e32 v179, 0
	s_and_not1_b32 s7, s7, exec_lo
	s_delay_alu instid0(VALU_DEP_2) | instskip(NEXT) | instid1(SALU_CYCLE_1)
	s_and_b32 s23, vcc_lo, exec_lo
	s_or_b32 s7, s7, s23
	s_or_b32 exec_lo, exec_lo, s24
	s_and_saveexec_b32 s23, s7
	s_cbranch_execnz .LBB6_6355
	s_branch .LBB6_6356
.LBB6_7298:                             ;   in Loop: Header=BB6_4903 Depth=2
	s_mov_b32 s7, -1
	s_mov_b32 s25, exec_lo
                                        ; implicit-def: $sgpr23
	v_cmpx_eq_u16_e32 0x80, v45
; %bb.7299:                             ;   in Loop: Header=BB6_4903 Depth=2
	s_mov_b32 s23, 0x7f800001
	s_xor_b32 s7, exec_lo, -1
; %bb.7300:                             ;   in Loop: Header=BB6_4903 Depth=2
	s_or_b32 exec_lo, exec_lo, s25
	s_delay_alu instid0(SALU_CYCLE_1)
	s_and_b32 s7, s7, exec_lo
                                        ; implicit-def: $vgpr45
	s_or_saveexec_b32 s24, s24
	v_mov_b32_e32 v183, s23
	s_xor_b32 exec_lo, exec_lo, s24
	s_cbranch_execz .LBB6_6358
.LBB6_7301:                             ;   in Loop: Header=BB6_4903 Depth=2
	v_cmp_ne_u16_e32 vcc_lo, 0, v45
	v_mov_b32_e32 v183, 0
	s_and_not1_b32 s7, s7, exec_lo
	s_and_b32 s23, vcc_lo, exec_lo
	s_delay_alu instid0(SALU_CYCLE_1)
	s_or_b32 s7, s7, s23
	s_or_b32 exec_lo, exec_lo, s24
	s_and_saveexec_b32 s23, s7
	s_cbranch_execnz .LBB6_6359
	s_branch .LBB6_6360
.LBB6_7302:                             ;   in Loop: Header=BB6_4903 Depth=2
	s_mov_b32 s7, -1
	s_mov_b32 s25, exec_lo
                                        ; implicit-def: $sgpr23
	v_cmpx_eq_u16_e64 0x80, v183
; %bb.7303:                             ;   in Loop: Header=BB6_4903 Depth=2
	s_mov_b32 s23, 0x7f800001
	s_xor_b32 s7, exec_lo, -1
; %bb.7304:                             ;   in Loop: Header=BB6_4903 Depth=2
	s_or_b32 exec_lo, exec_lo, s25
	s_delay_alu instid0(SALU_CYCLE_1)
	s_and_b32 s7, s7, exec_lo
	s_or_saveexec_b32 s24, s24
	v_mov_b32_e32 v179, s23
	s_xor_b32 exec_lo, exec_lo, s24
	s_cbranch_execz .LBB6_6370
.LBB6_7305:                             ;   in Loop: Header=BB6_4903 Depth=2
	v_cmp_ne_u16_e64 vcc_lo, 0, v183
	v_mov_b32_e32 v179, 0
	s_and_not1_b32 s7, s7, exec_lo
	s_delay_alu instid0(VALU_DEP_2) | instskip(NEXT) | instid1(SALU_CYCLE_1)
	s_and_b32 s23, vcc_lo, exec_lo
	s_or_b32 s7, s7, s23
	s_or_b32 exec_lo, exec_lo, s24
	s_and_saveexec_b32 s23, s7
	s_cbranch_execnz .LBB6_6371
	s_branch .LBB6_6372
.LBB6_7306:                             ;   in Loop: Header=BB6_4903 Depth=2
	s_mov_b32 s7, -1
	s_mov_b32 s25, exec_lo
                                        ; implicit-def: $sgpr23
	v_cmpx_eq_u16_e64 0x80, v160
; %bb.7307:                             ;   in Loop: Header=BB6_4903 Depth=2
	s_mov_b32 s23, 0x7f800001
	s_xor_b32 s7, exec_lo, -1
; %bb.7308:                             ;   in Loop: Header=BB6_4903 Depth=2
	s_or_b32 exec_lo, exec_lo, s25
	s_delay_alu instid0(SALU_CYCLE_1)
	s_and_b32 s7, s7, exec_lo
	s_or_saveexec_b32 s24, s24
	v_mov_b32_e32 v183, s23
	s_xor_b32 exec_lo, exec_lo, s24
	s_cbranch_execz .LBB6_6374
.LBB6_7309:                             ;   in Loop: Header=BB6_4903 Depth=2
	v_cmp_ne_u16_e64 vcc_lo, 0, v160
	v_mov_b32_e32 v183, 0
	s_and_not1_b32 s7, s7, exec_lo
	s_delay_alu instid0(VALU_DEP_2) | instskip(NEXT) | instid1(SALU_CYCLE_1)
	s_and_b32 s23, vcc_lo, exec_lo
	s_or_b32 s7, s7, s23
	s_or_b32 exec_lo, exec_lo, s24
	s_and_saveexec_b32 s23, s7
	s_cbranch_execnz .LBB6_6375
	s_branch .LBB6_6376
.LBB6_7310:                             ;   in Loop: Header=BB6_4903 Depth=2
	s_mov_b32 s7, -1
	s_mov_b32 s25, exec_lo
                                        ; implicit-def: $sgpr23
	v_cmpx_eq_u16_e64 0x80, v160
; %bb.7311:                             ;   in Loop: Header=BB6_4903 Depth=2
	s_mov_b32 s23, 0x7f800001
	s_xor_b32 s7, exec_lo, -1
; %bb.7312:                             ;   in Loop: Header=BB6_4903 Depth=2
	s_or_b32 exec_lo, exec_lo, s25
	s_delay_alu instid0(SALU_CYCLE_1)
	s_and_b32 s7, s7, exec_lo
                                        ; implicit-def: $vgpr160
	s_or_saveexec_b32 s24, s24
	v_mov_b32_e32 v151, s23
	s_xor_b32 exec_lo, exec_lo, s24
	s_cbranch_execz .LBB6_6386
.LBB6_7313:                             ;   in Loop: Header=BB6_4903 Depth=2
	v_cmp_ne_u16_e64 vcc_lo, 0, v160
	v_mov_b32_e32 v151, 0
	s_and_not1_b32 s7, s7, exec_lo
	s_delay_alu instid0(VALU_DEP_2) | instskip(NEXT) | instid1(SALU_CYCLE_1)
	s_and_b32 s23, vcc_lo, exec_lo
	s_or_b32 s7, s7, s23
	s_or_b32 exec_lo, exec_lo, s24
	s_and_saveexec_b32 s23, s7
	s_cbranch_execnz .LBB6_6387
	s_branch .LBB6_6388
.LBB6_7314:                             ;   in Loop: Header=BB6_4903 Depth=2
	s_mov_b32 s7, -1
	s_mov_b32 s25, exec_lo
                                        ; implicit-def: $sgpr23
	v_cmpx_eq_u16_e64 0x80, v179
; %bb.7315:                             ;   in Loop: Header=BB6_4903 Depth=2
	s_mov_b32 s23, 0x7f800001
	s_xor_b32 s7, exec_lo, -1
; %bb.7316:                             ;   in Loop: Header=BB6_4903 Depth=2
	s_or_b32 exec_lo, exec_lo, s25
	s_delay_alu instid0(SALU_CYCLE_1)
	s_and_b32 s7, s7, exec_lo
                                        ; implicit-def: $vgpr179
	s_or_saveexec_b32 s24, s24
	v_mov_b32_e32 v160, s23
	s_xor_b32 exec_lo, exec_lo, s24
	s_cbranch_execz .LBB6_6390
.LBB6_7317:                             ;   in Loop: Header=BB6_4903 Depth=2
	v_cmp_ne_u16_e64 vcc_lo, 0, v179
	v_mov_b32_e32 v160, 0
	s_and_not1_b32 s7, s7, exec_lo
	s_delay_alu instid0(VALU_DEP_2) | instskip(NEXT) | instid1(SALU_CYCLE_1)
	s_and_b32 s23, vcc_lo, exec_lo
	s_or_b32 s7, s7, s23
	s_or_b32 exec_lo, exec_lo, s24
	s_and_saveexec_b32 s23, s7
	s_cbranch_execnz .LBB6_6391
	s_branch .LBB6_6392
.LBB6_7318:                             ;   in Loop: Header=BB6_4903 Depth=2
	s_mov_b32 s7, -1
	s_mov_b32 s25, exec_lo
                                        ; implicit-def: $sgpr23
	v_cmpx_eq_u16_e64 0x80, v179
; %bb.7319:                             ;   in Loop: Header=BB6_4903 Depth=2
	s_mov_b32 s23, 0x7f800001
	s_xor_b32 s7, exec_lo, -1
; %bb.7320:                             ;   in Loop: Header=BB6_4903 Depth=2
	s_or_b32 exec_lo, exec_lo, s25
	s_delay_alu instid0(SALU_CYCLE_1)
	s_and_b32 s7, s7, exec_lo
	s_or_saveexec_b32 s24, s24
	v_mov_b32_e32 v160, s23
	s_xor_b32 exec_lo, exec_lo, s24
	s_cbranch_execz .LBB6_6402
.LBB6_7321:                             ;   in Loop: Header=BB6_4903 Depth=2
	v_cmp_ne_u16_e64 vcc_lo, 0, v179
	v_mov_b32_e32 v160, 0
	s_and_not1_b32 s7, s7, exec_lo
	s_delay_alu instid0(VALU_DEP_2) | instskip(NEXT) | instid1(SALU_CYCLE_1)
	s_and_b32 s23, vcc_lo, exec_lo
	s_or_b32 s7, s7, s23
	s_or_b32 exec_lo, exec_lo, s24
	s_and_saveexec_b32 s23, s7
	s_cbranch_execnz .LBB6_6403
	s_branch .LBB6_6404
.LBB6_7322:                             ;   in Loop: Header=BB6_4903 Depth=2
	s_mov_b32 s7, -1
	s_mov_b32 s25, exec_lo
                                        ; implicit-def: $sgpr23
	v_cmpx_eq_u16_e64 0x80, v179
; %bb.7323:                             ;   in Loop: Header=BB6_4903 Depth=2
	s_mov_b32 s23, 0x7f800001
	s_xor_b32 s7, exec_lo, -1
; %bb.7324:                             ;   in Loop: Header=BB6_4903 Depth=2
	s_or_b32 exec_lo, exec_lo, s25
	s_delay_alu instid0(SALU_CYCLE_1)
	s_and_b32 s7, s7, exec_lo
	s_or_saveexec_b32 s24, s24
	v_mov_b32_e32 v183, s23
	s_xor_b32 exec_lo, exec_lo, s24
	s_cbranch_execz .LBB6_6406
.LBB6_7325:                             ;   in Loop: Header=BB6_4903 Depth=2
	v_cmp_ne_u16_e64 vcc_lo, 0, v179
	v_mov_b32_e32 v183, 0
	s_and_not1_b32 s7, s7, exec_lo
	s_delay_alu instid0(VALU_DEP_2) | instskip(NEXT) | instid1(SALU_CYCLE_1)
	s_and_b32 s23, vcc_lo, exec_lo
	s_or_b32 s7, s7, s23
	s_or_b32 exec_lo, exec_lo, s24
	s_and_saveexec_b32 s23, s7
	s_cbranch_execnz .LBB6_6407
	s_branch .LBB6_6408
.LBB6_7326:                             ;   in Loop: Header=BB6_4903 Depth=2
	s_mov_b32 s7, -1
	s_mov_b32 s25, exec_lo
                                        ; implicit-def: $sgpr23
	v_cmpx_eq_u16_e64 0x80, v179
; %bb.7327:                             ;   in Loop: Header=BB6_4903 Depth=2
	s_mov_b32 s23, 0x7f800001
	s_xor_b32 s7, exec_lo, -1
; %bb.7328:                             ;   in Loop: Header=BB6_4903 Depth=2
	s_or_b32 exec_lo, exec_lo, s25
	s_delay_alu instid0(SALU_CYCLE_1)
	s_and_b32 s7, s7, exec_lo
                                        ; implicit-def: $vgpr179
	s_or_saveexec_b32 s24, s24
	v_mov_b32_e32 v150, s23
	s_xor_b32 exec_lo, exec_lo, s24
	s_cbranch_execz .LBB6_6418
.LBB6_7329:                             ;   in Loop: Header=BB6_4903 Depth=2
	v_cmp_ne_u16_e64 vcc_lo, 0, v179
	v_mov_b32_e32 v150, 0
	s_and_not1_b32 s7, s7, exec_lo
	s_delay_alu instid0(VALU_DEP_2) | instskip(NEXT) | instid1(SALU_CYCLE_1)
	s_and_b32 s23, vcc_lo, exec_lo
	s_or_b32 s7, s7, s23
	s_or_b32 exec_lo, exec_lo, s24
	v_lshl_or_b32 v161, v161, 16, v165
	s_and_saveexec_b32 s23, s7
	s_cbranch_execnz .LBB6_6419
	s_branch .LBB6_6420
.LBB6_7330:                             ;   in Loop: Header=BB6_4903 Depth=2
	s_mov_b32 s7, -1
	s_mov_b32 s25, exec_lo
                                        ; implicit-def: $sgpr23
	v_cmpx_eq_u16_e64 0x80, v183
; %bb.7331:                             ;   in Loop: Header=BB6_4903 Depth=2
	s_mov_b32 s23, 0x7f800001
	s_xor_b32 s7, exec_lo, -1
; %bb.7332:                             ;   in Loop: Header=BB6_4903 Depth=2
	s_or_b32 exec_lo, exec_lo, s25
	s_delay_alu instid0(SALU_CYCLE_1)
	s_and_b32 s7, s7, exec_lo
                                        ; implicit-def: $vgpr183
	s_or_saveexec_b32 s24, s24
	v_mov_b32_e32 v179, s23
	s_xor_b32 exec_lo, exec_lo, s24
	s_cbranch_execz .LBB6_6422
.LBB6_7333:                             ;   in Loop: Header=BB6_4903 Depth=2
	v_cmp_ne_u16_e64 vcc_lo, 0, v183
	v_mov_b32_e32 v179, 0
	s_and_not1_b32 s7, s7, exec_lo
	s_delay_alu instid0(VALU_DEP_2) | instskip(NEXT) | instid1(SALU_CYCLE_1)
	s_and_b32 s23, vcc_lo, exec_lo
	s_or_b32 s7, s7, s23
	s_or_b32 exec_lo, exec_lo, s24
	s_and_saveexec_b32 s23, s7
	s_cbranch_execnz .LBB6_6423
	s_branch .LBB6_6424
.LBB6_7334:                             ;   in Loop: Header=BB6_4903 Depth=2
	s_mov_b32 s7, -1
	s_mov_b32 s25, exec_lo
                                        ; implicit-def: $sgpr23
	v_cmpx_eq_u16_e64 0x80, v179
; %bb.7335:                             ;   in Loop: Header=BB6_4903 Depth=2
	s_mov_b32 s23, 0x7f800001
	s_xor_b32 s7, exec_lo, -1
; %bb.7336:                             ;   in Loop: Header=BB6_4903 Depth=2
	s_or_b32 exec_lo, exec_lo, s25
	s_delay_alu instid0(SALU_CYCLE_1)
	s_and_b32 s7, s7, exec_lo
	s_or_saveexec_b32 s24, s24
	v_mov_b32_e32 v165, s23
	s_xor_b32 exec_lo, exec_lo, s24
	s_cbranch_execz .LBB6_6434
.LBB6_7337:                             ;   in Loop: Header=BB6_4903 Depth=2
	v_cmp_ne_u16_e64 vcc_lo, 0, v179
	v_mov_b32_e32 v165, 0
	s_and_not1_b32 s7, s7, exec_lo
	s_delay_alu instid0(VALU_DEP_2) | instskip(NEXT) | instid1(SALU_CYCLE_1)
	s_and_b32 s23, vcc_lo, exec_lo
	s_or_b32 s7, s7, s23
	s_or_b32 exec_lo, exec_lo, s24
	s_and_saveexec_b32 s23, s7
	s_cbranch_execnz .LBB6_6435
	s_branch .LBB6_6436
.LBB6_7338:                             ;   in Loop: Header=BB6_4903 Depth=2
	s_mov_b32 s7, -1
	s_mov_b32 s25, exec_lo
                                        ; implicit-def: $sgpr23
	v_cmpx_eq_u16_e64 0x80, v161
; %bb.7339:                             ;   in Loop: Header=BB6_4903 Depth=2
	s_mov_b32 s23, 0x7f800001
	s_xor_b32 s7, exec_lo, -1
; %bb.7340:                             ;   in Loop: Header=BB6_4903 Depth=2
	s_or_b32 exec_lo, exec_lo, s25
	s_delay_alu instid0(SALU_CYCLE_1)
	s_and_b32 s7, s7, exec_lo
	s_or_saveexec_b32 s24, s24
	v_mov_b32_e32 v179, s23
	s_xor_b32 exec_lo, exec_lo, s24
	s_cbranch_execz .LBB6_6438
.LBB6_7341:                             ;   in Loop: Header=BB6_4903 Depth=2
	v_cmp_ne_u16_e64 vcc_lo, 0, v161
	v_mov_b32_e32 v179, 0
	s_and_not1_b32 s7, s7, exec_lo
	s_delay_alu instid0(VALU_DEP_2) | instskip(NEXT) | instid1(SALU_CYCLE_1)
	s_and_b32 s23, vcc_lo, exec_lo
	s_or_b32 s7, s7, s23
	s_or_b32 exec_lo, exec_lo, s24
	s_and_saveexec_b32 s23, s7
	s_cbranch_execnz .LBB6_6439
	s_branch .LBB6_6440
.LBB6_7342:                             ;   in Loop: Header=BB6_4903 Depth=2
	s_mov_b32 s7, -1
	s_mov_b32 s25, exec_lo
                                        ; implicit-def: $sgpr23
	v_cmpx_eq_u16_e64 0x80, v165
; %bb.7343:                             ;   in Loop: Header=BB6_4903 Depth=2
	s_mov_b32 s23, 0x7f800001
	s_xor_b32 s7, exec_lo, -1
; %bb.7344:                             ;   in Loop: Header=BB6_4903 Depth=2
	s_or_b32 exec_lo, exec_lo, s25
	s_delay_alu instid0(SALU_CYCLE_1)
	s_and_b32 s7, s7, exec_lo
                                        ; implicit-def: $vgpr165
	s_or_saveexec_b32 s24, s24
	v_mov_b32_e32 v161, s23
	s_xor_b32 exec_lo, exec_lo, s24
	s_cbranch_execz .LBB6_6450
.LBB6_7345:                             ;   in Loop: Header=BB6_4903 Depth=2
	v_cmp_ne_u16_e64 vcc_lo, 0, v165
	v_mov_b32_e32 v161, 0
	s_and_not1_b32 s7, s7, exec_lo
	s_delay_alu instid0(VALU_DEP_2) | instskip(NEXT) | instid1(SALU_CYCLE_1)
	s_and_b32 s23, vcc_lo, exec_lo
	s_or_b32 s7, s7, s23
	s_or_b32 exec_lo, exec_lo, s24
	s_and_saveexec_b32 s23, s7
	s_cbranch_execnz .LBB6_6451
	s_branch .LBB6_6452
.LBB6_7346:                             ;   in Loop: Header=BB6_4903 Depth=2
	s_mov_b32 s7, -1
	s_mov_b32 s25, exec_lo
                                        ; implicit-def: $sgpr23
	v_cmpx_eq_u16_e64 0x80, v165
; %bb.7347:                             ;   in Loop: Header=BB6_4903 Depth=2
	s_mov_b32 s23, 0x7f800001
	s_xor_b32 s7, exec_lo, -1
; %bb.7348:                             ;   in Loop: Header=BB6_4903 Depth=2
	s_or_b32 exec_lo, exec_lo, s25
	s_delay_alu instid0(SALU_CYCLE_1)
	s_and_b32 s7, s7, exec_lo
                                        ; implicit-def: $vgpr165
	s_or_saveexec_b32 s24, s24
	v_mov_b32_e32 v148, s23
	s_xor_b32 exec_lo, exec_lo, s24
	s_cbranch_execz .LBB6_6454
.LBB6_7349:                             ;   in Loop: Header=BB6_4903 Depth=2
	v_cmp_ne_u16_e64 vcc_lo, 0, v165
	v_mov_b32_e32 v148, 0
	s_and_not1_b32 s7, s7, exec_lo
	s_delay_alu instid0(VALU_DEP_2) | instskip(NEXT) | instid1(SALU_CYCLE_1)
	s_and_b32 s23, vcc_lo, exec_lo
	s_or_b32 s7, s7, s23
	s_or_b32 exec_lo, exec_lo, s24
	s_and_saveexec_b32 s23, s7
	s_cbranch_execnz .LBB6_6455
	s_branch .LBB6_6456
.LBB6_7350:                             ;   in Loop: Header=BB6_4903 Depth=2
	s_mov_b32 s7, -1
	s_mov_b32 s25, exec_lo
                                        ; implicit-def: $sgpr23
	v_cmpx_eq_u16_e64 0x80, v165
; %bb.7351:                             ;   in Loop: Header=BB6_4903 Depth=2
	s_mov_b32 s23, 0x7f800001
	s_xor_b32 s7, exec_lo, -1
; %bb.7352:                             ;   in Loop: Header=BB6_4903 Depth=2
	s_or_b32 exec_lo, exec_lo, s25
	s_delay_alu instid0(SALU_CYCLE_1)
	s_and_b32 s7, s7, exec_lo
                                        ; implicit-def: $vgpr165
	s_or_saveexec_b32 s24, s24
	v_mov_b32_e32 v161, s23
	s_xor_b32 exec_lo, exec_lo, s24
	s_cbranch_execz .LBB6_6466
.LBB6_7353:                             ;   in Loop: Header=BB6_4903 Depth=2
	v_cmp_ne_u16_e64 vcc_lo, 0, v165
	v_mov_b32_e32 v161, 0
	s_and_not1_b32 s7, s7, exec_lo
	s_delay_alu instid0(VALU_DEP_2) | instskip(NEXT) | instid1(SALU_CYCLE_1)
	s_and_b32 s23, vcc_lo, exec_lo
	s_or_b32 s7, s7, s23
	s_or_b32 exec_lo, exec_lo, s24
	s_and_saveexec_b32 s23, s7
	s_cbranch_execnz .LBB6_6467
	s_branch .LBB6_6468
.LBB6_7354:                             ;   in Loop: Header=BB6_4903 Depth=2
	s_mov_b32 s7, -1
	s_mov_b32 s25, exec_lo
                                        ; implicit-def: $sgpr23
	v_cmpx_eq_u16_e64 0x80, v146
; %bb.7355:                             ;   in Loop: Header=BB6_4903 Depth=2
	s_mov_b32 s23, 0x7f800001
	s_xor_b32 s7, exec_lo, -1
; %bb.7356:                             ;   in Loop: Header=BB6_4903 Depth=2
	s_or_b32 exec_lo, exec_lo, s25
	s_delay_alu instid0(SALU_CYCLE_1)
	s_and_b32 s7, s7, exec_lo
	s_or_saveexec_b32 s24, s24
	v_mov_b32_e32 v165, s23
	s_xor_b32 exec_lo, exec_lo, s24
	s_cbranch_execz .LBB6_6470
.LBB6_7357:                             ;   in Loop: Header=BB6_4903 Depth=2
	v_cmp_ne_u16_e64 vcc_lo, 0, v146
	v_mov_b32_e32 v165, 0
	s_and_not1_b32 s7, s7, exec_lo
	s_delay_alu instid0(VALU_DEP_2) | instskip(NEXT) | instid1(SALU_CYCLE_1)
	s_and_b32 s23, vcc_lo, exec_lo
	s_or_b32 s7, s7, s23
	s_or_b32 exec_lo, exec_lo, s24
	s_and_saveexec_b32 s23, s7
	s_cbranch_execnz .LBB6_6471
	s_branch .LBB6_6472
.LBB6_7358:                             ;   in Loop: Header=BB6_4903 Depth=2
	s_mov_b32 s7, -1
	s_mov_b32 s25, exec_lo
                                        ; implicit-def: $sgpr23
	v_cmpx_eq_u16_e64 0x80, v165
; %bb.7359:                             ;   in Loop: Header=BB6_4903 Depth=2
	s_mov_b32 s23, 0x7f800001
	s_xor_b32 s7, exec_lo, -1
; %bb.7360:                             ;   in Loop: Header=BB6_4903 Depth=2
	s_or_b32 exec_lo, exec_lo, s25
	s_delay_alu instid0(SALU_CYCLE_1)
	s_and_b32 s7, s7, exec_lo
                                        ; implicit-def: $vgpr165
	s_or_saveexec_b32 s24, s24
	v_mov_b32_e32 v161, s23
	s_xor_b32 exec_lo, exec_lo, s24
	s_cbranch_execz .LBB6_6482
.LBB6_7361:                             ;   in Loop: Header=BB6_4903 Depth=2
	v_cmp_ne_u16_e64 vcc_lo, 0, v165
	v_mov_b32_e32 v161, 0
	s_and_not1_b32 s7, s7, exec_lo
	s_delay_alu instid0(VALU_DEP_2) | instskip(NEXT) | instid1(SALU_CYCLE_1)
	s_and_b32 s23, vcc_lo, exec_lo
	s_or_b32 s7, s7, s23
	s_or_b32 exec_lo, exec_lo, s24
	s_and_saveexec_b32 s23, s7
	s_cbranch_execnz .LBB6_6483
	s_branch .LBB6_6484
.LBB6_7362:                             ;   in Loop: Header=BB6_4903 Depth=2
	s_mov_b32 s7, -1
	s_mov_b32 s25, exec_lo
                                        ; implicit-def: $sgpr23
	v_cmpx_eq_u16_e64 0x80, v179
; %bb.7363:                             ;   in Loop: Header=BB6_4903 Depth=2
	s_mov_b32 s23, 0x7f800001
	s_xor_b32 s7, exec_lo, -1
; %bb.7364:                             ;   in Loop: Header=BB6_4903 Depth=2
	s_or_b32 exec_lo, exec_lo, s25
	s_delay_alu instid0(SALU_CYCLE_1)
	s_and_b32 s7, s7, exec_lo
                                        ; implicit-def: $vgpr179
	s_or_saveexec_b32 s24, s24
	v_mov_b32_e32 v165, s23
	s_xor_b32 exec_lo, exec_lo, s24
	s_cbranch_execz .LBB6_6486
.LBB6_7365:                             ;   in Loop: Header=BB6_4903 Depth=2
	v_cmp_ne_u16_e64 vcc_lo, 0, v179
	v_mov_b32_e32 v165, 0
	s_and_not1_b32 s7, s7, exec_lo
	s_delay_alu instid0(VALU_DEP_2) | instskip(NEXT) | instid1(SALU_CYCLE_1)
	s_and_b32 s23, vcc_lo, exec_lo
	s_or_b32 s7, s7, s23
	s_or_b32 exec_lo, exec_lo, s24
	s_and_saveexec_b32 s23, s7
	s_cbranch_execnz .LBB6_6487
	s_branch .LBB6_6488
.LBB6_7366:                             ;   in Loop: Header=BB6_4903 Depth=2
	s_mov_b32 s7, -1
	s_mov_b32 s25, exec_lo
                                        ; implicit-def: $sgpr23
	v_cmpx_eq_u16_e64 0x80, v165
; %bb.7367:                             ;   in Loop: Header=BB6_4903 Depth=2
	s_mov_b32 s23, 0x7f800001
	s_xor_b32 s7, exec_lo, -1
; %bb.7368:                             ;   in Loop: Header=BB6_4903 Depth=2
	s_or_b32 exec_lo, exec_lo, s25
	s_delay_alu instid0(SALU_CYCLE_1)
	s_and_b32 s7, s7, exec_lo
	s_or_saveexec_b32 s24, s24
	v_mov_b32_e32 v161, s23
	s_xor_b32 exec_lo, exec_lo, s24
	s_cbranch_execz .LBB6_6498
.LBB6_7369:                             ;   in Loop: Header=BB6_4903 Depth=2
	v_cmp_ne_u16_e64 vcc_lo, 0, v165
	v_mov_b32_e32 v161, 0
	s_and_not1_b32 s7, s7, exec_lo
	s_delay_alu instid0(VALU_DEP_2) | instskip(NEXT) | instid1(SALU_CYCLE_1)
	s_and_b32 s23, vcc_lo, exec_lo
	s_or_b32 s7, s7, s23
	s_or_b32 exec_lo, exec_lo, s24
	s_and_saveexec_b32 s23, s7
	s_cbranch_execnz .LBB6_6499
	s_branch .LBB6_6500
.LBB6_7370:                             ;   in Loop: Header=BB6_4903 Depth=2
	s_mov_b32 s7, -1
	s_mov_b32 s25, exec_lo
                                        ; implicit-def: $sgpr23
	v_cmpx_eq_u16_e64 0x80, v134
; %bb.7371:                             ;   in Loop: Header=BB6_4903 Depth=2
	s_mov_b32 s23, 0x7f800001
	s_xor_b32 s7, exec_lo, -1
; %bb.7372:                             ;   in Loop: Header=BB6_4903 Depth=2
	s_or_b32 exec_lo, exec_lo, s25
	s_delay_alu instid0(SALU_CYCLE_1)
	s_and_b32 s7, s7, exec_lo
	s_or_saveexec_b32 s24, s24
	v_mov_b32_e32 v165, s23
	s_xor_b32 exec_lo, exec_lo, s24
	s_cbranch_execz .LBB6_6502
.LBB6_7373:                             ;   in Loop: Header=BB6_4903 Depth=2
	v_cmp_ne_u16_e64 vcc_lo, 0, v134
	v_mov_b32_e32 v165, 0
	s_and_not1_b32 s7, s7, exec_lo
	s_delay_alu instid0(VALU_DEP_2) | instskip(NEXT) | instid1(SALU_CYCLE_1)
	s_and_b32 s23, vcc_lo, exec_lo
	s_or_b32 s7, s7, s23
	s_or_b32 exec_lo, exec_lo, s24
	s_and_saveexec_b32 s23, s7
	s_cbranch_execnz .LBB6_6503
	s_branch .LBB6_6504
.LBB6_7374:                             ;   in Loop: Header=BB6_4903 Depth=2
	s_mov_b32 s7, -1
	s_mov_b32 s25, exec_lo
                                        ; implicit-def: $sgpr23
	v_cmpx_eq_u16_e64 0x80, v134
; %bb.7375:                             ;   in Loop: Header=BB6_4903 Depth=2
	s_mov_b32 s23, 0x7f800001
	s_xor_b32 s7, exec_lo, -1
; %bb.7376:                             ;   in Loop: Header=BB6_4903 Depth=2
	s_or_b32 exec_lo, exec_lo, s25
	s_delay_alu instid0(SALU_CYCLE_1)
	s_and_b32 s7, s7, exec_lo
                                        ; implicit-def: $vgpr134
	s_or_saveexec_b32 s24, s24
	v_mov_b32_e32 v133, s23
	s_xor_b32 exec_lo, exec_lo, s24
	s_cbranch_execz .LBB6_6514
.LBB6_7377:                             ;   in Loop: Header=BB6_4903 Depth=2
	v_cmp_ne_u16_e64 vcc_lo, 0, v134
	v_mov_b32_e32 v133, 0
	s_and_not1_b32 s7, s7, exec_lo
	s_delay_alu instid0(VALU_DEP_2) | instskip(NEXT) | instid1(SALU_CYCLE_1)
	s_and_b32 s23, vcc_lo, exec_lo
	s_or_b32 s7, s7, s23
	s_or_b32 exec_lo, exec_lo, s24
	s_and_saveexec_b32 s23, s7
	s_cbranch_execnz .LBB6_6515
	s_branch .LBB6_6516
.LBB6_7378:                             ;   in Loop: Header=BB6_4903 Depth=2
	s_mov_b32 s7, -1
	s_mov_b32 s25, exec_lo
                                        ; implicit-def: $sgpr23
	v_cmpx_eq_u16_e64 0x80, v161
; %bb.7379:                             ;   in Loop: Header=BB6_4903 Depth=2
	s_mov_b32 s23, 0x7f800001
	s_xor_b32 s7, exec_lo, -1
; %bb.7380:                             ;   in Loop: Header=BB6_4903 Depth=2
	s_or_b32 exec_lo, exec_lo, s25
	s_delay_alu instid0(SALU_CYCLE_1)
	s_and_b32 s7, s7, exec_lo
                                        ; implicit-def: $vgpr161
	s_or_saveexec_b32 s24, s24
	v_mov_b32_e32 v134, s23
	s_xor_b32 exec_lo, exec_lo, s24
	s_cbranch_execz .LBB6_6518
.LBB6_7381:                             ;   in Loop: Header=BB6_4903 Depth=2
	v_cmp_ne_u16_e64 vcc_lo, 0, v161
	v_mov_b32_e32 v134, 0
	s_and_not1_b32 s7, s7, exec_lo
	s_delay_alu instid0(VALU_DEP_2) | instskip(NEXT) | instid1(SALU_CYCLE_1)
	s_and_b32 s23, vcc_lo, exec_lo
	s_or_b32 s7, s7, s23
	s_or_b32 exec_lo, exec_lo, s24
	s_and_saveexec_b32 s23, s7
	s_cbranch_execnz .LBB6_6519
	s_branch .LBB6_6520
.LBB6_7382:                             ;   in Loop: Header=BB6_4903 Depth=2
	s_mov_b32 s7, -1
	s_mov_b32 s25, exec_lo
                                        ; implicit-def: $sgpr23
	v_cmpx_eq_u16_e64 0x80, v161
; %bb.7383:                             ;   in Loop: Header=BB6_4903 Depth=2
	s_mov_b32 s23, 0x7f800001
	s_xor_b32 s7, exec_lo, -1
; %bb.7384:                             ;   in Loop: Header=BB6_4903 Depth=2
	s_or_b32 exec_lo, exec_lo, s25
	s_delay_alu instid0(SALU_CYCLE_1)
	s_and_b32 s7, s7, exec_lo
	s_or_saveexec_b32 s24, s24
	v_mov_b32_e32 v134, s23
	s_xor_b32 exec_lo, exec_lo, s24
	s_cbranch_execz .LBB6_6530
.LBB6_7385:                             ;   in Loop: Header=BB6_4903 Depth=2
	v_cmp_ne_u16_e64 vcc_lo, 0, v161
	v_mov_b32_e32 v134, 0
	s_and_not1_b32 s7, s7, exec_lo
	s_delay_alu instid0(VALU_DEP_2) | instskip(NEXT) | instid1(SALU_CYCLE_1)
	s_and_b32 s23, vcc_lo, exec_lo
	s_or_b32 s7, s7, s23
	s_or_b32 exec_lo, exec_lo, s24
	s_and_saveexec_b32 s23, s7
	s_cbranch_execnz .LBB6_6531
	s_branch .LBB6_6532
.LBB6_7386:                             ;   in Loop: Header=BB6_4903 Depth=2
	s_mov_b32 s7, -1
	s_mov_b32 s25, exec_lo
                                        ; implicit-def: $sgpr23
	v_cmpx_eq_u16_e64 0x80, v161
; %bb.7387:                             ;   in Loop: Header=BB6_4903 Depth=2
	s_mov_b32 s23, 0x7f800001
	s_xor_b32 s7, exec_lo, -1
; %bb.7388:                             ;   in Loop: Header=BB6_4903 Depth=2
	s_or_b32 exec_lo, exec_lo, s25
	s_delay_alu instid0(SALU_CYCLE_1)
	s_and_b32 s7, s7, exec_lo
	s_or_saveexec_b32 s24, s24
	v_mov_b32_e32 v165, s23
	s_xor_b32 exec_lo, exec_lo, s24
	s_cbranch_execz .LBB6_6534
.LBB6_7389:                             ;   in Loop: Header=BB6_4903 Depth=2
	v_cmp_ne_u16_e64 vcc_lo, 0, v161
	v_mov_b32_e32 v165, 0
	s_and_not1_b32 s7, s7, exec_lo
	s_delay_alu instid0(VALU_DEP_2) | instskip(NEXT) | instid1(SALU_CYCLE_1)
	s_and_b32 s23, vcc_lo, exec_lo
	s_or_b32 s7, s7, s23
	s_or_b32 exec_lo, exec_lo, s24
	s_and_saveexec_b32 s23, s7
	s_cbranch_execnz .LBB6_6535
	s_branch .LBB6_6536
.LBB6_7390:                             ;   in Loop: Header=BB6_4903 Depth=2
	s_mov_b32 s7, -1
	s_mov_b32 s25, exec_lo
                                        ; implicit-def: $sgpr23
	v_cmpx_eq_u16_e64 0x80, v161
; %bb.7391:                             ;   in Loop: Header=BB6_4903 Depth=2
	s_mov_b32 s23, 0x7f800001
	s_xor_b32 s7, exec_lo, -1
; %bb.7392:                             ;   in Loop: Header=BB6_4903 Depth=2
	s_or_b32 exec_lo, exec_lo, s25
	s_delay_alu instid0(SALU_CYCLE_1)
	s_and_b32 s7, s7, exec_lo
                                        ; implicit-def: $vgpr161
	s_or_saveexec_b32 s24, s24
	v_mov_b32_e32 v132, s23
	s_xor_b32 exec_lo, exec_lo, s24
	s_cbranch_execz .LBB6_6546
.LBB6_7393:                             ;   in Loop: Header=BB6_4903 Depth=2
	v_cmp_ne_u16_e64 vcc_lo, 0, v161
	v_mov_b32_e32 v132, 0
	s_and_not1_b32 s7, s7, exec_lo
	s_delay_alu instid0(VALU_DEP_2) | instskip(NEXT) | instid1(SALU_CYCLE_1)
	s_and_b32 s23, vcc_lo, exec_lo
	s_or_b32 s7, s7, s23
	s_or_b32 exec_lo, exec_lo, s24
	v_lshl_or_b32 v135, v135, 16, v147
	s_and_saveexec_b32 s23, s7
	s_cbranch_execnz .LBB6_6547
	s_branch .LBB6_6548
.LBB6_7394:                             ;   in Loop: Header=BB6_4903 Depth=2
	s_mov_b32 s7, -1
	s_mov_b32 s25, exec_lo
                                        ; implicit-def: $sgpr23
	v_cmpx_eq_u16_e64 0x80, v165
; %bb.7395:                             ;   in Loop: Header=BB6_4903 Depth=2
	s_mov_b32 s23, 0x7f800001
	s_xor_b32 s7, exec_lo, -1
; %bb.7396:                             ;   in Loop: Header=BB6_4903 Depth=2
	s_or_b32 exec_lo, exec_lo, s25
	s_delay_alu instid0(SALU_CYCLE_1)
	s_and_b32 s7, s7, exec_lo
                                        ; implicit-def: $vgpr165
	s_or_saveexec_b32 s24, s24
	v_mov_b32_e32 v161, s23
	s_xor_b32 exec_lo, exec_lo, s24
	s_cbranch_execz .LBB6_6550
.LBB6_7397:                             ;   in Loop: Header=BB6_4903 Depth=2
	v_cmp_ne_u16_e64 vcc_lo, 0, v165
	v_mov_b32_e32 v161, 0
	s_and_not1_b32 s7, s7, exec_lo
	s_delay_alu instid0(VALU_DEP_2) | instskip(NEXT) | instid1(SALU_CYCLE_1)
	s_and_b32 s23, vcc_lo, exec_lo
	s_or_b32 s7, s7, s23
	s_or_b32 exec_lo, exec_lo, s24
	s_and_saveexec_b32 s23, s7
	s_cbranch_execnz .LBB6_6551
	s_branch .LBB6_6552
.LBB6_7398:                             ;   in Loop: Header=BB6_4903 Depth=2
	s_mov_b32 s7, -1
	s_mov_b32 s25, exec_lo
                                        ; implicit-def: $sgpr23
	v_cmpx_eq_u16_e64 0x80, v161
; %bb.7399:                             ;   in Loop: Header=BB6_4903 Depth=2
	s_mov_b32 s23, 0x7f800001
	s_xor_b32 s7, exec_lo, -1
; %bb.7400:                             ;   in Loop: Header=BB6_4903 Depth=2
	s_or_b32 exec_lo, exec_lo, s25
	s_delay_alu instid0(SALU_CYCLE_1)
	s_and_b32 s7, s7, exec_lo
	s_or_saveexec_b32 s24, s24
	v_mov_b32_e32 v147, s23
	s_xor_b32 exec_lo, exec_lo, s24
	s_cbranch_execz .LBB6_6562
.LBB6_7401:                             ;   in Loop: Header=BB6_4903 Depth=2
	v_cmp_ne_u16_e64 vcc_lo, 0, v161
	v_mov_b32_e32 v147, 0
	s_and_not1_b32 s7, s7, exec_lo
	s_delay_alu instid0(VALU_DEP_2) | instskip(NEXT) | instid1(SALU_CYCLE_1)
	s_and_b32 s23, vcc_lo, exec_lo
	s_or_b32 s7, s7, s23
	s_or_b32 exec_lo, exec_lo, s24
	s_and_saveexec_b32 s23, s7
	s_cbranch_execnz .LBB6_6563
	s_branch .LBB6_6564
.LBB6_7402:                             ;   in Loop: Header=BB6_4903 Depth=2
	s_mov_b32 s7, -1
	s_mov_b32 s25, exec_lo
                                        ; implicit-def: $sgpr23
	v_cmpx_eq_u16_e64 0x80, v135
; %bb.7403:                             ;   in Loop: Header=BB6_4903 Depth=2
	s_mov_b32 s23, 0x7f800001
	s_xor_b32 s7, exec_lo, -1
; %bb.7404:                             ;   in Loop: Header=BB6_4903 Depth=2
	s_or_b32 exec_lo, exec_lo, s25
	s_delay_alu instid0(SALU_CYCLE_1)
	s_and_b32 s7, s7, exec_lo
	s_or_saveexec_b32 s24, s24
	v_mov_b32_e32 v161, s23
	s_xor_b32 exec_lo, exec_lo, s24
	s_cbranch_execz .LBB6_6566
.LBB6_7405:                             ;   in Loop: Header=BB6_4903 Depth=2
	v_cmp_ne_u16_e64 vcc_lo, 0, v135
	v_mov_b32_e32 v161, 0
	s_and_not1_b32 s7, s7, exec_lo
	s_delay_alu instid0(VALU_DEP_2) | instskip(NEXT) | instid1(SALU_CYCLE_1)
	s_and_b32 s23, vcc_lo, exec_lo
	s_or_b32 s7, s7, s23
	s_or_b32 exec_lo, exec_lo, s24
	s_and_saveexec_b32 s23, s7
	s_cbranch_execnz .LBB6_6567
	s_branch .LBB6_6568
.LBB6_7406:                             ;   in Loop: Header=BB6_4903 Depth=2
	s_mov_b32 s7, -1
	s_mov_b32 s25, exec_lo
                                        ; implicit-def: $sgpr23
	v_cmpx_eq_u16_e64 0x80, v147
; %bb.7407:                             ;   in Loop: Header=BB6_4903 Depth=2
	s_mov_b32 s23, 0x7f800001
	s_xor_b32 s7, exec_lo, -1
; %bb.7408:                             ;   in Loop: Header=BB6_4903 Depth=2
	s_or_b32 exec_lo, exec_lo, s25
	s_delay_alu instid0(SALU_CYCLE_1)
	s_and_b32 s7, s7, exec_lo
                                        ; implicit-def: $vgpr147
	s_or_saveexec_b32 s24, s24
	v_mov_b32_e32 v135, s23
	s_xor_b32 exec_lo, exec_lo, s24
	s_cbranch_execz .LBB6_6578
.LBB6_7409:                             ;   in Loop: Header=BB6_4903 Depth=2
	v_cmp_ne_u16_e64 vcc_lo, 0, v147
	v_mov_b32_e32 v135, 0
	s_and_not1_b32 s7, s7, exec_lo
	s_delay_alu instid0(VALU_DEP_2) | instskip(NEXT) | instid1(SALU_CYCLE_1)
	s_and_b32 s23, vcc_lo, exec_lo
	s_or_b32 s7, s7, s23
	s_or_b32 exec_lo, exec_lo, s24
	s_and_saveexec_b32 s23, s7
	s_cbranch_execnz .LBB6_6579
	s_branch .LBB6_6580
.LBB6_7410:                             ;   in Loop: Header=BB6_4903 Depth=2
	s_mov_b32 s7, -1
	s_mov_b32 s25, exec_lo
                                        ; implicit-def: $sgpr23
	v_cmpx_eq_u16_e64 0x80, v147
; %bb.7411:                             ;   in Loop: Header=BB6_4903 Depth=2
	s_mov_b32 s23, 0x7f800001
	s_xor_b32 s7, exec_lo, -1
; %bb.7412:                             ;   in Loop: Header=BB6_4903 Depth=2
	s_or_b32 exec_lo, exec_lo, s25
	s_delay_alu instid0(SALU_CYCLE_1)
	s_and_b32 s7, s7, exec_lo
                                        ; implicit-def: $vgpr147
	s_or_saveexec_b32 s24, s24
	v_mov_b32_e32 v131, s23
	s_xor_b32 exec_lo, exec_lo, s24
	s_cbranch_execz .LBB6_6582
.LBB6_7413:                             ;   in Loop: Header=BB6_4903 Depth=2
	v_cmp_ne_u16_e64 vcc_lo, 0, v147
	v_mov_b32_e32 v131, 0
	s_and_not1_b32 s7, s7, exec_lo
	s_delay_alu instid0(VALU_DEP_2) | instskip(NEXT) | instid1(SALU_CYCLE_1)
	s_and_b32 s23, vcc_lo, exec_lo
	s_or_b32 s7, s7, s23
	s_or_b32 exec_lo, exec_lo, s24
	s_and_saveexec_b32 s23, s7
	s_cbranch_execnz .LBB6_6583
	s_branch .LBB6_6584
.LBB6_7414:                             ;   in Loop: Header=BB6_4903 Depth=2
	s_mov_b32 s7, -1
	s_mov_b32 s25, exec_lo
                                        ; implicit-def: $sgpr23
	v_cmpx_eq_u16_e64 0x80, v147
; %bb.7415:                             ;   in Loop: Header=BB6_4903 Depth=2
	s_mov_b32 s23, 0x7f800001
	s_xor_b32 s7, exec_lo, -1
; %bb.7416:                             ;   in Loop: Header=BB6_4903 Depth=2
	s_or_b32 exec_lo, exec_lo, s25
	s_delay_alu instid0(SALU_CYCLE_1)
	s_and_b32 s7, s7, exec_lo
                                        ; implicit-def: $vgpr147
	s_or_saveexec_b32 s24, s24
	v_mov_b32_e32 v135, s23
	s_xor_b32 exec_lo, exec_lo, s24
	s_cbranch_execz .LBB6_6594
.LBB6_7417:                             ;   in Loop: Header=BB6_4903 Depth=2
	v_cmp_ne_u16_e64 vcc_lo, 0, v147
	v_mov_b32_e32 v135, 0
	s_and_not1_b32 s7, s7, exec_lo
	s_delay_alu instid0(VALU_DEP_2) | instskip(NEXT) | instid1(SALU_CYCLE_1)
	s_and_b32 s23, vcc_lo, exec_lo
	s_or_b32 s7, s7, s23
	s_or_b32 exec_lo, exec_lo, s24
	s_and_saveexec_b32 s23, s7
	s_cbranch_execnz .LBB6_6595
	s_branch .LBB6_6596
.LBB6_7418:                             ;   in Loop: Header=BB6_4903 Depth=2
	s_mov_b32 s7, -1
	s_mov_b32 s25, exec_lo
                                        ; implicit-def: $sgpr23
	v_cmpx_eq_u16_e64 0x80, v128
; %bb.7419:                             ;   in Loop: Header=BB6_4903 Depth=2
	s_mov_b32 s23, 0x7f800001
	s_xor_b32 s7, exec_lo, -1
; %bb.7420:                             ;   in Loop: Header=BB6_4903 Depth=2
	s_or_b32 exec_lo, exec_lo, s25
	s_delay_alu instid0(SALU_CYCLE_1)
	s_and_b32 s7, s7, exec_lo
	s_or_saveexec_b32 s24, s24
	v_mov_b32_e32 v147, s23
	s_xor_b32 exec_lo, exec_lo, s24
	s_cbranch_execz .LBB6_6598
.LBB6_7421:                             ;   in Loop: Header=BB6_4903 Depth=2
	v_cmp_ne_u16_e64 vcc_lo, 0, v128
	v_mov_b32_e32 v147, 0
	s_and_not1_b32 s7, s7, exec_lo
	s_delay_alu instid0(VALU_DEP_2) | instskip(NEXT) | instid1(SALU_CYCLE_1)
	s_and_b32 s23, vcc_lo, exec_lo
	s_or_b32 s7, s7, s23
	s_or_b32 exec_lo, exec_lo, s24
	s_and_saveexec_b32 s23, s7
	s_cbranch_execnz .LBB6_6599
	s_branch .LBB6_6600
.LBB6_7422:                             ;   in Loop: Header=BB6_4903 Depth=2
	s_mov_b32 s7, -1
	s_mov_b32 s25, exec_lo
                                        ; implicit-def: $sgpr23
	v_cmpx_eq_u16_e64 0x80, v147
; %bb.7423:                             ;   in Loop: Header=BB6_4903 Depth=2
	s_mov_b32 s23, 0x7f800001
	s_xor_b32 s7, exec_lo, -1
; %bb.7424:                             ;   in Loop: Header=BB6_4903 Depth=2
	s_or_b32 exec_lo, exec_lo, s25
	s_delay_alu instid0(SALU_CYCLE_1)
	s_and_b32 s7, s7, exec_lo
                                        ; implicit-def: $vgpr147
	s_or_saveexec_b32 s24, s24
	v_mov_b32_e32 v135, s23
	s_xor_b32 exec_lo, exec_lo, s24
	s_cbranch_execz .LBB6_6610
.LBB6_7425:                             ;   in Loop: Header=BB6_4903 Depth=2
	v_cmp_ne_u16_e64 vcc_lo, 0, v147
	v_mov_b32_e32 v135, 0
	s_and_not1_b32 s7, s7, exec_lo
	s_delay_alu instid0(VALU_DEP_2) | instskip(NEXT) | instid1(SALU_CYCLE_1)
	s_and_b32 s23, vcc_lo, exec_lo
	s_or_b32 s7, s7, s23
	s_or_b32 exec_lo, exec_lo, s24
	s_and_saveexec_b32 s23, s7
	s_cbranch_execnz .LBB6_6611
	s_branch .LBB6_6612
.LBB6_7426:                             ;   in Loop: Header=BB6_4903 Depth=2
	s_mov_b32 s7, -1
	s_mov_b32 s25, exec_lo
                                        ; implicit-def: $sgpr23
	v_cmpx_eq_u16_e64 0x80, v161
; %bb.7427:                             ;   in Loop: Header=BB6_4903 Depth=2
	s_mov_b32 s23, 0x7f800001
	s_xor_b32 s7, exec_lo, -1
; %bb.7428:                             ;   in Loop: Header=BB6_4903 Depth=2
	s_or_b32 exec_lo, exec_lo, s25
	s_delay_alu instid0(SALU_CYCLE_1)
	s_and_b32 s7, s7, exec_lo
                                        ; implicit-def: $vgpr161
	s_or_saveexec_b32 s24, s24
	v_mov_b32_e32 v147, s23
	s_xor_b32 exec_lo, exec_lo, s24
	s_cbranch_execz .LBB6_6614
.LBB6_7429:                             ;   in Loop: Header=BB6_4903 Depth=2
	v_cmp_ne_u16_e64 vcc_lo, 0, v161
	v_mov_b32_e32 v147, 0
	s_and_not1_b32 s7, s7, exec_lo
	s_delay_alu instid0(VALU_DEP_2) | instskip(NEXT) | instid1(SALU_CYCLE_1)
	s_and_b32 s23, vcc_lo, exec_lo
	s_or_b32 s7, s7, s23
	s_or_b32 exec_lo, exec_lo, s24
	s_and_saveexec_b32 s23, s7
	s_cbranch_execnz .LBB6_6615
	s_branch .LBB6_6616
.LBB6_7430:                             ;   in Loop: Header=BB6_4903 Depth=2
	s_mov_b32 s7, -1
	s_mov_b32 s25, exec_lo
                                        ; implicit-def: $sgpr23
	v_cmpx_eq_u16_e64 0x80, v147
; %bb.7431:                             ;   in Loop: Header=BB6_4903 Depth=2
	s_mov_b32 s23, 0x7f800001
	s_xor_b32 s7, exec_lo, -1
; %bb.7432:                             ;   in Loop: Header=BB6_4903 Depth=2
	s_or_b32 exec_lo, exec_lo, s25
	s_delay_alu instid0(SALU_CYCLE_1)
	s_and_b32 s7, s7, exec_lo
	s_or_saveexec_b32 s24, s24
	v_mov_b32_e32 v135, s23
	s_xor_b32 exec_lo, exec_lo, s24
	s_cbranch_execz .LBB6_6626
.LBB6_7433:                             ;   in Loop: Header=BB6_4903 Depth=2
	v_cmp_ne_u16_e64 vcc_lo, 0, v147
	v_mov_b32_e32 v135, 0
	s_and_not1_b32 s7, s7, exec_lo
	s_delay_alu instid0(VALU_DEP_2) | instskip(NEXT) | instid1(SALU_CYCLE_1)
	s_and_b32 s23, vcc_lo, exec_lo
	s_or_b32 s7, s7, s23
	s_or_b32 exec_lo, exec_lo, s24
	s_and_saveexec_b32 s23, s7
	s_cbranch_execnz .LBB6_6627
	s_branch .LBB6_6628
.LBB6_7434:                             ;   in Loop: Header=BB6_4903 Depth=2
	s_mov_b32 s7, -1
	s_mov_b32 s25, exec_lo
                                        ; implicit-def: $sgpr23
	v_cmpx_eq_u16_e32 0x80, v117
; %bb.7435:                             ;   in Loop: Header=BB6_4903 Depth=2
	s_mov_b32 s23, 0x7f800001
	s_xor_b32 s7, exec_lo, -1
; %bb.7436:                             ;   in Loop: Header=BB6_4903 Depth=2
	s_or_b32 exec_lo, exec_lo, s25
	s_delay_alu instid0(SALU_CYCLE_1)
	s_and_b32 s7, s7, exec_lo
	s_or_saveexec_b32 s24, s24
	v_mov_b32_e32 v147, s23
	s_xor_b32 exec_lo, exec_lo, s24
	s_cbranch_execz .LBB6_6630
.LBB6_7437:                             ;   in Loop: Header=BB6_4903 Depth=2
	v_cmp_ne_u16_e32 vcc_lo, 0, v117
	v_mov_b32_e32 v147, 0
	s_and_not1_b32 s7, s7, exec_lo
	s_and_b32 s23, vcc_lo, exec_lo
	s_delay_alu instid0(SALU_CYCLE_1)
	s_or_b32 s7, s7, s23
	s_or_b32 exec_lo, exec_lo, s24
	s_and_saveexec_b32 s23, s7
	s_cbranch_execnz .LBB6_6631
	s_branch .LBB6_6632
.LBB6_7438:                             ;   in Loop: Header=BB6_4903 Depth=2
	s_mov_b32 s7, -1
	s_mov_b32 s25, exec_lo
                                        ; implicit-def: $sgpr23
	v_cmpx_eq_u16_e32 0x80, v117
; %bb.7439:                             ;   in Loop: Header=BB6_4903 Depth=2
	s_mov_b32 s23, 0x7f800001
	s_xor_b32 s7, exec_lo, -1
; %bb.7440:                             ;   in Loop: Header=BB6_4903 Depth=2
	s_or_b32 exec_lo, exec_lo, s25
	s_delay_alu instid0(SALU_CYCLE_1)
	s_and_b32 s7, s7, exec_lo
                                        ; implicit-def: $vgpr117
	s_or_saveexec_b32 s24, s24
	v_mov_b32_e32 v116, s23
	s_xor_b32 exec_lo, exec_lo, s24
	s_cbranch_execz .LBB6_6642
.LBB6_7441:                             ;   in Loop: Header=BB6_4903 Depth=2
	v_cmp_ne_u16_e32 vcc_lo, 0, v117
	v_mov_b32_e32 v116, 0
	s_and_not1_b32 s7, s7, exec_lo
	s_and_b32 s23, vcc_lo, exec_lo
	s_delay_alu instid0(SALU_CYCLE_1)
	s_or_b32 s7, s7, s23
	s_or_b32 exec_lo, exec_lo, s24
	s_and_saveexec_b32 s23, s7
	s_cbranch_execnz .LBB6_6643
	s_branch .LBB6_6644
.LBB6_7442:                             ;   in Loop: Header=BB6_4903 Depth=2
	s_mov_b32 s7, -1
	s_mov_b32 s25, exec_lo
                                        ; implicit-def: $sgpr23
	v_cmpx_eq_u16_e64 0x80, v135
; %bb.7443:                             ;   in Loop: Header=BB6_4903 Depth=2
	s_mov_b32 s23, 0x7f800001
	s_xor_b32 s7, exec_lo, -1
; %bb.7444:                             ;   in Loop: Header=BB6_4903 Depth=2
	s_or_b32 exec_lo, exec_lo, s25
	s_delay_alu instid0(SALU_CYCLE_1)
	s_and_b32 s7, s7, exec_lo
                                        ; implicit-def: $vgpr135
	s_or_saveexec_b32 s24, s24
	v_mov_b32_e32 v117, s23
	s_xor_b32 exec_lo, exec_lo, s24
	s_cbranch_execz .LBB6_6646
.LBB6_7445:                             ;   in Loop: Header=BB6_4903 Depth=2
	v_cmp_ne_u16_e64 vcc_lo, 0, v135
	v_mov_b32_e32 v117, 0
	s_and_not1_b32 s7, s7, exec_lo
	s_delay_alu instid0(VALU_DEP_2) | instskip(NEXT) | instid1(SALU_CYCLE_1)
	s_and_b32 s23, vcc_lo, exec_lo
	s_or_b32 s7, s7, s23
	s_or_b32 exec_lo, exec_lo, s24
	s_and_saveexec_b32 s23, s7
	s_cbranch_execnz .LBB6_6647
	s_branch .LBB6_6648
.LBB6_7446:                             ;   in Loop: Header=BB6_4903 Depth=2
	s_mov_b32 s7, -1
	s_mov_b32 s25, exec_lo
                                        ; implicit-def: $sgpr23
	v_cmpx_eq_u16_e64 0x80, v135
; %bb.7447:                             ;   in Loop: Header=BB6_4903 Depth=2
	s_mov_b32 s23, 0x7f800001
	s_xor_b32 s7, exec_lo, -1
; %bb.7448:                             ;   in Loop: Header=BB6_4903 Depth=2
	s_or_b32 exec_lo, exec_lo, s25
	s_delay_alu instid0(SALU_CYCLE_1)
	s_and_b32 s7, s7, exec_lo
	s_or_saveexec_b32 s24, s24
	v_mov_b32_e32 v117, s23
	s_xor_b32 exec_lo, exec_lo, s24
	s_cbranch_execz .LBB6_6658
.LBB6_7449:                             ;   in Loop: Header=BB6_4903 Depth=2
	v_cmp_ne_u16_e64 vcc_lo, 0, v135
	v_mov_b32_e32 v117, 0
	s_and_not1_b32 s7, s7, exec_lo
	s_delay_alu instid0(VALU_DEP_2) | instskip(NEXT) | instid1(SALU_CYCLE_1)
	s_and_b32 s23, vcc_lo, exec_lo
	s_or_b32 s7, s7, s23
	s_or_b32 exec_lo, exec_lo, s24
	s_and_saveexec_b32 s23, s7
	s_cbranch_execnz .LBB6_6659
	s_branch .LBB6_6660
.LBB6_7450:                             ;   in Loop: Header=BB6_4903 Depth=2
	s_mov_b32 s7, -1
	s_mov_b32 s25, exec_lo
                                        ; implicit-def: $sgpr23
	v_cmpx_eq_u16_e64 0x80, v135
; %bb.7451:                             ;   in Loop: Header=BB6_4903 Depth=2
	s_mov_b32 s23, 0x7f800001
	s_xor_b32 s7, exec_lo, -1
; %bb.7452:                             ;   in Loop: Header=BB6_4903 Depth=2
	s_or_b32 exec_lo, exec_lo, s25
	s_delay_alu instid0(SALU_CYCLE_1)
	s_and_b32 s7, s7, exec_lo
	s_or_saveexec_b32 s24, s24
	v_mov_b32_e32 v147, s23
	s_xor_b32 exec_lo, exec_lo, s24
	s_cbranch_execz .LBB6_6662
.LBB6_7453:                             ;   in Loop: Header=BB6_4903 Depth=2
	v_cmp_ne_u16_e64 vcc_lo, 0, v135
	v_mov_b32_e32 v147, 0
	s_and_not1_b32 s7, s7, exec_lo
	s_delay_alu instid0(VALU_DEP_2) | instskip(NEXT) | instid1(SALU_CYCLE_1)
	s_and_b32 s23, vcc_lo, exec_lo
	s_or_b32 s7, s7, s23
	s_or_b32 exec_lo, exec_lo, s24
	s_and_saveexec_b32 s23, s7
	s_cbranch_execnz .LBB6_6663
	s_branch .LBB6_6664
.LBB6_7454:                             ;   in Loop: Header=BB6_4903 Depth=2
	s_mov_b32 s7, -1
	s_mov_b32 s25, exec_lo
                                        ; implicit-def: $sgpr23
	v_cmpx_eq_u16_e64 0x80, v135
; %bb.7455:                             ;   in Loop: Header=BB6_4903 Depth=2
	s_mov_b32 s23, 0x7f800001
	s_xor_b32 s7, exec_lo, -1
; %bb.7456:                             ;   in Loop: Header=BB6_4903 Depth=2
	s_or_b32 exec_lo, exec_lo, s25
	s_delay_alu instid0(SALU_CYCLE_1)
	s_and_b32 s7, s7, exec_lo
                                        ; implicit-def: $vgpr135
	s_or_saveexec_b32 s24, s24
	v_mov_b32_e32 v114, s23
	s_xor_b32 exec_lo, exec_lo, s24
	s_cbranch_execz .LBB6_6674
.LBB6_7457:                             ;   in Loop: Header=BB6_4903 Depth=2
	v_cmp_ne_u16_e64 vcc_lo, 0, v135
	v_mov_b32_e32 v114, 0
	s_and_not1_b32 s7, s7, exec_lo
	s_delay_alu instid0(VALU_DEP_2) | instskip(NEXT) | instid1(SALU_CYCLE_1)
	s_and_b32 s23, vcc_lo, exec_lo
	s_or_b32 s7, s7, s23
	s_or_b32 exec_lo, exec_lo, s24
	v_lshl_or_b32 v118, v118, 16, v129
	s_and_saveexec_b32 s23, s7
	s_cbranch_execnz .LBB6_6675
	s_branch .LBB6_6676
.LBB6_7458:                             ;   in Loop: Header=BB6_4903 Depth=2
	s_mov_b32 s7, -1
	s_mov_b32 s25, exec_lo
                                        ; implicit-def: $sgpr23
	v_cmpx_eq_u16_e64 0x80, v147
; %bb.7459:                             ;   in Loop: Header=BB6_4903 Depth=2
	s_mov_b32 s23, 0x7f800001
	s_xor_b32 s7, exec_lo, -1
; %bb.7460:                             ;   in Loop: Header=BB6_4903 Depth=2
	s_or_b32 exec_lo, exec_lo, s25
	s_delay_alu instid0(SALU_CYCLE_1)
	s_and_b32 s7, s7, exec_lo
                                        ; implicit-def: $vgpr147
	s_or_saveexec_b32 s24, s24
	v_mov_b32_e32 v135, s23
	s_xor_b32 exec_lo, exec_lo, s24
	s_cbranch_execz .LBB6_6678
.LBB6_7461:                             ;   in Loop: Header=BB6_4903 Depth=2
	v_cmp_ne_u16_e64 vcc_lo, 0, v147
	v_mov_b32_e32 v135, 0
	s_and_not1_b32 s7, s7, exec_lo
	s_delay_alu instid0(VALU_DEP_2) | instskip(NEXT) | instid1(SALU_CYCLE_1)
	s_and_b32 s23, vcc_lo, exec_lo
	s_or_b32 s7, s7, s23
	s_or_b32 exec_lo, exec_lo, s24
	s_and_saveexec_b32 s23, s7
	s_cbranch_execnz .LBB6_6679
	s_branch .LBB6_6680
.LBB6_7462:                             ;   in Loop: Header=BB6_4903 Depth=2
	s_mov_b32 s7, -1
	s_mov_b32 s25, exec_lo
                                        ; implicit-def: $sgpr23
	v_cmpx_eq_u16_e64 0x80, v135
; %bb.7463:                             ;   in Loop: Header=BB6_4903 Depth=2
	s_mov_b32 s23, 0x7f800001
	s_xor_b32 s7, exec_lo, -1
; %bb.7464:                             ;   in Loop: Header=BB6_4903 Depth=2
	s_or_b32 exec_lo, exec_lo, s25
	s_delay_alu instid0(SALU_CYCLE_1)
	s_and_b32 s7, s7, exec_lo
	s_or_saveexec_b32 s24, s24
	v_mov_b32_e32 v129, s23
	s_xor_b32 exec_lo, exec_lo, s24
	s_cbranch_execz .LBB6_6690
.LBB6_7465:                             ;   in Loop: Header=BB6_4903 Depth=2
	v_cmp_ne_u16_e64 vcc_lo, 0, v135
	v_mov_b32_e32 v129, 0
	s_and_not1_b32 s7, s7, exec_lo
	s_delay_alu instid0(VALU_DEP_2) | instskip(NEXT) | instid1(SALU_CYCLE_1)
	s_and_b32 s23, vcc_lo, exec_lo
	s_or_b32 s7, s7, s23
	s_or_b32 exec_lo, exec_lo, s24
	s_and_saveexec_b32 s23, s7
	s_cbranch_execnz .LBB6_6691
	s_branch .LBB6_6692
.LBB6_7466:                             ;   in Loop: Header=BB6_4903 Depth=2
	s_mov_b32 s7, -1
	s_mov_b32 s25, exec_lo
                                        ; implicit-def: $sgpr23
	v_cmpx_eq_u16_e32 0x80, v118
; %bb.7467:                             ;   in Loop: Header=BB6_4903 Depth=2
	s_mov_b32 s23, 0x7f800001
	s_xor_b32 s7, exec_lo, -1
; %bb.7468:                             ;   in Loop: Header=BB6_4903 Depth=2
	s_or_b32 exec_lo, exec_lo, s25
	s_delay_alu instid0(SALU_CYCLE_1)
	s_and_b32 s7, s7, exec_lo
	s_or_saveexec_b32 s24, s24
	v_mov_b32_e32 v135, s23
	s_xor_b32 exec_lo, exec_lo, s24
	s_cbranch_execz .LBB6_6694
.LBB6_7469:                             ;   in Loop: Header=BB6_4903 Depth=2
	v_cmp_ne_u16_e32 vcc_lo, 0, v118
	v_mov_b32_e32 v135, 0
	s_and_not1_b32 s7, s7, exec_lo
	s_and_b32 s23, vcc_lo, exec_lo
	s_delay_alu instid0(SALU_CYCLE_1)
	s_or_b32 s7, s7, s23
	s_or_b32 exec_lo, exec_lo, s24
	s_and_saveexec_b32 s23, s7
	s_cbranch_execnz .LBB6_6695
	s_branch .LBB6_6696
.LBB6_7470:                             ;   in Loop: Header=BB6_4817 Depth=1
	s_or_b32 exec_lo, exec_lo, s21
.LBB6_7471:                             ;   in Loop: Header=BB6_4817 Depth=1
	s_delay_alu instid0(SALU_CYCLE_1) | instskip(SKIP_3) | instid1(VALU_DEP_1)
	s_or_b32 exec_lo, exec_lo, s10
	v_dual_mov_b32 v18, 0 :: v_dual_and_b32 v11, 0x3ffff800, v50
	s_mov_b32 s7, 0
	s_mov_b32 s21, exec_lo
                                        ; implicit-def: $vgpr19
                                        ; implicit-def: $vgpr20
                                        ; implicit-def: $vgpr10
	v_cmpx_ne_u32_e64 v11, v50
	s_cbranch_execz .LBB6_8129
; %bb.7472:                             ;   in Loop: Header=BB6_4817 Depth=1
	v_lshlrev_b32_e32 v10, 5, v103
	v_bfe_u32 v15, v50, 9, 2
	s_mov_b32 s22, exec_lo
	s_delay_alu instid0(VALU_DEP_2) | instskip(NEXT) | instid1(VALU_DEP_1)
	v_sub_nc_u32_e32 v10, v83, v10
	v_ashrrev_i32_e32 v12, 31, v10
	s_delay_alu instid0(VALU_DEP_1) | instskip(NEXT) | instid1(VALU_DEP_1)
	v_lshrrev_b32_e32 v12, 27, v12
	v_add_nc_u32_e32 v12, v10, v12
	s_delay_alu instid0(VALU_DEP_1) | instskip(SKIP_1) | instid1(VALU_DEP_2)
	v_and_b32_e32 v13, 0xffffffe0, v12
	v_ashrrev_i32_e32 v12, 5, v12
	v_sub_nc_u32_e32 v21, v10, v13
	v_and_b32_e32 v13, 0x7ff, v50
	v_and_b32_e32 v10, 0x600, v50
	s_delay_alu instid0(VALU_DEP_3) | instskip(NEXT) | instid1(VALU_DEP_2)
	v_lshlrev_b32_e32 v14, 4, v21
	v_sub_nc_u32_e32 v22, v13, v10
	s_delay_alu instid0(VALU_DEP_2) | instskip(NEXT) | instid1(VALU_DEP_2)
	v_lshl_add_u32 v10, v12, 9, v14
	v_cmp_lt_i32_e64 s7, 15, v22
	s_delay_alu instid0(VALU_DEP_2) | instskip(NEXT) | instid1(VALU_DEP_2)
	v_sub_nc_u32_e32 v20, v13, v10
	v_add_co_ci_u32_e64 v14, vcc_lo, 0, v15, s7
	s_delay_alu instid0(VALU_DEP_1) | instskip(NEXT) | instid1(VALU_DEP_3)
	v_sub_nc_u32_e32 v23, v14, v12
	v_cmpx_lt_i32_e32 15, v20
	s_cbranch_execz .LBB6_8126
; %bb.7473:                             ;   in Loop: Header=BB6_4817 Depth=1
	s_cbranch_execz .LBB6_7474
; %bb.13101:
	s_getpc_b64 s[34:35]
.Lpost_getpc200:
	s_add_u32 s34, s34, (.LBB6_12889-.Lpost_getpc200)&4294967295
	s_addc_u32 s35, s35, (.LBB6_12889-.Lpost_getpc200)>>32
	s_setpc_b64 s[34:35]
.LBB6_7474:                             ;   in Loop: Header=BB6_4817 Depth=1
	ds_load_b64 v[12:13], v0
	ds_load_b128 v[14:17], v0
	v_add_nc_u32_e32 v10, v10, v11
	s_delay_alu instid0(VALU_DEP_1)
	v_ashrrev_i32_e32 v11, 31, v10
	s_waitcnt lgkmcnt(1)
	v_readfirstlane_b32 s10, v12
	s_waitcnt lgkmcnt(0)
	v_add_co_u32 v14, vcc_lo, v14, v10
	v_add_co_ci_u32_e32 v15, vcc_lo, v15, v11, vcc_lo
	s_delay_alu instid0(VALU_DEP_3)
	s_and_b32 s23, s10, 7
	s_bfe_u32 s26, s10, 0x40003
	s_clz_i32_u32 s24, s23
	v_add_co_u32 v16, vcc_lo, v16, v10
	s_min_u32 s24, s24, 32
	v_add_co_ci_u32_e32 v17, vcc_lo, v17, v11, vcc_lo
	s_sub_i32 s25, s24, 28
	s_sub_i32 s24, 29, s24
	s_lshl_b32 s25, s10, s25
	v_add_co_u32 v18, vcc_lo, v12, v10
	s_and_b32 s25, s25, 7
	s_cmp_eq_u32 s26, 0
	v_add_co_ci_u32_e32 v19, vcc_lo, v13, v11, vcc_lo
	s_cselect_b32 s24, s24, s26
	s_cselect_b32 s23, s25, s23
	s_lshl_b32 s10, s10, 24
	s_lshl_b32 s25, s23, 20
	;; [unrolled: 1-line block ×3, first 2 shown]
	s_and_b32 s10, s10, 0x80000000
	s_add_i32 s23, s23, 0x3b800000
	v_and_b32_e32 v24, 0xff, v12
	s_or_b32 s10, s10, s23
	s_mov_b32 s23, 0
	s_or_b32 s24, s10, s25
	s_branch .LBB6_7478
.LBB6_7475:                             ;   in Loop: Header=BB6_7478 Depth=2
	s_or_b32 exec_lo, exec_lo, s10
	s_delay_alu instid0(VALU_DEP_1) | instskip(NEXT) | instid1(VALU_DEP_2)
	v_lshrrev_b32_e32 v68, 20, v68
	v_cmp_gt_i32_e32 vcc_lo, 16, v66
	v_min_i32_e32 v118, 15, v66
	v_lshrrev_b32_e32 v13, 24, v13
	s_delay_alu instid0(VALU_DEP_4) | instskip(NEXT) | instid1(VALU_DEP_3)
	v_cndmask_b32_e32 v68, 7, v68, vcc_lo
	v_lshlrev_b32_e32 v118, 3, v118
	s_delay_alu instid0(VALU_DEP_3) | instskip(NEXT) | instid1(VALU_DEP_3)
	v_and_b32_e32 v13, 0x80, v13
	v_or_b32_e32 v66, v66, v68
	s_delay_alu instid0(VALU_DEP_3) | instskip(NEXT) | instid1(VALU_DEP_2)
	v_and_b32_e32 v118, 0xf8, v118
	v_cmp_ne_u32_e32 vcc_lo, 0, v66
	v_and_b32_e32 v119, 7, v68
	s_delay_alu instid0(VALU_DEP_1) | instskip(NEXT) | instid1(VALU_DEP_1)
	v_or3_b32 v13, v13, v118, v119
	v_lshlrev_b32_e32 v13, 8, v13
	s_delay_alu instid0(VALU_DEP_1)
	v_cndmask_b32_e32 v66, 0, v13, vcc_lo
.LBB6_7476:                             ;   in Loop: Header=BB6_7478 Depth=2
	s_or_b32 exec_lo, exec_lo, s26
.LBB6_7477:                             ;   in Loop: Header=BB6_7478 Depth=2
	s_delay_alu instid0(SALU_CYCLE_1)
	s_or_b32 exec_lo, exec_lo, s25
	v_or_b32_e32 v11, v11, v115
	v_and_b32_e32 v13, 0xff, v114
	v_lshlrev_b32_e32 v67, 8, v67
	v_and_b32_e32 v69, 0xff, v69
	v_lshlrev_b32_e32 v103, 8, v103
	v_or_b32_e32 v64, v66, v64
	v_and_b32_e32 v68, 0xff, v116
	v_lshlrev_b32_e32 v10, 24, v10
	v_lshlrev_b32_e32 v11, 16, v11
	;; [unrolled: 1-line block ×3, first 2 shown]
	v_perm_b32 v25, v67, v25, 0xc0c0500
	v_lshlrev_b32_e32 v12, 24, v12
	v_lshlrev_b32_e32 v66, 16, v69
	v_perm_b32 v67, v103, v113, 0xc0c0500
	v_and_b32_e32 v65, 0xff, v65
	v_lshlrev_b32_e32 v64, 16, v64
	v_add_co_u32 v14, vcc_lo, v14, v96
	v_or3_b32 v11, v117, v68, v11
	v_or3_b32 v10, v10, v13, v25
	v_or3_b32 v12, v12, v66, v67
	v_or3_b32 v13, v112, v65, v64
	v_sub_nc_u32_e32 v20, v20, v82
	v_add_co_ci_u32_e32 v15, vcc_lo, v15, v97, vcc_lo
	v_add_co_u32 v16, vcc_lo, v16, v96
	v_add_co_ci_u32_e32 v17, vcc_lo, v17, v97, vcc_lo
	global_store_b128 v[18:19], v[10:13], off glc slc dlc
	v_cmp_gt_i32_e32 vcc_lo, 16, v20
	v_add_co_u32 v18, s10, v18, v96
	s_delay_alu instid0(VALU_DEP_1) | instskip(SKIP_2) | instid1(SALU_CYCLE_1)
	v_add_co_ci_u32_e64 v19, s10, v19, v97, s10
	v_sub_nc_u32_e32 v23, v23, v70
	s_or_b32 s23, vcc_lo, s23
	s_and_not1_b32 exec_lo, exec_lo, s23
	s_cbranch_execz .LBB6_8125
.LBB6_7478:                             ;   Parent Loop BB6_4817 Depth=1
                                        ; =>  This Inner Loop Header: Depth=2
	v_cmp_gt_i16_e32 vcc_lo, 0x80, v24
	s_cbranch_vccnz .LBB6_7482
; %bb.7479:                             ;   in Loop: Header=BB6_7478 Depth=2
	v_cmp_eq_u16_e32 vcc_lo, 0x80, v24
	s_mov_b32 s10, -1
                                        ; implicit-def: $sgpr25
	s_cbranch_vccz .LBB6_7481
; %bb.7480:                             ;   in Loop: Header=BB6_7478 Depth=2
	s_mov_b32 s10, 0
	s_mov_b32 s25, 0x7f800001
.LBB6_7481:                             ;   in Loop: Header=BB6_7478 Depth=2
	s_mov_b32 s26, 0
	s_branch .LBB6_7483
.LBB6_7482:                             ;   in Loop: Header=BB6_7478 Depth=2
	s_mov_b32 s26, -1
	s_mov_b32 s10, 0
                                        ; implicit-def: $sgpr25
.LBB6_7483:                             ;   in Loop: Header=BB6_7478 Depth=2
	s_and_b32 vcc_lo, exec_lo, s26
	s_cbranch_vccz .LBB6_7485
; %bb.7484:                             ;   in Loop: Header=BB6_7478 Depth=2
	v_cmp_ne_u16_e64 s10, 0, v24
	s_mov_b32 s25, 0
.LBB6_7485:                             ;   in Loop: Header=BB6_7478 Depth=2
	s_delay_alu instid0(VALU_DEP_1)
	s_and_not1_b32 vcc_lo, exec_lo, s10
	s_cbranch_vccnz .LBB6_7487
; %bb.7486:                             ;   in Loop: Header=BB6_7478 Depth=2
	s_mov_b32 s25, s24
.LBB6_7487:                             ;   in Loop: Header=BB6_7478 Depth=2
	global_load_b128 v[10:13], v[14:15], off slc dlc
	s_mov_b32 s10, 0
	s_mov_b32 s27, exec_lo
                                        ; implicit-def: $sgpr26
	s_waitcnt vmcnt(0)
	v_and_b32_e32 v64, 0xff, v10
	s_delay_alu instid0(VALU_DEP_1)
	v_cmpx_lt_i16_e32 0x7f, v64
	s_xor_b32 s27, exec_lo, s27
	s_cbranch_execnz .LBB6_7933
; %bb.7488:                             ;   in Loop: Header=BB6_7478 Depth=2
	s_or_saveexec_b32 s27, s27
	v_mov_b32_e32 v25, s26
	s_xor_b32 exec_lo, exec_lo, s27
	s_cbranch_execnz .LBB6_7936
.LBB6_7489:                             ;   in Loop: Header=BB6_7478 Depth=2
	s_or_b32 exec_lo, exec_lo, s27
	s_and_saveexec_b32 s26, s10
	s_cbranch_execz .LBB6_7491
.LBB6_7490:                             ;   in Loop: Header=BB6_7478 Depth=2
	v_bfe_u32 v66, v10, 3, 4
	v_lshlrev_b32_e32 v67, 24, v10
	s_delay_alu instid0(VALU_DEP_2) | instskip(SKIP_1) | instid1(VALU_DEP_1)
	v_cmp_eq_u32_e32 vcc_lo, 0, v66
	v_and_b32_e32 v25, 7, v10
	v_clz_i32_u32_e32 v64, v25
	s_delay_alu instid0(VALU_DEP_1) | instskip(NEXT) | instid1(VALU_DEP_1)
	v_min_u32_e32 v64, 32, v64
	v_subrev_nc_u32_e32 v65, 28, v64
	v_sub_nc_u32_e32 v64, 29, v64
	s_delay_alu instid0(VALU_DEP_1) | instskip(NEXT) | instid1(VALU_DEP_1)
	v_dual_cndmask_b32 v64, v66, v64 :: v_dual_lshlrev_b32 v65, v65, v10
	v_and_b32_e32 v65, 7, v65
	s_delay_alu instid0(VALU_DEP_2) | instskip(NEXT) | instid1(VALU_DEP_2)
	v_lshl_add_u32 v64, v64, 23, 0x3b800000
	v_cndmask_b32_e32 v25, v25, v65, vcc_lo
	v_and_b32_e32 v65, 0x80000000, v67
	s_delay_alu instid0(VALU_DEP_2) | instskip(NEXT) | instid1(VALU_DEP_1)
	v_lshlrev_b32_e32 v25, 20, v25
	v_or3_b32 v25, v65, v64, v25
.LBB6_7491:                             ;   in Loop: Header=BB6_7478 Depth=2
	s_or_b32 exec_lo, exec_lo, s26
	s_delay_alu instid0(VALU_DEP_1) | instskip(NEXT) | instid1(VALU_DEP_1)
	v_mul_f32_e32 v64, s25, v25
	v_and_b32_e32 v25, 0x7f800000, v64
	s_delay_alu instid0(VALU_DEP_1)
	v_cmp_ne_u32_e32 vcc_lo, 0x7f800000, v25
	v_mov_b32_e32 v25, 0x80
	s_and_saveexec_b32 s26, vcc_lo
	s_cbranch_execz .LBB6_7499
; %bb.7492:                             ;   in Loop: Header=BB6_7478 Depth=2
	v_mov_b32_e32 v25, 0
	s_mov_b32 s27, exec_lo
	v_cmpx_ne_u32_e32 0, v64
	s_cbranch_execz .LBB6_7498
; %bb.7493:                             ;   in Loop: Header=BB6_7478 Depth=2
	v_bfe_u32 v25, v64, 23, 8
	s_delay_alu instid0(VALU_DEP_1) | instskip(SKIP_1) | instid1(VALU_DEP_2)
	v_sub_nc_u32_e32 v66, 0x78, v25
	v_cmp_gt_u32_e32 vcc_lo, 0x79, v25
	v_dual_cndmask_b32 v66, 0, v66 :: v_dual_and_b32 v65, 0x7fffff, v64
	s_delay_alu instid0(VALU_DEP_1) | instskip(SKIP_2) | instid1(VALU_DEP_4)
	v_or_b32_e32 v67, 0x800000, v65
	v_cmp_eq_u32_e32 vcc_lo, 0, v25
	v_add_nc_u32_e32 v25, 0xffffff89, v25
	v_cndmask_b32_e64 v66, v66, 0x77, vcc_lo
	s_delay_alu instid0(VALU_DEP_4) | instskip(NEXT) | instid1(VALU_DEP_3)
	v_cndmask_b32_e32 v65, v67, v65, vcc_lo
	v_cndmask_b32_e64 v25, v25, 0xffffff8a, vcc_lo
	s_delay_alu instid0(VALU_DEP_3) | instskip(NEXT) | instid1(VALU_DEP_3)
	v_lshl_add_u32 v67, 0x100000, v66, -1
	v_lshrrev_b32_e32 v68, v66, v65
	v_lshlrev_b32_e64 v103, v66, 0x80000
	s_delay_alu instid0(VALU_DEP_4) | instskip(NEXT) | instid1(VALU_DEP_4)
	v_add_nc_u32_e32 v66, v66, v25
	v_and_b32_e32 v65, v67, v65
	s_delay_alu instid0(VALU_DEP_4) | instskip(NEXT) | instid1(VALU_DEP_2)
	v_bfe_u32 v69, v68, 20, 1
	v_cmp_eq_u32_e64 s10, v65, v103
	s_delay_alu instid0(VALU_DEP_2) | instskip(NEXT) | instid1(VALU_DEP_1)
	v_add_nc_u32_e32 v67, -1, v69
	v_cndmask_b32_e64 v65, 0, v67, s10
	v_lshrrev_b32_e32 v67, 23, v68
	s_mov_b32 s10, exec_lo
	s_delay_alu instid0(VALU_DEP_2) | instskip(NEXT) | instid1(VALU_DEP_2)
	v_add_nc_u32_e32 v65, v65, v68
	v_xor_b32_e32 v67, 1, v67
	s_delay_alu instid0(VALU_DEP_2) | instskip(NEXT) | instid1(VALU_DEP_1)
	v_and_b32_e32 v25, 0xfffff, v65
	v_add_nc_u32_e32 v65, v25, v68
                                        ; implicit-def: $vgpr25
	s_delay_alu instid0(VALU_DEP_3)
	v_cmpx_ne_u32_e64 v66, v67
	s_xor_b32 s10, exec_lo, s10
; %bb.7494:                             ;   in Loop: Header=BB6_7478 Depth=2
	s_delay_alu instid0(VALU_DEP_2) | instskip(SKIP_2) | instid1(VALU_DEP_2)
	v_cmp_lt_u32_e32 vcc_lo, 0xffffff, v65
	v_sub_nc_u32_e32 v25, v66, v67
	v_cndmask_b32_e64 v66, 0, 1, vcc_lo
	v_add_co_ci_u32_e32 v25, vcc_lo, 0, v25, vcc_lo
	s_delay_alu instid0(VALU_DEP_2)
	v_lshrrev_b32_e32 v65, v66, v65
; %bb.7495:                             ;   in Loop: Header=BB6_7478 Depth=2
	s_and_not1_saveexec_b32 s10, s10
; %bb.7496:                             ;   in Loop: Header=BB6_7478 Depth=2
	s_delay_alu instid0(VALU_DEP_1)
	v_bfe_u32 v25, v65, 23, 1
; %bb.7497:                             ;   in Loop: Header=BB6_7478 Depth=2
	s_or_b32 exec_lo, exec_lo, s10
	v_lshrrev_b32_e32 v65, 20, v65
	s_delay_alu instid0(VALU_DEP_2) | instskip(SKIP_2) | instid1(VALU_DEP_2)
	v_cmp_gt_i32_e32 vcc_lo, 16, v25
	v_lshrrev_b32_e32 v64, 24, v64
	v_min_i32_e32 v66, 15, v25
	v_dual_cndmask_b32 v65, 7, v65 :: v_dual_and_b32 v64, 0x80, v64
	s_delay_alu instid0(VALU_DEP_1) | instskip(SKIP_1) | instid1(VALU_DEP_2)
	v_or_b32_e32 v25, v25, v65
	v_and_b32_e32 v67, 7, v65
	v_cmp_ne_u32_e32 vcc_lo, 0, v25
	v_lshlrev_b32_e32 v66, 3, v66
	s_delay_alu instid0(VALU_DEP_1) | instskip(NEXT) | instid1(VALU_DEP_1)
	v_or3_b32 v64, v66, v64, v67
	v_cndmask_b32_e32 v25, 0, v64, vcc_lo
.LBB6_7498:                             ;   in Loop: Header=BB6_7478 Depth=2
	s_or_b32 exec_lo, exec_lo, s27
.LBB6_7499:                             ;   in Loop: Header=BB6_7478 Depth=2
	s_delay_alu instid0(SALU_CYCLE_1) | instskip(SKIP_3) | instid1(VALU_DEP_1)
	s_or_b32 exec_lo, exec_lo, s26
	v_lshrrev_b16 v64, 8, v10
	s_mov_b32 s10, 0
	s_mov_b32 s27, exec_lo
                                        ; implicit-def: $sgpr26
	v_cmpx_lt_i16_e32 0x7f, v64
	s_xor_b32 s27, exec_lo, s27
	s_cbranch_execnz .LBB6_7937
; %bb.7500:                             ;   in Loop: Header=BB6_7478 Depth=2
	s_or_saveexec_b32 s27, s27
	v_mov_b32_e32 v65, s26
	s_xor_b32 exec_lo, exec_lo, s27
	s_cbranch_execnz .LBB6_7940
.LBB6_7501:                             ;   in Loop: Header=BB6_7478 Depth=2
	s_or_b32 exec_lo, exec_lo, s27
	s_and_saveexec_b32 s26, s10
	s_cbranch_execz .LBB6_7503
.LBB6_7502:                             ;   in Loop: Header=BB6_7478 Depth=2
	v_and_b32_e32 v65, 0xffff, v64
	v_lshlrev_b32_e32 v64, 24, v64
	s_delay_alu instid0(VALU_DEP_2) | instskip(NEXT) | instid1(VALU_DEP_2)
	v_and_b32_e32 v66, 7, v65
	v_and_b32_e32 v64, 0x80000000, v64
	s_delay_alu instid0(VALU_DEP_2) | instskip(NEXT) | instid1(VALU_DEP_1)
	v_clz_i32_u32_e32 v67, v66
	v_min_u32_e32 v67, 32, v67
	s_delay_alu instid0(VALU_DEP_1) | instskip(SKIP_1) | instid1(VALU_DEP_2)
	v_subrev_nc_u32_e32 v68, 28, v67
	v_sub_nc_u32_e32 v67, 29, v67
	v_lshlrev_b32_e32 v68, v68, v65
	v_bfe_u32 v65, v65, 3, 4
	s_delay_alu instid0(VALU_DEP_2) | instskip(NEXT) | instid1(VALU_DEP_2)
	v_and_b32_e32 v68, 7, v68
	v_cmp_eq_u32_e32 vcc_lo, 0, v65
	s_delay_alu instid0(VALU_DEP_2) | instskip(NEXT) | instid1(VALU_DEP_1)
	v_dual_cndmask_b32 v65, v65, v67 :: v_dual_cndmask_b32 v66, v66, v68
	v_lshl_add_u32 v65, v65, 23, 0x3b800000
	s_delay_alu instid0(VALU_DEP_2) | instskip(NEXT) | instid1(VALU_DEP_1)
	v_lshlrev_b32_e32 v66, 20, v66
	v_or3_b32 v65, v64, v65, v66
.LBB6_7503:                             ;   in Loop: Header=BB6_7478 Depth=2
	s_or_b32 exec_lo, exec_lo, s26
	s_delay_alu instid0(VALU_DEP_1) | instskip(SKIP_1) | instid1(VALU_DEP_1)
	v_dual_mul_f32 v64, s25, v65 :: v_dual_mov_b32 v67, 0x80
	s_mov_b32 s26, exec_lo
	v_and_b32_e32 v65, 0x7f800000, v64
	s_delay_alu instid0(VALU_DEP_1)
	v_cmpx_ne_u32_e32 0x7f800000, v65
	s_cbranch_execz .LBB6_7511
; %bb.7504:                             ;   in Loop: Header=BB6_7478 Depth=2
	v_mov_b32_e32 v67, 0
	s_mov_b32 s27, exec_lo
	v_cmpx_ne_u32_e32 0, v64
	s_cbranch_execz .LBB6_7510
; %bb.7505:                             ;   in Loop: Header=BB6_7478 Depth=2
	v_bfe_u32 v65, v64, 23, 8
	s_delay_alu instid0(VALU_DEP_1) | instskip(SKIP_1) | instid1(VALU_DEP_2)
	v_sub_nc_u32_e32 v67, 0x78, v65
	v_cmp_gt_u32_e32 vcc_lo, 0x79, v65
	v_dual_cndmask_b32 v67, 0, v67 :: v_dual_and_b32 v66, 0x7fffff, v64
	s_delay_alu instid0(VALU_DEP_1) | instskip(SKIP_2) | instid1(VALU_DEP_4)
	v_or_b32_e32 v68, 0x800000, v66
	v_cmp_eq_u32_e32 vcc_lo, 0, v65
	v_add_nc_u32_e32 v65, 0xffffff89, v65
	v_cndmask_b32_e64 v67, v67, 0x77, vcc_lo
	s_delay_alu instid0(VALU_DEP_4) | instskip(NEXT) | instid1(VALU_DEP_3)
	v_cndmask_b32_e32 v66, v68, v66, vcc_lo
	v_cndmask_b32_e64 v65, v65, 0xffffff8a, vcc_lo
	s_delay_alu instid0(VALU_DEP_3) | instskip(NEXT) | instid1(VALU_DEP_3)
	v_lshl_add_u32 v68, 0x100000, v67, -1
	v_lshrrev_b32_e32 v69, v67, v66
	v_lshlrev_b32_e64 v112, v67, 0x80000
	s_delay_alu instid0(VALU_DEP_4) | instskip(NEXT) | instid1(VALU_DEP_4)
	v_add_nc_u32_e32 v67, v67, v65
	v_and_b32_e32 v66, v68, v66
	s_delay_alu instid0(VALU_DEP_4) | instskip(NEXT) | instid1(VALU_DEP_2)
	v_bfe_u32 v103, v69, 20, 1
	v_cmp_eq_u32_e64 s10, v66, v112
	s_delay_alu instid0(VALU_DEP_2) | instskip(NEXT) | instid1(VALU_DEP_1)
	v_add_nc_u32_e32 v68, -1, v103
	v_cndmask_b32_e64 v66, 0, v68, s10
	v_lshrrev_b32_e32 v68, 23, v69
	s_mov_b32 s10, exec_lo
	s_delay_alu instid0(VALU_DEP_2) | instskip(NEXT) | instid1(VALU_DEP_2)
	v_add_nc_u32_e32 v66, v66, v69
	v_xor_b32_e32 v68, 1, v68
	s_delay_alu instid0(VALU_DEP_2) | instskip(NEXT) | instid1(VALU_DEP_1)
	v_and_b32_e32 v65, 0xfffff, v66
	v_add_nc_u32_e32 v66, v65, v69
                                        ; implicit-def: $vgpr65
	s_delay_alu instid0(VALU_DEP_3)
	v_cmpx_ne_u32_e64 v67, v68
	s_xor_b32 s10, exec_lo, s10
; %bb.7506:                             ;   in Loop: Header=BB6_7478 Depth=2
	s_delay_alu instid0(VALU_DEP_2) | instskip(SKIP_2) | instid1(VALU_DEP_2)
	v_cmp_lt_u32_e32 vcc_lo, 0xffffff, v66
	v_sub_nc_u32_e32 v65, v67, v68
	v_cndmask_b32_e64 v67, 0, 1, vcc_lo
	v_add_co_ci_u32_e32 v65, vcc_lo, 0, v65, vcc_lo
	s_delay_alu instid0(VALU_DEP_2)
	v_lshrrev_b32_e32 v66, v67, v66
; %bb.7507:                             ;   in Loop: Header=BB6_7478 Depth=2
	s_and_not1_saveexec_b32 s10, s10
; %bb.7508:                             ;   in Loop: Header=BB6_7478 Depth=2
	s_delay_alu instid0(VALU_DEP_1)
	v_bfe_u32 v65, v66, 23, 1
; %bb.7509:                             ;   in Loop: Header=BB6_7478 Depth=2
	s_or_b32 exec_lo, exec_lo, s10
	v_lshrrev_b32_e32 v66, 20, v66
	s_delay_alu instid0(VALU_DEP_2) | instskip(SKIP_2) | instid1(VALU_DEP_2)
	v_cmp_gt_i32_e32 vcc_lo, 16, v65
	v_min_i32_e32 v67, 15, v65
	v_lshrrev_b32_e32 v64, 24, v64
	v_dual_cndmask_b32 v66, 7, v66 :: v_dual_lshlrev_b32 v67, 3, v67
	s_delay_alu instid0(VALU_DEP_2) | instskip(NEXT) | instid1(VALU_DEP_2)
	v_and_b32_e32 v64, 0x80, v64
	v_or_b32_e32 v65, v65, v66
	s_delay_alu instid0(VALU_DEP_1) | instskip(SKIP_1) | instid1(VALU_DEP_1)
	v_cmp_ne_u32_e32 vcc_lo, 0, v65
	v_and_b32_e32 v68, 7, v66
	v_or3_b32 v64, v67, v64, v68
	s_delay_alu instid0(VALU_DEP_1)
	v_cndmask_b32_e32 v67, 0, v64, vcc_lo
.LBB6_7510:                             ;   in Loop: Header=BB6_7478 Depth=2
	s_or_b32 exec_lo, exec_lo, s27
.LBB6_7511:                             ;   in Loop: Header=BB6_7478 Depth=2
	s_delay_alu instid0(SALU_CYCLE_1) | instskip(SKIP_3) | instid1(VALU_DEP_1)
	s_or_b32 exec_lo, exec_lo, s26
	v_lshrrev_b32_e32 v64, 16, v10
	s_mov_b32 s10, 0
	s_mov_b32 s27, exec_lo
                                        ; implicit-def: $sgpr26
	v_and_b32_e32 v66, 0xff, v64
	s_delay_alu instid0(VALU_DEP_1)
	v_cmpx_lt_i16_e32 0x7f, v66
	s_xor_b32 s27, exec_lo, s27
	s_cbranch_execnz .LBB6_7941
; %bb.7512:                             ;   in Loop: Header=BB6_7478 Depth=2
	s_or_saveexec_b32 s27, s27
	v_mov_b32_e32 v65, s26
	s_xor_b32 exec_lo, exec_lo, s27
	s_cbranch_execnz .LBB6_7944
.LBB6_7513:                             ;   in Loop: Header=BB6_7478 Depth=2
	s_or_b32 exec_lo, exec_lo, s27
	s_and_saveexec_b32 s26, s10
	s_cbranch_execz .LBB6_7515
.LBB6_7514:                             ;   in Loop: Header=BB6_7478 Depth=2
	v_bfe_u32 v65, v10, 16, 3
	s_delay_alu instid0(VALU_DEP_1) | instskip(NEXT) | instid1(VALU_DEP_1)
	v_clz_i32_u32_e32 v66, v65
	v_min_u32_e32 v66, 32, v66
	s_delay_alu instid0(VALU_DEP_1) | instskip(SKIP_1) | instid1(VALU_DEP_2)
	v_subrev_nc_u32_e32 v68, 28, v66
	v_sub_nc_u32_e32 v66, 29, v66
	v_lshlrev_b32_e32 v64, v68, v64
	v_bfe_u32 v68, v10, 19, 4
	s_delay_alu instid0(VALU_DEP_2) | instskip(NEXT) | instid1(VALU_DEP_2)
	v_and_b32_e32 v64, 7, v64
	v_cmp_eq_u32_e32 vcc_lo, 0, v68
	s_delay_alu instid0(VALU_DEP_2) | instskip(NEXT) | instid1(VALU_DEP_1)
	v_dual_cndmask_b32 v64, v65, v64 :: v_dual_lshlrev_b32 v69, 8, v10
	v_dual_cndmask_b32 v66, v68, v66 :: v_dual_and_b32 v65, 0x80000000, v69
	s_delay_alu instid0(VALU_DEP_2) | instskip(NEXT) | instid1(VALU_DEP_2)
	v_lshlrev_b32_e32 v64, 20, v64
	v_lshl_add_u32 v66, v66, 23, 0x3b800000
	s_delay_alu instid0(VALU_DEP_1)
	v_or3_b32 v65, v65, v66, v64
.LBB6_7515:                             ;   in Loop: Header=BB6_7478 Depth=2
	s_or_b32 exec_lo, exec_lo, s26
	s_delay_alu instid0(VALU_DEP_1) | instskip(SKIP_2) | instid1(VALU_DEP_2)
	v_mul_f32_e32 v64, s25, v65
	v_mov_b32_e32 v114, 0x80
	s_mov_b32 s26, exec_lo
	v_and_b32_e32 v65, 0x7f800000, v64
	s_delay_alu instid0(VALU_DEP_1)
	v_cmpx_ne_u32_e32 0x7f800000, v65
	s_cbranch_execz .LBB6_7523
; %bb.7516:                             ;   in Loop: Header=BB6_7478 Depth=2
	v_mov_b32_e32 v114, 0
	s_mov_b32 s27, exec_lo
	v_cmpx_ne_u32_e32 0, v64
	s_cbranch_execz .LBB6_7522
; %bb.7517:                             ;   in Loop: Header=BB6_7478 Depth=2
	v_bfe_u32 v65, v64, 23, 8
	v_and_b32_e32 v66, 0x7fffff, v64
	s_delay_alu instid0(VALU_DEP_2) | instskip(SKIP_1) | instid1(VALU_DEP_3)
	v_sub_nc_u32_e32 v68, 0x78, v65
	v_cmp_gt_u32_e32 vcc_lo, 0x79, v65
	v_or_b32_e32 v69, 0x800000, v66
	s_delay_alu instid0(VALU_DEP_3) | instskip(SKIP_2) | instid1(VALU_DEP_3)
	v_cndmask_b32_e32 v68, 0, v68, vcc_lo
	v_cmp_eq_u32_e32 vcc_lo, 0, v65
	v_add_nc_u32_e32 v65, 0xffffff89, v65
	v_cndmask_b32_e64 v68, v68, 0x77, vcc_lo
	v_cndmask_b32_e32 v66, v69, v66, vcc_lo
	s_delay_alu instid0(VALU_DEP_3) | instskip(NEXT) | instid1(VALU_DEP_3)
	v_cndmask_b32_e64 v65, v65, 0xffffff8a, vcc_lo
	v_lshl_add_u32 v69, 0x100000, v68, -1
	s_delay_alu instid0(VALU_DEP_3) | instskip(SKIP_1) | instid1(VALU_DEP_4)
	v_lshrrev_b32_e32 v103, v68, v66
	v_lshlrev_b32_e64 v113, v68, 0x80000
	v_add_nc_u32_e32 v68, v68, v65
	s_delay_alu instid0(VALU_DEP_4) | instskip(NEXT) | instid1(VALU_DEP_4)
	v_and_b32_e32 v66, v69, v66
	v_bfe_u32 v112, v103, 20, 1
	s_delay_alu instid0(VALU_DEP_2) | instskip(NEXT) | instid1(VALU_DEP_2)
	v_cmp_eq_u32_e64 s10, v66, v113
	v_add_nc_u32_e32 v69, -1, v112
	s_delay_alu instid0(VALU_DEP_1) | instskip(SKIP_2) | instid1(VALU_DEP_2)
	v_cndmask_b32_e64 v66, 0, v69, s10
	v_lshrrev_b32_e32 v69, 23, v103
	s_mov_b32 s10, exec_lo
	v_add_nc_u32_e32 v66, v66, v103
	s_delay_alu instid0(VALU_DEP_2) | instskip(NEXT) | instid1(VALU_DEP_2)
	v_xor_b32_e32 v69, 1, v69
	v_and_b32_e32 v65, 0xfffff, v66
	s_delay_alu instid0(VALU_DEP_1) | instskip(NEXT) | instid1(VALU_DEP_3)
	v_add_nc_u32_e32 v66, v65, v103
                                        ; implicit-def: $vgpr65
	v_cmpx_ne_u32_e64 v68, v69
	s_xor_b32 s10, exec_lo, s10
; %bb.7518:                             ;   in Loop: Header=BB6_7478 Depth=2
	s_delay_alu instid0(VALU_DEP_2) | instskip(SKIP_2) | instid1(VALU_DEP_2)
	v_cmp_lt_u32_e32 vcc_lo, 0xffffff, v66
	v_sub_nc_u32_e32 v65, v68, v69
	v_cndmask_b32_e64 v68, 0, 1, vcc_lo
	v_add_co_ci_u32_e32 v65, vcc_lo, 0, v65, vcc_lo
	s_delay_alu instid0(VALU_DEP_2)
	v_lshrrev_b32_e32 v66, v68, v66
; %bb.7519:                             ;   in Loop: Header=BB6_7478 Depth=2
	s_and_not1_saveexec_b32 s10, s10
; %bb.7520:                             ;   in Loop: Header=BB6_7478 Depth=2
	s_delay_alu instid0(VALU_DEP_1)
	v_bfe_u32 v65, v66, 23, 1
; %bb.7521:                             ;   in Loop: Header=BB6_7478 Depth=2
	s_or_b32 exec_lo, exec_lo, s10
	v_lshrrev_b32_e32 v66, 20, v66
	s_delay_alu instid0(VALU_DEP_2) | instskip(SKIP_2) | instid1(VALU_DEP_4)
	v_cmp_gt_i32_e32 vcc_lo, 16, v65
	v_lshrrev_b32_e32 v64, 24, v64
	v_min_i32_e32 v68, 15, v65
	v_cndmask_b32_e32 v66, 7, v66, vcc_lo
	s_delay_alu instid0(VALU_DEP_3) | instskip(NEXT) | instid1(VALU_DEP_3)
	v_and_b32_e32 v64, 0x80, v64
	v_lshlrev_b32_e32 v68, 3, v68
	s_delay_alu instid0(VALU_DEP_3) | instskip(NEXT) | instid1(VALU_DEP_1)
	v_or_b32_e32 v65, v65, v66
	v_cmp_ne_u32_e32 vcc_lo, 0, v65
	v_and_b32_e32 v69, 7, v66
	s_delay_alu instid0(VALU_DEP_1) | instskip(NEXT) | instid1(VALU_DEP_1)
	v_or3_b32 v64, v68, v64, v69
	v_cndmask_b32_e32 v114, 0, v64, vcc_lo
.LBB6_7522:                             ;   in Loop: Header=BB6_7478 Depth=2
	s_or_b32 exec_lo, exec_lo, s27
.LBB6_7523:                             ;   in Loop: Header=BB6_7478 Depth=2
	s_delay_alu instid0(SALU_CYCLE_1) | instskip(SKIP_3) | instid1(VALU_DEP_1)
	s_or_b32 exec_lo, exec_lo, s26
	v_lshrrev_b32_e32 v64, 24, v10
	s_mov_b32 s10, 0
	s_mov_b32 s27, exec_lo
                                        ; implicit-def: $sgpr26
	v_cmpx_lt_i16_e32 0x7f, v64
	s_xor_b32 s27, exec_lo, s27
	s_cbranch_execnz .LBB6_7945
; %bb.7524:                             ;   in Loop: Header=BB6_7478 Depth=2
	s_or_saveexec_b32 s27, s27
	v_mov_b32_e32 v65, s26
	s_xor_b32 exec_lo, exec_lo, s27
	s_cbranch_execnz .LBB6_7948
.LBB6_7525:                             ;   in Loop: Header=BB6_7478 Depth=2
	s_or_b32 exec_lo, exec_lo, s27
	s_and_saveexec_b32 s26, s10
	s_cbranch_execz .LBB6_7527
.LBB6_7526:                             ;   in Loop: Header=BB6_7478 Depth=2
	v_bfe_u32 v65, v10, 24, 3
	s_delay_alu instid0(VALU_DEP_1) | instskip(NEXT) | instid1(VALU_DEP_1)
	v_clz_i32_u32_e32 v66, v65
	v_min_u32_e32 v66, 32, v66
	s_delay_alu instid0(VALU_DEP_1) | instskip(SKIP_1) | instid1(VALU_DEP_2)
	v_subrev_nc_u32_e32 v68, 28, v66
	v_sub_nc_u32_e32 v66, 29, v66
	v_lshlrev_b32_e32 v64, v68, v64
	v_bfe_u32 v68, v10, 27, 4
	v_and_b32_e32 v10, 0x80000000, v10
	s_delay_alu instid0(VALU_DEP_3) | instskip(NEXT) | instid1(VALU_DEP_3)
	v_and_b32_e32 v64, 7, v64
	v_cmp_eq_u32_e32 vcc_lo, 0, v68
	v_cndmask_b32_e32 v66, v68, v66, vcc_lo
	s_delay_alu instid0(VALU_DEP_3) | instskip(NEXT) | instid1(VALU_DEP_2)
	v_cndmask_b32_e32 v64, v65, v64, vcc_lo
	v_lshl_add_u32 v65, v66, 23, 0x3b800000
	s_delay_alu instid0(VALU_DEP_2) | instskip(NEXT) | instid1(VALU_DEP_1)
	v_lshlrev_b32_e32 v64, 20, v64
	v_or3_b32 v65, v10, v65, v64
.LBB6_7527:                             ;   in Loop: Header=BB6_7478 Depth=2
	s_or_b32 exec_lo, exec_lo, s26
	s_delay_alu instid0(VALU_DEP_1) | instskip(SKIP_1) | instid1(VALU_DEP_1)
	v_dual_mul_f32 v10, s25, v65 :: v_dual_mov_b32 v117, 0x80
	s_mov_b32 s26, exec_lo
	v_and_b32_e32 v64, 0x7f800000, v10
	s_delay_alu instid0(VALU_DEP_1)
	v_cmpx_ne_u32_e32 0x7f800000, v64
	s_cbranch_execz .LBB6_7535
; %bb.7528:                             ;   in Loop: Header=BB6_7478 Depth=2
	v_mov_b32_e32 v117, 0
	s_mov_b32 s27, exec_lo
	v_cmpx_ne_u32_e32 0, v10
	s_cbranch_execz .LBB6_7534
; %bb.7529:                             ;   in Loop: Header=BB6_7478 Depth=2
	v_bfe_u32 v64, v10, 23, 8
	v_and_b32_e32 v65, 0x7fffff, v10
	s_delay_alu instid0(VALU_DEP_2) | instskip(SKIP_1) | instid1(VALU_DEP_3)
	v_sub_nc_u32_e32 v66, 0x78, v64
	v_cmp_gt_u32_e32 vcc_lo, 0x79, v64
	v_or_b32_e32 v68, 0x800000, v65
	s_delay_alu instid0(VALU_DEP_3) | instskip(SKIP_1) | instid1(VALU_DEP_3)
	v_cndmask_b32_e32 v66, 0, v66, vcc_lo
	v_cmp_eq_u32_e32 vcc_lo, 0, v64
	v_dual_cndmask_b32 v65, v68, v65 :: v_dual_add_nc_u32 v64, 0xffffff89, v64
	s_delay_alu instid0(VALU_DEP_3) | instskip(NEXT) | instid1(VALU_DEP_2)
	v_cndmask_b32_e64 v66, v66, 0x77, vcc_lo
	v_cndmask_b32_e64 v64, v64, 0xffffff8a, vcc_lo
	s_delay_alu instid0(VALU_DEP_2) | instskip(SKIP_2) | instid1(VALU_DEP_4)
	v_lshrrev_b32_e32 v69, v66, v65
	v_lshl_add_u32 v68, 0x100000, v66, -1
	v_lshlrev_b32_e64 v112, v66, 0x80000
	v_add_nc_u32_e32 v66, v66, v64
	s_delay_alu instid0(VALU_DEP_4) | instskip(NEXT) | instid1(VALU_DEP_4)
	v_bfe_u32 v103, v69, 20, 1
	v_and_b32_e32 v65, v68, v65
	s_delay_alu instid0(VALU_DEP_2) | instskip(NEXT) | instid1(VALU_DEP_2)
	v_add_nc_u32_e32 v68, -1, v103
	v_cmp_eq_u32_e64 s10, v65, v112
	s_delay_alu instid0(VALU_DEP_1) | instskip(SKIP_2) | instid1(VALU_DEP_2)
	v_cndmask_b32_e64 v65, 0, v68, s10
	v_lshrrev_b32_e32 v68, 23, v69
	s_mov_b32 s10, exec_lo
	v_add_nc_u32_e32 v65, v65, v69
	s_delay_alu instid0(VALU_DEP_2) | instskip(NEXT) | instid1(VALU_DEP_2)
	v_xor_b32_e32 v68, 1, v68
	v_and_b32_e32 v64, 0xfffff, v65
	s_delay_alu instid0(VALU_DEP_1) | instskip(NEXT) | instid1(VALU_DEP_3)
	v_add_nc_u32_e32 v65, v64, v69
                                        ; implicit-def: $vgpr64
	v_cmpx_ne_u32_e64 v66, v68
	s_xor_b32 s10, exec_lo, s10
; %bb.7530:                             ;   in Loop: Header=BB6_7478 Depth=2
	s_delay_alu instid0(VALU_DEP_2) | instskip(SKIP_2) | instid1(VALU_DEP_2)
	v_cmp_lt_u32_e32 vcc_lo, 0xffffff, v65
	v_sub_nc_u32_e32 v64, v66, v68
	v_cndmask_b32_e64 v66, 0, 1, vcc_lo
	v_add_co_ci_u32_e32 v64, vcc_lo, 0, v64, vcc_lo
	s_delay_alu instid0(VALU_DEP_2)
	v_lshrrev_b32_e32 v65, v66, v65
; %bb.7531:                             ;   in Loop: Header=BB6_7478 Depth=2
	s_and_not1_saveexec_b32 s10, s10
; %bb.7532:                             ;   in Loop: Header=BB6_7478 Depth=2
	s_delay_alu instid0(VALU_DEP_1)
	v_bfe_u32 v64, v65, 23, 1
; %bb.7533:                             ;   in Loop: Header=BB6_7478 Depth=2
	s_or_b32 exec_lo, exec_lo, s10
	v_lshrrev_b32_e32 v65, 20, v65
	s_delay_alu instid0(VALU_DEP_2) | instskip(SKIP_2) | instid1(VALU_DEP_2)
	v_cmp_gt_i32_e32 vcc_lo, 16, v64
	v_lshrrev_b32_e32 v10, 24, v10
	v_min_i32_e32 v66, 15, v64
	v_dual_cndmask_b32 v65, 7, v65 :: v_dual_and_b32 v10, 0x80, v10
	s_delay_alu instid0(VALU_DEP_2) | instskip(NEXT) | instid1(VALU_DEP_2)
	v_lshlrev_b32_e32 v66, 3, v66
	v_or_b32_e32 v64, v64, v65
	s_delay_alu instid0(VALU_DEP_1) | instskip(SKIP_1) | instid1(VALU_DEP_1)
	v_cmp_ne_u32_e32 vcc_lo, 0, v64
	v_and_b32_e32 v68, 7, v65
	v_or3_b32 v10, v66, v10, v68
	s_delay_alu instid0(VALU_DEP_1)
	v_cndmask_b32_e32 v117, 0, v10, vcc_lo
.LBB6_7534:                             ;   in Loop: Header=BB6_7478 Depth=2
	s_or_b32 exec_lo, exec_lo, s27
.LBB6_7535:                             ;   in Loop: Header=BB6_7478 Depth=2
	s_delay_alu instid0(SALU_CYCLE_1) | instskip(SKIP_3) | instid1(VALU_DEP_1)
	s_or_b32 exec_lo, exec_lo, s26
	v_and_b32_e32 v64, 0xff, v11
	s_mov_b32 s10, 0
	s_mov_b32 s27, exec_lo
                                        ; implicit-def: $sgpr26
	v_cmpx_lt_i16_e32 0x7f, v64
	s_xor_b32 s27, exec_lo, s27
	s_cbranch_execnz .LBB6_7949
; %bb.7536:                             ;   in Loop: Header=BB6_7478 Depth=2
	s_or_saveexec_b32 s27, s27
	v_mov_b32_e32 v10, s26
	s_xor_b32 exec_lo, exec_lo, s27
	s_cbranch_execnz .LBB6_7952
.LBB6_7537:                             ;   in Loop: Header=BB6_7478 Depth=2
	s_or_b32 exec_lo, exec_lo, s27
	s_and_saveexec_b32 s26, s10
	s_cbranch_execz .LBB6_7539
.LBB6_7538:                             ;   in Loop: Header=BB6_7478 Depth=2
	v_and_b32_e32 v10, 7, v11
	v_bfe_u32 v66, v11, 3, 4
	v_lshlrev_b32_e32 v68, 24, v11
	s_delay_alu instid0(VALU_DEP_3) | instskip(NEXT) | instid1(VALU_DEP_3)
	v_clz_i32_u32_e32 v64, v10
	v_cmp_eq_u32_e32 vcc_lo, 0, v66
	s_delay_alu instid0(VALU_DEP_2) | instskip(NEXT) | instid1(VALU_DEP_1)
	v_min_u32_e32 v64, 32, v64
	v_subrev_nc_u32_e32 v65, 28, v64
	v_sub_nc_u32_e32 v64, 29, v64
	s_delay_alu instid0(VALU_DEP_1) | instskip(NEXT) | instid1(VALU_DEP_1)
	v_dual_cndmask_b32 v64, v66, v64 :: v_dual_lshlrev_b32 v65, v65, v11
	v_and_b32_e32 v65, 7, v65
	s_delay_alu instid0(VALU_DEP_2) | instskip(NEXT) | instid1(VALU_DEP_2)
	v_lshl_add_u32 v64, v64, 23, 0x3b800000
	v_dual_cndmask_b32 v10, v10, v65 :: v_dual_and_b32 v65, 0x80000000, v68
	s_delay_alu instid0(VALU_DEP_1) | instskip(NEXT) | instid1(VALU_DEP_1)
	v_lshlrev_b32_e32 v10, 20, v10
	v_or3_b32 v10, v65, v64, v10
.LBB6_7539:                             ;   in Loop: Header=BB6_7478 Depth=2
	s_or_b32 exec_lo, exec_lo, s26
	s_delay_alu instid0(VALU_DEP_1) | instskip(SKIP_2) | instid1(VALU_DEP_2)
	v_mul_f32_e32 v10, s25, v10
	v_mov_b32_e32 v116, 0x80
	s_mov_b32 s26, exec_lo
	v_and_b32_e32 v64, 0x7f800000, v10
	s_delay_alu instid0(VALU_DEP_1)
	v_cmpx_ne_u32_e32 0x7f800000, v64
	s_cbranch_execz .LBB6_7547
; %bb.7540:                             ;   in Loop: Header=BB6_7478 Depth=2
	v_mov_b32_e32 v116, 0
	s_mov_b32 s27, exec_lo
	v_cmpx_ne_u32_e32 0, v10
	s_cbranch_execz .LBB6_7546
; %bb.7541:                             ;   in Loop: Header=BB6_7478 Depth=2
	v_bfe_u32 v64, v10, 23, 8
	v_and_b32_e32 v65, 0x7fffff, v10
	s_delay_alu instid0(VALU_DEP_2) | instskip(SKIP_1) | instid1(VALU_DEP_3)
	v_sub_nc_u32_e32 v66, 0x78, v64
	v_cmp_gt_u32_e32 vcc_lo, 0x79, v64
	v_or_b32_e32 v68, 0x800000, v65
	s_delay_alu instid0(VALU_DEP_3) | instskip(SKIP_1) | instid1(VALU_DEP_3)
	v_cndmask_b32_e32 v66, 0, v66, vcc_lo
	v_cmp_eq_u32_e32 vcc_lo, 0, v64
	v_dual_cndmask_b32 v65, v68, v65 :: v_dual_add_nc_u32 v64, 0xffffff89, v64
	s_delay_alu instid0(VALU_DEP_3) | instskip(NEXT) | instid1(VALU_DEP_2)
	v_cndmask_b32_e64 v66, v66, 0x77, vcc_lo
	v_cndmask_b32_e64 v64, v64, 0xffffff8a, vcc_lo
	s_delay_alu instid0(VALU_DEP_2) | instskip(SKIP_2) | instid1(VALU_DEP_4)
	v_lshrrev_b32_e32 v69, v66, v65
	v_lshl_add_u32 v68, 0x100000, v66, -1
	v_lshlrev_b32_e64 v112, v66, 0x80000
	v_add_nc_u32_e32 v66, v66, v64
	s_delay_alu instid0(VALU_DEP_4) | instskip(NEXT) | instid1(VALU_DEP_4)
	v_bfe_u32 v103, v69, 20, 1
	v_and_b32_e32 v65, v68, v65
	s_delay_alu instid0(VALU_DEP_2) | instskip(NEXT) | instid1(VALU_DEP_2)
	v_add_nc_u32_e32 v68, -1, v103
	v_cmp_eq_u32_e64 s10, v65, v112
	s_delay_alu instid0(VALU_DEP_1) | instskip(SKIP_2) | instid1(VALU_DEP_2)
	v_cndmask_b32_e64 v65, 0, v68, s10
	v_lshrrev_b32_e32 v68, 23, v69
	s_mov_b32 s10, exec_lo
	v_add_nc_u32_e32 v65, v65, v69
	s_delay_alu instid0(VALU_DEP_2) | instskip(NEXT) | instid1(VALU_DEP_2)
	v_xor_b32_e32 v68, 1, v68
	v_and_b32_e32 v64, 0xfffff, v65
	s_delay_alu instid0(VALU_DEP_1) | instskip(NEXT) | instid1(VALU_DEP_3)
	v_add_nc_u32_e32 v65, v64, v69
                                        ; implicit-def: $vgpr64
	v_cmpx_ne_u32_e64 v66, v68
	s_xor_b32 s10, exec_lo, s10
; %bb.7542:                             ;   in Loop: Header=BB6_7478 Depth=2
	s_delay_alu instid0(VALU_DEP_2) | instskip(SKIP_2) | instid1(VALU_DEP_2)
	v_cmp_lt_u32_e32 vcc_lo, 0xffffff, v65
	v_sub_nc_u32_e32 v64, v66, v68
	v_cndmask_b32_e64 v66, 0, 1, vcc_lo
	v_add_co_ci_u32_e32 v64, vcc_lo, 0, v64, vcc_lo
	s_delay_alu instid0(VALU_DEP_2)
	v_lshrrev_b32_e32 v65, v66, v65
; %bb.7543:                             ;   in Loop: Header=BB6_7478 Depth=2
	s_and_not1_saveexec_b32 s10, s10
; %bb.7544:                             ;   in Loop: Header=BB6_7478 Depth=2
	s_delay_alu instid0(VALU_DEP_1)
	v_bfe_u32 v64, v65, 23, 1
; %bb.7545:                             ;   in Loop: Header=BB6_7478 Depth=2
	s_or_b32 exec_lo, exec_lo, s10
	v_lshrrev_b32_e32 v65, 20, v65
	s_delay_alu instid0(VALU_DEP_2) | instskip(SKIP_2) | instid1(VALU_DEP_3)
	v_min_i32_e32 v66, 15, v64
	v_cmp_gt_i32_e32 vcc_lo, 16, v64
	v_lshrrev_b32_e32 v10, 24, v10
	v_dual_cndmask_b32 v65, 7, v65 :: v_dual_lshlrev_b32 v66, 3, v66
	s_delay_alu instid0(VALU_DEP_2) | instskip(NEXT) | instid1(VALU_DEP_2)
	v_and_b32_e32 v10, 0x80, v10
	v_and_b32_e32 v66, 0xf8, v66
	s_delay_alu instid0(VALU_DEP_3) | instskip(SKIP_1) | instid1(VALU_DEP_2)
	v_and_b32_e32 v68, 7, v65
	v_or_b32_e32 v64, v64, v65
	v_or3_b32 v10, v66, v10, v68
	s_delay_alu instid0(VALU_DEP_2) | instskip(NEXT) | instid1(VALU_DEP_2)
	v_cmp_ne_u32_e32 vcc_lo, 0, v64
	v_cndmask_b32_e32 v116, 0, v10, vcc_lo
.LBB6_7546:                             ;   in Loop: Header=BB6_7478 Depth=2
	s_or_b32 exec_lo, exec_lo, s27
.LBB6_7547:                             ;   in Loop: Header=BB6_7478 Depth=2
	s_delay_alu instid0(SALU_CYCLE_1) | instskip(SKIP_3) | instid1(VALU_DEP_1)
	s_or_b32 exec_lo, exec_lo, s26
	v_lshrrev_b16 v10, 8, v11
	s_mov_b32 s10, 0
	s_mov_b32 s27, exec_lo
                                        ; implicit-def: $sgpr26
	v_cmpx_lt_i16_e32 0x7f, v10
	s_xor_b32 s27, exec_lo, s27
	s_cbranch_execnz .LBB6_7953
; %bb.7548:                             ;   in Loop: Header=BB6_7478 Depth=2
	s_or_saveexec_b32 s27, s27
	v_mov_b32_e32 v64, s26
	s_xor_b32 exec_lo, exec_lo, s27
	s_cbranch_execnz .LBB6_7956
.LBB6_7549:                             ;   in Loop: Header=BB6_7478 Depth=2
	s_or_b32 exec_lo, exec_lo, s27
	s_and_saveexec_b32 s26, s10
	s_cbranch_execz .LBB6_7551
.LBB6_7550:                             ;   in Loop: Header=BB6_7478 Depth=2
	v_and_b32_e32 v64, 0xffff, v10
	v_lshlrev_b32_e32 v10, 24, v10
	s_delay_alu instid0(VALU_DEP_2) | instskip(NEXT) | instid1(VALU_DEP_2)
	v_and_b32_e32 v65, 7, v64
	v_and_b32_e32 v10, 0x80000000, v10
	s_delay_alu instid0(VALU_DEP_2) | instskip(NEXT) | instid1(VALU_DEP_1)
	v_clz_i32_u32_e32 v66, v65
	v_min_u32_e32 v66, 32, v66
	s_delay_alu instid0(VALU_DEP_1) | instskip(SKIP_1) | instid1(VALU_DEP_2)
	v_subrev_nc_u32_e32 v68, 28, v66
	v_sub_nc_u32_e32 v66, 29, v66
	v_lshlrev_b32_e32 v68, v68, v64
	v_bfe_u32 v64, v64, 3, 4
	s_delay_alu instid0(VALU_DEP_2) | instskip(NEXT) | instid1(VALU_DEP_2)
	v_and_b32_e32 v68, 7, v68
	v_cmp_eq_u32_e32 vcc_lo, 0, v64
	s_delay_alu instid0(VALU_DEP_2) | instskip(NEXT) | instid1(VALU_DEP_1)
	v_dual_cndmask_b32 v64, v64, v66 :: v_dual_cndmask_b32 v65, v65, v68
	v_lshl_add_u32 v64, v64, 23, 0x3b800000
	s_delay_alu instid0(VALU_DEP_2) | instskip(NEXT) | instid1(VALU_DEP_1)
	v_lshlrev_b32_e32 v65, 20, v65
	v_or3_b32 v64, v10, v64, v65
.LBB6_7551:                             ;   in Loop: Header=BB6_7478 Depth=2
	s_or_b32 exec_lo, exec_lo, s26
	s_delay_alu instid0(VALU_DEP_1) | instskip(SKIP_1) | instid1(VALU_DEP_1)
	v_dual_mul_f32 v10, s25, v64 :: v_dual_mov_b32 v119, 0x8000
	s_mov_b32 s26, exec_lo
	v_and_b32_e32 v64, 0x7f800000, v10
	s_delay_alu instid0(VALU_DEP_1)
	v_cmpx_ne_u32_e32 0x7f800000, v64
	s_cbranch_execz .LBB6_7559
; %bb.7552:                             ;   in Loop: Header=BB6_7478 Depth=2
	v_mov_b32_e32 v119, 0
	s_mov_b32 s27, exec_lo
	v_cmpx_ne_u32_e32 0, v10
	s_cbranch_execz .LBB6_7558
; %bb.7553:                             ;   in Loop: Header=BB6_7478 Depth=2
	v_bfe_u32 v64, v10, 23, 8
	v_and_b32_e32 v65, 0x7fffff, v10
	s_delay_alu instid0(VALU_DEP_2) | instskip(SKIP_1) | instid1(VALU_DEP_3)
	v_sub_nc_u32_e32 v66, 0x78, v64
	v_cmp_gt_u32_e32 vcc_lo, 0x79, v64
	v_or_b32_e32 v68, 0x800000, v65
	s_delay_alu instid0(VALU_DEP_3) | instskip(SKIP_1) | instid1(VALU_DEP_3)
	v_cndmask_b32_e32 v66, 0, v66, vcc_lo
	v_cmp_eq_u32_e32 vcc_lo, 0, v64
	v_dual_cndmask_b32 v65, v68, v65 :: v_dual_add_nc_u32 v64, 0xffffff89, v64
	s_delay_alu instid0(VALU_DEP_3) | instskip(NEXT) | instid1(VALU_DEP_2)
	v_cndmask_b32_e64 v66, v66, 0x77, vcc_lo
	v_cndmask_b32_e64 v64, v64, 0xffffff8a, vcc_lo
	s_delay_alu instid0(VALU_DEP_2) | instskip(SKIP_2) | instid1(VALU_DEP_4)
	v_lshrrev_b32_e32 v69, v66, v65
	v_lshl_add_u32 v68, 0x100000, v66, -1
	v_lshlrev_b32_e64 v112, v66, 0x80000
	v_add_nc_u32_e32 v66, v66, v64
	s_delay_alu instid0(VALU_DEP_4) | instskip(NEXT) | instid1(VALU_DEP_4)
	v_bfe_u32 v103, v69, 20, 1
	v_and_b32_e32 v65, v68, v65
	s_delay_alu instid0(VALU_DEP_2) | instskip(NEXT) | instid1(VALU_DEP_2)
	v_add_nc_u32_e32 v68, -1, v103
	v_cmp_eq_u32_e64 s10, v65, v112
	s_delay_alu instid0(VALU_DEP_1) | instskip(SKIP_2) | instid1(VALU_DEP_2)
	v_cndmask_b32_e64 v65, 0, v68, s10
	v_lshrrev_b32_e32 v68, 23, v69
	s_mov_b32 s10, exec_lo
	v_add_nc_u32_e32 v65, v65, v69
	s_delay_alu instid0(VALU_DEP_2) | instskip(NEXT) | instid1(VALU_DEP_2)
	v_xor_b32_e32 v68, 1, v68
	v_and_b32_e32 v64, 0xfffff, v65
	s_delay_alu instid0(VALU_DEP_1) | instskip(NEXT) | instid1(VALU_DEP_3)
	v_add_nc_u32_e32 v65, v64, v69
                                        ; implicit-def: $vgpr64
	v_cmpx_ne_u32_e64 v66, v68
	s_xor_b32 s10, exec_lo, s10
; %bb.7554:                             ;   in Loop: Header=BB6_7478 Depth=2
	s_delay_alu instid0(VALU_DEP_2) | instskip(SKIP_2) | instid1(VALU_DEP_2)
	v_cmp_lt_u32_e32 vcc_lo, 0xffffff, v65
	v_sub_nc_u32_e32 v64, v66, v68
	v_cndmask_b32_e64 v66, 0, 1, vcc_lo
	v_add_co_ci_u32_e32 v64, vcc_lo, 0, v64, vcc_lo
	s_delay_alu instid0(VALU_DEP_2)
	v_lshrrev_b32_e32 v65, v66, v65
; %bb.7555:                             ;   in Loop: Header=BB6_7478 Depth=2
	s_and_not1_saveexec_b32 s10, s10
; %bb.7556:                             ;   in Loop: Header=BB6_7478 Depth=2
	s_delay_alu instid0(VALU_DEP_1)
	v_bfe_u32 v64, v65, 23, 1
; %bb.7557:                             ;   in Loop: Header=BB6_7478 Depth=2
	s_or_b32 exec_lo, exec_lo, s10
	v_lshrrev_b32_e32 v65, 20, v65
	s_delay_alu instid0(VALU_DEP_2) | instskip(SKIP_2) | instid1(VALU_DEP_2)
	v_cmp_gt_i32_e32 vcc_lo, 16, v64
	v_min_i32_e32 v66, 15, v64
	v_lshrrev_b32_e32 v10, 24, v10
	v_dual_cndmask_b32 v65, 7, v65 :: v_dual_lshlrev_b32 v66, 3, v66
	s_delay_alu instid0(VALU_DEP_2) | instskip(NEXT) | instid1(VALU_DEP_2)
	v_and_b32_e32 v10, 0x80, v10
	v_or_b32_e32 v64, v64, v65
	s_delay_alu instid0(VALU_DEP_3) | instskip(NEXT) | instid1(VALU_DEP_2)
	v_and_b32_e32 v66, 0xf8, v66
	v_cmp_ne_u32_e32 vcc_lo, 0, v64
	v_and_b32_e32 v68, 7, v65
	s_delay_alu instid0(VALU_DEP_1) | instskip(NEXT) | instid1(VALU_DEP_1)
	v_or3_b32 v10, v10, v66, v68
	v_lshlrev_b32_e32 v10, 8, v10
	s_delay_alu instid0(VALU_DEP_1)
	v_cndmask_b32_e32 v119, 0, v10, vcc_lo
.LBB6_7558:                             ;   in Loop: Header=BB6_7478 Depth=2
	s_or_b32 exec_lo, exec_lo, s27
.LBB6_7559:                             ;   in Loop: Header=BB6_7478 Depth=2
	s_delay_alu instid0(SALU_CYCLE_1) | instskip(SKIP_3) | instid1(VALU_DEP_1)
	s_or_b32 exec_lo, exec_lo, s26
	v_lshrrev_b32_e32 v10, 16, v11
	s_mov_b32 s10, 0
	s_mov_b32 s27, exec_lo
                                        ; implicit-def: $sgpr26
	v_and_b32_e32 v65, 0xff, v10
	s_delay_alu instid0(VALU_DEP_1)
	v_cmpx_lt_i16_e32 0x7f, v65
	s_xor_b32 s27, exec_lo, s27
	s_cbranch_execnz .LBB6_7957
; %bb.7560:                             ;   in Loop: Header=BB6_7478 Depth=2
	s_or_saveexec_b32 s27, s27
	v_mov_b32_e32 v64, s26
	s_xor_b32 exec_lo, exec_lo, s27
	s_cbranch_execnz .LBB6_7960
.LBB6_7561:                             ;   in Loop: Header=BB6_7478 Depth=2
	s_or_b32 exec_lo, exec_lo, s27
	s_and_saveexec_b32 s26, s10
	s_cbranch_execz .LBB6_7563
.LBB6_7562:                             ;   in Loop: Header=BB6_7478 Depth=2
	v_bfe_u32 v64, v11, 16, 3
	v_lshlrev_b32_e32 v68, 8, v11
	s_delay_alu instid0(VALU_DEP_2) | instskip(NEXT) | instid1(VALU_DEP_1)
	v_clz_i32_u32_e32 v65, v64
	v_min_u32_e32 v65, 32, v65
	s_delay_alu instid0(VALU_DEP_1) | instskip(SKIP_1) | instid1(VALU_DEP_2)
	v_subrev_nc_u32_e32 v66, 28, v65
	v_sub_nc_u32_e32 v65, 29, v65
	v_lshlrev_b32_e32 v10, v66, v10
	v_bfe_u32 v66, v11, 19, 4
	s_delay_alu instid0(VALU_DEP_1) | instskip(NEXT) | instid1(VALU_DEP_3)
	v_cmp_eq_u32_e32 vcc_lo, 0, v66
	v_dual_cndmask_b32 v65, v66, v65 :: v_dual_and_b32 v10, 7, v10
	s_delay_alu instid0(VALU_DEP_1) | instskip(SKIP_1) | instid1(VALU_DEP_3)
	v_cndmask_b32_e32 v10, v64, v10, vcc_lo
	v_and_b32_e32 v64, 0x80000000, v68
	v_lshl_add_u32 v65, v65, 23, 0x3b800000
	s_delay_alu instid0(VALU_DEP_3) | instskip(NEXT) | instid1(VALU_DEP_1)
	v_lshlrev_b32_e32 v10, 20, v10
	v_or3_b32 v64, v64, v65, v10
.LBB6_7563:                             ;   in Loop: Header=BB6_7478 Depth=2
	s_or_b32 exec_lo, exec_lo, s26
	s_delay_alu instid0(VALU_DEP_1) | instskip(SKIP_1) | instid1(VALU_DEP_1)
	v_dual_mul_f32 v10, s25, v64 :: v_dual_mov_b32 v115, 0x80
	s_mov_b32 s26, exec_lo
	v_and_b32_e32 v64, 0x7f800000, v10
	s_delay_alu instid0(VALU_DEP_1)
	v_cmpx_ne_u32_e32 0x7f800000, v64
	s_cbranch_execz .LBB6_7571
; %bb.7564:                             ;   in Loop: Header=BB6_7478 Depth=2
	v_mov_b32_e32 v115, 0
	s_mov_b32 s27, exec_lo
	v_cmpx_ne_u32_e32 0, v10
	s_cbranch_execz .LBB6_7570
; %bb.7565:                             ;   in Loop: Header=BB6_7478 Depth=2
	v_bfe_u32 v64, v10, 23, 8
	v_and_b32_e32 v65, 0x7fffff, v10
	s_delay_alu instid0(VALU_DEP_2) | instskip(SKIP_1) | instid1(VALU_DEP_3)
	v_sub_nc_u32_e32 v66, 0x78, v64
	v_cmp_gt_u32_e32 vcc_lo, 0x79, v64
	v_or_b32_e32 v68, 0x800000, v65
	s_delay_alu instid0(VALU_DEP_3) | instskip(SKIP_1) | instid1(VALU_DEP_3)
	v_cndmask_b32_e32 v66, 0, v66, vcc_lo
	v_cmp_eq_u32_e32 vcc_lo, 0, v64
	v_dual_cndmask_b32 v65, v68, v65 :: v_dual_add_nc_u32 v64, 0xffffff89, v64
	s_delay_alu instid0(VALU_DEP_3) | instskip(NEXT) | instid1(VALU_DEP_2)
	v_cndmask_b32_e64 v66, v66, 0x77, vcc_lo
	v_cndmask_b32_e64 v64, v64, 0xffffff8a, vcc_lo
	s_delay_alu instid0(VALU_DEP_2) | instskip(SKIP_2) | instid1(VALU_DEP_4)
	v_lshrrev_b32_e32 v69, v66, v65
	v_lshl_add_u32 v68, 0x100000, v66, -1
	v_lshlrev_b32_e64 v112, v66, 0x80000
	v_add_nc_u32_e32 v66, v66, v64
	s_delay_alu instid0(VALU_DEP_4) | instskip(NEXT) | instid1(VALU_DEP_4)
	v_bfe_u32 v103, v69, 20, 1
	v_and_b32_e32 v65, v68, v65
	s_delay_alu instid0(VALU_DEP_2) | instskip(NEXT) | instid1(VALU_DEP_2)
	v_add_nc_u32_e32 v68, -1, v103
	v_cmp_eq_u32_e64 s10, v65, v112
	s_delay_alu instid0(VALU_DEP_1) | instskip(SKIP_2) | instid1(VALU_DEP_2)
	v_cndmask_b32_e64 v65, 0, v68, s10
	v_lshrrev_b32_e32 v68, 23, v69
	s_mov_b32 s10, exec_lo
	v_add_nc_u32_e32 v65, v65, v69
	s_delay_alu instid0(VALU_DEP_2) | instskip(NEXT) | instid1(VALU_DEP_2)
	v_xor_b32_e32 v68, 1, v68
	v_and_b32_e32 v64, 0xfffff, v65
	s_delay_alu instid0(VALU_DEP_1) | instskip(NEXT) | instid1(VALU_DEP_3)
	v_add_nc_u32_e32 v65, v64, v69
                                        ; implicit-def: $vgpr64
	v_cmpx_ne_u32_e64 v66, v68
	s_xor_b32 s10, exec_lo, s10
; %bb.7566:                             ;   in Loop: Header=BB6_7478 Depth=2
	s_delay_alu instid0(VALU_DEP_2) | instskip(SKIP_2) | instid1(VALU_DEP_2)
	v_cmp_lt_u32_e32 vcc_lo, 0xffffff, v65
	v_sub_nc_u32_e32 v64, v66, v68
	v_cndmask_b32_e64 v66, 0, 1, vcc_lo
	v_add_co_ci_u32_e32 v64, vcc_lo, 0, v64, vcc_lo
	s_delay_alu instid0(VALU_DEP_2)
	v_lshrrev_b32_e32 v65, v66, v65
; %bb.7567:                             ;   in Loop: Header=BB6_7478 Depth=2
	s_and_not1_saveexec_b32 s10, s10
; %bb.7568:                             ;   in Loop: Header=BB6_7478 Depth=2
	s_delay_alu instid0(VALU_DEP_1)
	v_bfe_u32 v64, v65, 23, 1
; %bb.7569:                             ;   in Loop: Header=BB6_7478 Depth=2
	s_or_b32 exec_lo, exec_lo, s10
	v_lshrrev_b32_e32 v65, 20, v65
	s_delay_alu instid0(VALU_DEP_2) | instskip(SKIP_2) | instid1(VALU_DEP_2)
	v_cmp_gt_i32_e32 vcc_lo, 16, v64
	v_min_i32_e32 v66, 15, v64
	v_lshrrev_b32_e32 v10, 24, v10
	v_dual_cndmask_b32 v65, 7, v65 :: v_dual_lshlrev_b32 v66, 3, v66
	s_delay_alu instid0(VALU_DEP_2) | instskip(NEXT) | instid1(VALU_DEP_2)
	v_and_b32_e32 v10, 0x80, v10
	v_or_b32_e32 v64, v64, v65
	s_delay_alu instid0(VALU_DEP_3) | instskip(NEXT) | instid1(VALU_DEP_2)
	v_and_b32_e32 v66, 0xf8, v66
	v_cmp_ne_u32_e32 vcc_lo, 0, v64
	v_and_b32_e32 v68, 7, v65
	s_delay_alu instid0(VALU_DEP_1) | instskip(NEXT) | instid1(VALU_DEP_1)
	v_or3_b32 v10, v66, v10, v68
	v_cndmask_b32_e32 v115, 0, v10, vcc_lo
.LBB6_7570:                             ;   in Loop: Header=BB6_7478 Depth=2
	s_or_b32 exec_lo, exec_lo, s27
.LBB6_7571:                             ;   in Loop: Header=BB6_7478 Depth=2
	s_delay_alu instid0(SALU_CYCLE_1) | instskip(SKIP_3) | instid1(VALU_DEP_1)
	s_or_b32 exec_lo, exec_lo, s26
	v_lshrrev_b32_e32 v10, 24, v11
	s_mov_b32 s10, 0
	s_mov_b32 s27, exec_lo
                                        ; implicit-def: $sgpr26
	v_cmpx_lt_i16_e32 0x7f, v10
	s_xor_b32 s27, exec_lo, s27
	s_cbranch_execnz .LBB6_7961
; %bb.7572:                             ;   in Loop: Header=BB6_7478 Depth=2
	s_or_saveexec_b32 s27, s27
	v_mov_b32_e32 v64, s26
	s_xor_b32 exec_lo, exec_lo, s27
	s_cbranch_execnz .LBB6_7964
.LBB6_7573:                             ;   in Loop: Header=BB6_7478 Depth=2
	s_or_b32 exec_lo, exec_lo, s27
	s_and_saveexec_b32 s26, s10
	s_cbranch_execz .LBB6_7575
.LBB6_7574:                             ;   in Loop: Header=BB6_7478 Depth=2
	v_bfe_u32 v64, v11, 24, 3
	s_delay_alu instid0(VALU_DEP_1) | instskip(NEXT) | instid1(VALU_DEP_1)
	v_clz_i32_u32_e32 v65, v64
	v_min_u32_e32 v65, 32, v65
	s_delay_alu instid0(VALU_DEP_1) | instskip(SKIP_1) | instid1(VALU_DEP_2)
	v_subrev_nc_u32_e32 v66, 28, v65
	v_sub_nc_u32_e32 v65, 29, v65
	v_lshlrev_b32_e32 v10, v66, v10
	v_bfe_u32 v66, v11, 27, 4
	v_and_b32_e32 v11, 0x80000000, v11
	s_delay_alu instid0(VALU_DEP_2) | instskip(NEXT) | instid1(VALU_DEP_4)
	v_cmp_eq_u32_e32 vcc_lo, 0, v66
	v_dual_cndmask_b32 v65, v66, v65 :: v_dual_and_b32 v10, 7, v10
	s_delay_alu instid0(VALU_DEP_1) | instskip(NEXT) | instid1(VALU_DEP_2)
	v_cndmask_b32_e32 v10, v64, v10, vcc_lo
	v_lshl_add_u32 v64, v65, 23, 0x3b800000
	s_delay_alu instid0(VALU_DEP_2) | instskip(NEXT) | instid1(VALU_DEP_1)
	v_lshlrev_b32_e32 v10, 20, v10
	v_or3_b32 v64, v11, v64, v10
.LBB6_7575:                             ;   in Loop: Header=BB6_7478 Depth=2
	s_or_b32 exec_lo, exec_lo, s26
	s_delay_alu instid0(VALU_DEP_1) | instskip(SKIP_2) | instid1(VALU_DEP_2)
	v_mul_f32_e32 v10, s25, v64
	v_mov_b32_e32 v118, 0x8000
	s_mov_b32 s26, exec_lo
	v_and_b32_e32 v11, 0x7f800000, v10
	s_delay_alu instid0(VALU_DEP_1)
	v_cmpx_ne_u32_e32 0x7f800000, v11
	s_cbranch_execz .LBB6_7583
; %bb.7576:                             ;   in Loop: Header=BB6_7478 Depth=2
	v_mov_b32_e32 v118, 0
	s_mov_b32 s27, exec_lo
	v_cmpx_ne_u32_e32 0, v10
	s_cbranch_execz .LBB6_7582
; %bb.7577:                             ;   in Loop: Header=BB6_7478 Depth=2
	v_bfe_u32 v11, v10, 23, 8
	s_delay_alu instid0(VALU_DEP_1) | instskip(SKIP_1) | instid1(VALU_DEP_2)
	v_sub_nc_u32_e32 v65, 0x78, v11
	v_cmp_gt_u32_e32 vcc_lo, 0x79, v11
	v_dual_cndmask_b32 v65, 0, v65 :: v_dual_and_b32 v64, 0x7fffff, v10
	s_delay_alu instid0(VALU_DEP_1) | instskip(SKIP_2) | instid1(VALU_DEP_4)
	v_or_b32_e32 v66, 0x800000, v64
	v_cmp_eq_u32_e32 vcc_lo, 0, v11
	v_add_nc_u32_e32 v11, 0xffffff89, v11
	v_cndmask_b32_e64 v65, v65, 0x77, vcc_lo
	s_delay_alu instid0(VALU_DEP_4) | instskip(NEXT) | instid1(VALU_DEP_3)
	v_cndmask_b32_e32 v64, v66, v64, vcc_lo
	v_cndmask_b32_e64 v11, v11, 0xffffff8a, vcc_lo
	s_delay_alu instid0(VALU_DEP_3) | instskip(NEXT) | instid1(VALU_DEP_3)
	v_lshl_add_u32 v66, 0x100000, v65, -1
	v_lshrrev_b32_e32 v68, v65, v64
	v_lshlrev_b32_e64 v103, v65, 0x80000
	s_delay_alu instid0(VALU_DEP_4) | instskip(NEXT) | instid1(VALU_DEP_4)
	v_add_nc_u32_e32 v65, v65, v11
	v_and_b32_e32 v64, v66, v64
	s_delay_alu instid0(VALU_DEP_4) | instskip(NEXT) | instid1(VALU_DEP_2)
	v_bfe_u32 v69, v68, 20, 1
	v_cmp_eq_u32_e64 s10, v64, v103
	s_delay_alu instid0(VALU_DEP_2) | instskip(NEXT) | instid1(VALU_DEP_1)
	v_add_nc_u32_e32 v66, -1, v69
	v_cndmask_b32_e64 v64, 0, v66, s10
	v_lshrrev_b32_e32 v66, 23, v68
	s_mov_b32 s10, exec_lo
	s_delay_alu instid0(VALU_DEP_2) | instskip(NEXT) | instid1(VALU_DEP_2)
	v_add_nc_u32_e32 v64, v64, v68
	v_xor_b32_e32 v66, 1, v66
	s_delay_alu instid0(VALU_DEP_2) | instskip(NEXT) | instid1(VALU_DEP_1)
	v_and_b32_e32 v11, 0xfffff, v64
	v_add_nc_u32_e32 v64, v11, v68
                                        ; implicit-def: $vgpr11
	s_delay_alu instid0(VALU_DEP_3)
	v_cmpx_ne_u32_e64 v65, v66
	s_xor_b32 s10, exec_lo, s10
; %bb.7578:                             ;   in Loop: Header=BB6_7478 Depth=2
	s_delay_alu instid0(VALU_DEP_2) | instskip(SKIP_2) | instid1(VALU_DEP_2)
	v_cmp_lt_u32_e32 vcc_lo, 0xffffff, v64
	v_sub_nc_u32_e32 v11, v65, v66
	v_cndmask_b32_e64 v65, 0, 1, vcc_lo
	v_add_co_ci_u32_e32 v11, vcc_lo, 0, v11, vcc_lo
	s_delay_alu instid0(VALU_DEP_2)
	v_lshrrev_b32_e32 v64, v65, v64
; %bb.7579:                             ;   in Loop: Header=BB6_7478 Depth=2
	s_and_not1_saveexec_b32 s10, s10
; %bb.7580:                             ;   in Loop: Header=BB6_7478 Depth=2
	s_delay_alu instid0(VALU_DEP_1)
	v_bfe_u32 v11, v64, 23, 1
; %bb.7581:                             ;   in Loop: Header=BB6_7478 Depth=2
	s_or_b32 exec_lo, exec_lo, s10
	v_lshrrev_b32_e32 v64, 20, v64
	s_delay_alu instid0(VALU_DEP_2) | instskip(SKIP_2) | instid1(VALU_DEP_2)
	v_cmp_gt_i32_e32 vcc_lo, 16, v11
	v_min_i32_e32 v65, 15, v11
	v_lshrrev_b32_e32 v10, 24, v10
	v_dual_cndmask_b32 v64, 7, v64 :: v_dual_lshlrev_b32 v65, 3, v65
	s_delay_alu instid0(VALU_DEP_2) | instskip(NEXT) | instid1(VALU_DEP_2)
	v_and_b32_e32 v10, 0x80, v10
	v_or_b32_e32 v11, v11, v64
	v_and_b32_e32 v66, 7, v64
	s_delay_alu instid0(VALU_DEP_2) | instskip(SKIP_1) | instid1(VALU_DEP_1)
	v_cmp_ne_u32_e32 vcc_lo, 0, v11
	v_and_b32_e32 v65, 0xf8, v65
	v_or3_b32 v10, v10, v65, v66
	s_delay_alu instid0(VALU_DEP_1) | instskip(NEXT) | instid1(VALU_DEP_1)
	v_lshlrev_b32_e32 v10, 8, v10
	v_cndmask_b32_e32 v118, 0, v10, vcc_lo
.LBB6_7582:                             ;   in Loop: Header=BB6_7478 Depth=2
	s_or_b32 exec_lo, exec_lo, s27
.LBB6_7583:                             ;   in Loop: Header=BB6_7478 Depth=2
	s_delay_alu instid0(SALU_CYCLE_1) | instskip(SKIP_3) | instid1(VALU_DEP_1)
	s_or_b32 exec_lo, exec_lo, s26
	v_and_b32_e32 v11, 0xff, v12
	s_mov_b32 s10, 0
	s_mov_b32 s27, exec_lo
                                        ; implicit-def: $sgpr26
	v_cmpx_lt_i16_e32 0x7f, v11
	s_xor_b32 s27, exec_lo, s27
	s_cbranch_execnz .LBB6_7965
; %bb.7584:                             ;   in Loop: Header=BB6_7478 Depth=2
	s_or_saveexec_b32 s27, s27
	v_mov_b32_e32 v10, s26
	s_xor_b32 exec_lo, exec_lo, s27
	s_cbranch_execnz .LBB6_7968
.LBB6_7585:                             ;   in Loop: Header=BB6_7478 Depth=2
	s_or_b32 exec_lo, exec_lo, s27
	s_and_saveexec_b32 s26, s10
	s_cbranch_execz .LBB6_7587
.LBB6_7586:                             ;   in Loop: Header=BB6_7478 Depth=2
	v_bfe_u32 v65, v12, 3, 4
	v_lshlrev_b32_e32 v66, 24, v12
	s_delay_alu instid0(VALU_DEP_2) | instskip(SKIP_1) | instid1(VALU_DEP_1)
	v_cmp_eq_u32_e32 vcc_lo, 0, v65
	v_and_b32_e32 v10, 7, v12
	v_clz_i32_u32_e32 v11, v10
	s_delay_alu instid0(VALU_DEP_1) | instskip(NEXT) | instid1(VALU_DEP_1)
	v_min_u32_e32 v11, 32, v11
	v_subrev_nc_u32_e32 v64, 28, v11
	v_sub_nc_u32_e32 v11, 29, v11
	s_delay_alu instid0(VALU_DEP_1) | instskip(NEXT) | instid1(VALU_DEP_1)
	v_dual_cndmask_b32 v11, v65, v11 :: v_dual_lshlrev_b32 v64, v64, v12
	v_and_b32_e32 v64, 7, v64
	s_delay_alu instid0(VALU_DEP_2) | instskip(NEXT) | instid1(VALU_DEP_2)
	v_lshl_add_u32 v11, v11, 23, 0x3b800000
	v_cndmask_b32_e32 v10, v10, v64, vcc_lo
	v_and_b32_e32 v64, 0x80000000, v66
	s_delay_alu instid0(VALU_DEP_2) | instskip(NEXT) | instid1(VALU_DEP_1)
	v_lshlrev_b32_e32 v10, 20, v10
	v_or3_b32 v10, v64, v11, v10
.LBB6_7587:                             ;   in Loop: Header=BB6_7478 Depth=2
	s_or_b32 exec_lo, exec_lo, s26
	s_delay_alu instid0(VALU_DEP_1) | instskip(SKIP_1) | instid1(VALU_DEP_1)
	v_dual_mul_f32 v10, s25, v10 :: v_dual_mov_b32 v113, 0x80
	s_mov_b32 s26, exec_lo
	v_and_b32_e32 v11, 0x7f800000, v10
	s_delay_alu instid0(VALU_DEP_1)
	v_cmpx_ne_u32_e32 0x7f800000, v11
	s_cbranch_execz .LBB6_7595
; %bb.7588:                             ;   in Loop: Header=BB6_7478 Depth=2
	v_mov_b32_e32 v113, 0
	s_mov_b32 s27, exec_lo
	v_cmpx_ne_u32_e32 0, v10
	s_cbranch_execz .LBB6_7594
; %bb.7589:                             ;   in Loop: Header=BB6_7478 Depth=2
	v_bfe_u32 v11, v10, 23, 8
	s_delay_alu instid0(VALU_DEP_1) | instskip(SKIP_1) | instid1(VALU_DEP_2)
	v_sub_nc_u32_e32 v65, 0x78, v11
	v_cmp_gt_u32_e32 vcc_lo, 0x79, v11
	v_dual_cndmask_b32 v65, 0, v65 :: v_dual_and_b32 v64, 0x7fffff, v10
	s_delay_alu instid0(VALU_DEP_1) | instskip(SKIP_2) | instid1(VALU_DEP_4)
	v_or_b32_e32 v66, 0x800000, v64
	v_cmp_eq_u32_e32 vcc_lo, 0, v11
	v_add_nc_u32_e32 v11, 0xffffff89, v11
	v_cndmask_b32_e64 v65, v65, 0x77, vcc_lo
	s_delay_alu instid0(VALU_DEP_4) | instskip(NEXT) | instid1(VALU_DEP_3)
	v_cndmask_b32_e32 v64, v66, v64, vcc_lo
	v_cndmask_b32_e64 v11, v11, 0xffffff8a, vcc_lo
	s_delay_alu instid0(VALU_DEP_3) | instskip(NEXT) | instid1(VALU_DEP_3)
	v_lshl_add_u32 v66, 0x100000, v65, -1
	v_lshrrev_b32_e32 v68, v65, v64
	v_lshlrev_b32_e64 v103, v65, 0x80000
	s_delay_alu instid0(VALU_DEP_4) | instskip(NEXT) | instid1(VALU_DEP_4)
	v_add_nc_u32_e32 v65, v65, v11
	v_and_b32_e32 v64, v66, v64
	s_delay_alu instid0(VALU_DEP_4) | instskip(NEXT) | instid1(VALU_DEP_2)
	v_bfe_u32 v69, v68, 20, 1
	v_cmp_eq_u32_e64 s10, v64, v103
	s_delay_alu instid0(VALU_DEP_2) | instskip(NEXT) | instid1(VALU_DEP_1)
	v_add_nc_u32_e32 v66, -1, v69
	v_cndmask_b32_e64 v64, 0, v66, s10
	v_lshrrev_b32_e32 v66, 23, v68
	s_mov_b32 s10, exec_lo
	s_delay_alu instid0(VALU_DEP_2) | instskip(NEXT) | instid1(VALU_DEP_2)
	v_add_nc_u32_e32 v64, v64, v68
	v_xor_b32_e32 v66, 1, v66
	s_delay_alu instid0(VALU_DEP_2) | instskip(NEXT) | instid1(VALU_DEP_1)
	v_and_b32_e32 v11, 0xfffff, v64
	v_add_nc_u32_e32 v64, v11, v68
                                        ; implicit-def: $vgpr11
	s_delay_alu instid0(VALU_DEP_3)
	v_cmpx_ne_u32_e64 v65, v66
	s_xor_b32 s10, exec_lo, s10
; %bb.7590:                             ;   in Loop: Header=BB6_7478 Depth=2
	s_delay_alu instid0(VALU_DEP_2) | instskip(SKIP_2) | instid1(VALU_DEP_2)
	v_cmp_lt_u32_e32 vcc_lo, 0xffffff, v64
	v_sub_nc_u32_e32 v11, v65, v66
	v_cndmask_b32_e64 v65, 0, 1, vcc_lo
	v_add_co_ci_u32_e32 v11, vcc_lo, 0, v11, vcc_lo
	s_delay_alu instid0(VALU_DEP_2)
	v_lshrrev_b32_e32 v64, v65, v64
; %bb.7591:                             ;   in Loop: Header=BB6_7478 Depth=2
	s_and_not1_saveexec_b32 s10, s10
; %bb.7592:                             ;   in Loop: Header=BB6_7478 Depth=2
	s_delay_alu instid0(VALU_DEP_1)
	v_bfe_u32 v11, v64, 23, 1
; %bb.7593:                             ;   in Loop: Header=BB6_7478 Depth=2
	s_or_b32 exec_lo, exec_lo, s10
	v_lshrrev_b32_e32 v64, 20, v64
	s_delay_alu instid0(VALU_DEP_2) | instskip(SKIP_2) | instid1(VALU_DEP_2)
	v_cmp_gt_i32_e32 vcc_lo, 16, v11
	v_min_i32_e32 v65, 15, v11
	v_lshrrev_b32_e32 v10, 24, v10
	v_dual_cndmask_b32 v64, 7, v64 :: v_dual_lshlrev_b32 v65, 3, v65
	s_delay_alu instid0(VALU_DEP_2) | instskip(NEXT) | instid1(VALU_DEP_2)
	v_and_b32_e32 v10, 0x80, v10
	v_or_b32_e32 v11, v11, v64
	s_delay_alu instid0(VALU_DEP_1) | instskip(SKIP_1) | instid1(VALU_DEP_1)
	v_cmp_ne_u32_e32 vcc_lo, 0, v11
	v_and_b32_e32 v66, 7, v64
	v_or3_b32 v10, v65, v10, v66
	s_delay_alu instid0(VALU_DEP_1)
	v_cndmask_b32_e32 v113, 0, v10, vcc_lo
.LBB6_7594:                             ;   in Loop: Header=BB6_7478 Depth=2
	s_or_b32 exec_lo, exec_lo, s27
.LBB6_7595:                             ;   in Loop: Header=BB6_7478 Depth=2
	s_delay_alu instid0(SALU_CYCLE_1) | instskip(SKIP_3) | instid1(VALU_DEP_1)
	s_or_b32 exec_lo, exec_lo, s26
	v_lshrrev_b16 v10, 8, v12
	s_mov_b32 s10, 0
	s_mov_b32 s27, exec_lo
                                        ; implicit-def: $sgpr26
	v_cmpx_lt_i16_e32 0x7f, v10
	s_xor_b32 s27, exec_lo, s27
	s_cbranch_execnz .LBB6_7969
; %bb.7596:                             ;   in Loop: Header=BB6_7478 Depth=2
	s_or_saveexec_b32 s27, s27
	v_mov_b32_e32 v11, s26
	s_xor_b32 exec_lo, exec_lo, s27
	s_cbranch_execnz .LBB6_7972
.LBB6_7597:                             ;   in Loop: Header=BB6_7478 Depth=2
	s_or_b32 exec_lo, exec_lo, s27
	s_and_saveexec_b32 s26, s10
	s_cbranch_execz .LBB6_7599
.LBB6_7598:                             ;   in Loop: Header=BB6_7478 Depth=2
	v_and_b32_e32 v11, 0xffff, v10
	v_lshlrev_b32_e32 v10, 24, v10
	s_delay_alu instid0(VALU_DEP_2) | instskip(NEXT) | instid1(VALU_DEP_2)
	v_and_b32_e32 v64, 7, v11
	v_and_b32_e32 v10, 0x80000000, v10
	s_delay_alu instid0(VALU_DEP_2) | instskip(NEXT) | instid1(VALU_DEP_1)
	v_clz_i32_u32_e32 v65, v64
	v_min_u32_e32 v65, 32, v65
	s_delay_alu instid0(VALU_DEP_1) | instskip(SKIP_1) | instid1(VALU_DEP_2)
	v_subrev_nc_u32_e32 v66, 28, v65
	v_sub_nc_u32_e32 v65, 29, v65
	v_lshlrev_b32_e32 v66, v66, v11
	v_bfe_u32 v11, v11, 3, 4
	s_delay_alu instid0(VALU_DEP_2) | instskip(NEXT) | instid1(VALU_DEP_2)
	v_and_b32_e32 v66, 7, v66
	v_cmp_eq_u32_e32 vcc_lo, 0, v11
	s_delay_alu instid0(VALU_DEP_2) | instskip(NEXT) | instid1(VALU_DEP_1)
	v_dual_cndmask_b32 v11, v11, v65 :: v_dual_cndmask_b32 v64, v64, v66
	v_lshl_add_u32 v11, v11, 23, 0x3b800000
	s_delay_alu instid0(VALU_DEP_2) | instskip(NEXT) | instid1(VALU_DEP_1)
	v_lshlrev_b32_e32 v64, 20, v64
	v_or3_b32 v11, v10, v11, v64
.LBB6_7599:                             ;   in Loop: Header=BB6_7478 Depth=2
	s_or_b32 exec_lo, exec_lo, s26
	s_delay_alu instid0(VALU_DEP_1) | instskip(SKIP_1) | instid1(VALU_DEP_1)
	v_dual_mul_f32 v10, s25, v11 :: v_dual_mov_b32 v103, 0x80
	s_mov_b32 s26, exec_lo
	v_and_b32_e32 v11, 0x7f800000, v10
	s_delay_alu instid0(VALU_DEP_1)
	v_cmpx_ne_u32_e32 0x7f800000, v11
	s_cbranch_execz .LBB6_7607
; %bb.7600:                             ;   in Loop: Header=BB6_7478 Depth=2
	v_mov_b32_e32 v103, 0
	s_mov_b32 s27, exec_lo
	v_cmpx_ne_u32_e32 0, v10
	s_cbranch_execz .LBB6_7606
; %bb.7601:                             ;   in Loop: Header=BB6_7478 Depth=2
	v_bfe_u32 v11, v10, 23, 8
	s_delay_alu instid0(VALU_DEP_1) | instskip(SKIP_1) | instid1(VALU_DEP_2)
	v_sub_nc_u32_e32 v65, 0x78, v11
	v_cmp_gt_u32_e32 vcc_lo, 0x79, v11
	v_dual_cndmask_b32 v65, 0, v65 :: v_dual_and_b32 v64, 0x7fffff, v10
	s_delay_alu instid0(VALU_DEP_1) | instskip(SKIP_2) | instid1(VALU_DEP_4)
	v_or_b32_e32 v66, 0x800000, v64
	v_cmp_eq_u32_e32 vcc_lo, 0, v11
	v_add_nc_u32_e32 v11, 0xffffff89, v11
	v_cndmask_b32_e64 v65, v65, 0x77, vcc_lo
	s_delay_alu instid0(VALU_DEP_4) | instskip(NEXT) | instid1(VALU_DEP_3)
	v_cndmask_b32_e32 v64, v66, v64, vcc_lo
	v_cndmask_b32_e64 v11, v11, 0xffffff8a, vcc_lo
	s_delay_alu instid0(VALU_DEP_3) | instskip(NEXT) | instid1(VALU_DEP_3)
	v_lshl_add_u32 v66, 0x100000, v65, -1
	v_lshrrev_b32_e32 v68, v65, v64
	v_lshlrev_b32_e64 v103, v65, 0x80000
	s_delay_alu instid0(VALU_DEP_4) | instskip(NEXT) | instid1(VALU_DEP_4)
	v_add_nc_u32_e32 v65, v65, v11
	v_and_b32_e32 v64, v66, v64
	s_delay_alu instid0(VALU_DEP_4) | instskip(NEXT) | instid1(VALU_DEP_2)
	v_bfe_u32 v69, v68, 20, 1
	v_cmp_eq_u32_e64 s10, v64, v103
	s_delay_alu instid0(VALU_DEP_2) | instskip(NEXT) | instid1(VALU_DEP_1)
	v_add_nc_u32_e32 v66, -1, v69
	v_cndmask_b32_e64 v64, 0, v66, s10
	v_lshrrev_b32_e32 v66, 23, v68
	s_mov_b32 s10, exec_lo
	s_delay_alu instid0(VALU_DEP_2) | instskip(NEXT) | instid1(VALU_DEP_2)
	v_add_nc_u32_e32 v64, v64, v68
	v_xor_b32_e32 v66, 1, v66
	s_delay_alu instid0(VALU_DEP_2) | instskip(NEXT) | instid1(VALU_DEP_1)
	v_and_b32_e32 v11, 0xfffff, v64
	v_add_nc_u32_e32 v64, v11, v68
                                        ; implicit-def: $vgpr11
	s_delay_alu instid0(VALU_DEP_3)
	v_cmpx_ne_u32_e64 v65, v66
	s_xor_b32 s10, exec_lo, s10
; %bb.7602:                             ;   in Loop: Header=BB6_7478 Depth=2
	s_delay_alu instid0(VALU_DEP_2) | instskip(SKIP_2) | instid1(VALU_DEP_2)
	v_cmp_lt_u32_e32 vcc_lo, 0xffffff, v64
	v_sub_nc_u32_e32 v11, v65, v66
	v_cndmask_b32_e64 v65, 0, 1, vcc_lo
	v_add_co_ci_u32_e32 v11, vcc_lo, 0, v11, vcc_lo
	s_delay_alu instid0(VALU_DEP_2)
	v_lshrrev_b32_e32 v64, v65, v64
; %bb.7603:                             ;   in Loop: Header=BB6_7478 Depth=2
	s_and_not1_saveexec_b32 s10, s10
; %bb.7604:                             ;   in Loop: Header=BB6_7478 Depth=2
	s_delay_alu instid0(VALU_DEP_1)
	v_bfe_u32 v11, v64, 23, 1
; %bb.7605:                             ;   in Loop: Header=BB6_7478 Depth=2
	s_or_b32 exec_lo, exec_lo, s10
	v_lshrrev_b32_e32 v64, 20, v64
	s_delay_alu instid0(VALU_DEP_2) | instskip(SKIP_2) | instid1(VALU_DEP_2)
	v_cmp_gt_i32_e32 vcc_lo, 16, v11
	v_min_i32_e32 v65, 15, v11
	v_lshrrev_b32_e32 v10, 24, v10
	v_dual_cndmask_b32 v64, 7, v64 :: v_dual_lshlrev_b32 v65, 3, v65
	s_delay_alu instid0(VALU_DEP_2) | instskip(NEXT) | instid1(VALU_DEP_2)
	v_and_b32_e32 v10, 0x80, v10
	v_or_b32_e32 v11, v11, v64
	s_delay_alu instid0(VALU_DEP_1) | instskip(SKIP_1) | instid1(VALU_DEP_1)
	v_cmp_ne_u32_e32 vcc_lo, 0, v11
	v_and_b32_e32 v66, 7, v64
	v_or3_b32 v10, v65, v10, v66
	s_delay_alu instid0(VALU_DEP_1)
	v_cndmask_b32_e32 v103, 0, v10, vcc_lo
.LBB6_7606:                             ;   in Loop: Header=BB6_7478 Depth=2
	s_or_b32 exec_lo, exec_lo, s27
.LBB6_7607:                             ;   in Loop: Header=BB6_7478 Depth=2
	s_delay_alu instid0(SALU_CYCLE_1) | instskip(SKIP_3) | instid1(VALU_DEP_1)
	s_or_b32 exec_lo, exec_lo, s26
	v_lshrrev_b32_e32 v10, 16, v12
	s_mov_b32 s10, 0
	s_mov_b32 s27, exec_lo
                                        ; implicit-def: $sgpr26
	v_and_b32_e32 v64, 0xff, v10
	s_delay_alu instid0(VALU_DEP_1)
	v_cmpx_lt_i16_e32 0x7f, v64
	s_xor_b32 s27, exec_lo, s27
	s_cbranch_execnz .LBB6_7973
; %bb.7608:                             ;   in Loop: Header=BB6_7478 Depth=2
	s_or_saveexec_b32 s27, s27
	v_mov_b32_e32 v11, s26
	s_xor_b32 exec_lo, exec_lo, s27
	s_cbranch_execnz .LBB6_7976
.LBB6_7609:                             ;   in Loop: Header=BB6_7478 Depth=2
	s_or_b32 exec_lo, exec_lo, s27
	s_and_saveexec_b32 s26, s10
	s_cbranch_execz .LBB6_7611
.LBB6_7610:                             ;   in Loop: Header=BB6_7478 Depth=2
	v_bfe_u32 v11, v12, 16, 3
	v_lshlrev_b32_e32 v66, 8, v12
	s_delay_alu instid0(VALU_DEP_2) | instskip(NEXT) | instid1(VALU_DEP_1)
	v_clz_i32_u32_e32 v64, v11
	v_min_u32_e32 v64, 32, v64
	s_delay_alu instid0(VALU_DEP_1) | instskip(SKIP_1) | instid1(VALU_DEP_2)
	v_subrev_nc_u32_e32 v65, 28, v64
	v_sub_nc_u32_e32 v64, 29, v64
	v_lshlrev_b32_e32 v10, v65, v10
	v_bfe_u32 v65, v12, 19, 4
	s_delay_alu instid0(VALU_DEP_2) | instskip(NEXT) | instid1(VALU_DEP_2)
	v_and_b32_e32 v10, 7, v10
	v_cmp_eq_u32_e32 vcc_lo, 0, v65
	v_cndmask_b32_e32 v64, v65, v64, vcc_lo
	s_delay_alu instid0(VALU_DEP_3) | instskip(SKIP_1) | instid1(VALU_DEP_3)
	v_cndmask_b32_e32 v10, v11, v10, vcc_lo
	v_and_b32_e32 v11, 0x80000000, v66
	v_lshl_add_u32 v64, v64, 23, 0x3b800000
	s_delay_alu instid0(VALU_DEP_3) | instskip(NEXT) | instid1(VALU_DEP_1)
	v_lshlrev_b32_e32 v10, 20, v10
	v_or3_b32 v11, v11, v64, v10
.LBB6_7611:                             ;   in Loop: Header=BB6_7478 Depth=2
	s_or_b32 exec_lo, exec_lo, s26
	s_delay_alu instid0(VALU_DEP_1) | instskip(SKIP_1) | instid1(VALU_DEP_1)
	v_dual_mul_f32 v10, s25, v11 :: v_dual_mov_b32 v69, 0x80
	s_mov_b32 s26, exec_lo
	v_and_b32_e32 v11, 0x7f800000, v10
	s_delay_alu instid0(VALU_DEP_1)
	v_cmpx_ne_u32_e32 0x7f800000, v11
	s_cbranch_execz .LBB6_7619
; %bb.7612:                             ;   in Loop: Header=BB6_7478 Depth=2
	v_mov_b32_e32 v69, 0
	s_mov_b32 s27, exec_lo
	v_cmpx_ne_u32_e32 0, v10
	s_cbranch_execz .LBB6_7618
; %bb.7613:                             ;   in Loop: Header=BB6_7478 Depth=2
	v_bfe_u32 v11, v10, 23, 8
	s_delay_alu instid0(VALU_DEP_1) | instskip(SKIP_1) | instid1(VALU_DEP_2)
	v_sub_nc_u32_e32 v65, 0x78, v11
	v_cmp_gt_u32_e32 vcc_lo, 0x79, v11
	v_dual_cndmask_b32 v65, 0, v65 :: v_dual_and_b32 v64, 0x7fffff, v10
	s_delay_alu instid0(VALU_DEP_1) | instskip(SKIP_2) | instid1(VALU_DEP_4)
	v_or_b32_e32 v66, 0x800000, v64
	v_cmp_eq_u32_e32 vcc_lo, 0, v11
	v_add_nc_u32_e32 v11, 0xffffff89, v11
	v_cndmask_b32_e64 v65, v65, 0x77, vcc_lo
	s_delay_alu instid0(VALU_DEP_4) | instskip(NEXT) | instid1(VALU_DEP_3)
	v_cndmask_b32_e32 v64, v66, v64, vcc_lo
	v_cndmask_b32_e64 v11, v11, 0xffffff8a, vcc_lo
	s_delay_alu instid0(VALU_DEP_3) | instskip(NEXT) | instid1(VALU_DEP_3)
	v_lshl_add_u32 v66, 0x100000, v65, -1
	v_lshrrev_b32_e32 v68, v65, v64
	v_lshlrev_b32_e64 v112, v65, 0x80000
	s_delay_alu instid0(VALU_DEP_4) | instskip(NEXT) | instid1(VALU_DEP_4)
	v_add_nc_u32_e32 v65, v65, v11
	v_and_b32_e32 v64, v66, v64
	s_delay_alu instid0(VALU_DEP_4) | instskip(NEXT) | instid1(VALU_DEP_2)
	v_bfe_u32 v69, v68, 20, 1
	v_cmp_eq_u32_e64 s10, v64, v112
	s_delay_alu instid0(VALU_DEP_2) | instskip(NEXT) | instid1(VALU_DEP_1)
	v_add_nc_u32_e32 v66, -1, v69
	v_cndmask_b32_e64 v64, 0, v66, s10
	v_lshrrev_b32_e32 v66, 23, v68
	s_mov_b32 s10, exec_lo
	s_delay_alu instid0(VALU_DEP_2) | instskip(NEXT) | instid1(VALU_DEP_2)
	v_add_nc_u32_e32 v64, v64, v68
	v_xor_b32_e32 v66, 1, v66
	s_delay_alu instid0(VALU_DEP_2) | instskip(NEXT) | instid1(VALU_DEP_1)
	v_and_b32_e32 v11, 0xfffff, v64
	v_add_nc_u32_e32 v64, v11, v68
                                        ; implicit-def: $vgpr11
	s_delay_alu instid0(VALU_DEP_3)
	v_cmpx_ne_u32_e64 v65, v66
	s_xor_b32 s10, exec_lo, s10
; %bb.7614:                             ;   in Loop: Header=BB6_7478 Depth=2
	s_delay_alu instid0(VALU_DEP_2) | instskip(SKIP_2) | instid1(VALU_DEP_2)
	v_cmp_lt_u32_e32 vcc_lo, 0xffffff, v64
	v_sub_nc_u32_e32 v11, v65, v66
	v_cndmask_b32_e64 v65, 0, 1, vcc_lo
	v_add_co_ci_u32_e32 v11, vcc_lo, 0, v11, vcc_lo
	s_delay_alu instid0(VALU_DEP_2)
	v_lshrrev_b32_e32 v64, v65, v64
; %bb.7615:                             ;   in Loop: Header=BB6_7478 Depth=2
	s_and_not1_saveexec_b32 s10, s10
; %bb.7616:                             ;   in Loop: Header=BB6_7478 Depth=2
	s_delay_alu instid0(VALU_DEP_1)
	v_bfe_u32 v11, v64, 23, 1
; %bb.7617:                             ;   in Loop: Header=BB6_7478 Depth=2
	s_or_b32 exec_lo, exec_lo, s10
	v_lshrrev_b32_e32 v64, 20, v64
	s_delay_alu instid0(VALU_DEP_2) | instskip(SKIP_2) | instid1(VALU_DEP_2)
	v_cmp_gt_i32_e32 vcc_lo, 16, v11
	v_min_i32_e32 v65, 15, v11
	v_lshrrev_b32_e32 v10, 24, v10
	v_dual_cndmask_b32 v64, 7, v64 :: v_dual_lshlrev_b32 v65, 3, v65
	s_delay_alu instid0(VALU_DEP_2) | instskip(NEXT) | instid1(VALU_DEP_2)
	v_and_b32_e32 v10, 0x80, v10
	v_or_b32_e32 v11, v11, v64
	s_delay_alu instid0(VALU_DEP_1) | instskip(SKIP_1) | instid1(VALU_DEP_1)
	v_cmp_ne_u32_e32 vcc_lo, 0, v11
	v_and_b32_e32 v66, 7, v64
	v_or3_b32 v10, v65, v10, v66
	s_delay_alu instid0(VALU_DEP_1)
	v_cndmask_b32_e32 v69, 0, v10, vcc_lo
.LBB6_7618:                             ;   in Loop: Header=BB6_7478 Depth=2
	s_or_b32 exec_lo, exec_lo, s27
.LBB6_7619:                             ;   in Loop: Header=BB6_7478 Depth=2
	s_delay_alu instid0(SALU_CYCLE_1) | instskip(SKIP_3) | instid1(VALU_DEP_1)
	s_or_b32 exec_lo, exec_lo, s26
	v_lshrrev_b32_e32 v10, 24, v12
	s_mov_b32 s10, 0
	s_mov_b32 s27, exec_lo
                                        ; implicit-def: $sgpr26
	v_cmpx_lt_i16_e32 0x7f, v10
	s_xor_b32 s27, exec_lo, s27
	s_cbranch_execnz .LBB6_7977
; %bb.7620:                             ;   in Loop: Header=BB6_7478 Depth=2
	s_or_saveexec_b32 s27, s27
	v_mov_b32_e32 v11, s26
	s_xor_b32 exec_lo, exec_lo, s27
	s_cbranch_execnz .LBB6_7980
.LBB6_7621:                             ;   in Loop: Header=BB6_7478 Depth=2
	s_or_b32 exec_lo, exec_lo, s27
	s_and_saveexec_b32 s26, s10
	s_cbranch_execz .LBB6_7623
.LBB6_7622:                             ;   in Loop: Header=BB6_7478 Depth=2
	v_bfe_u32 v11, v12, 24, 3
	s_delay_alu instid0(VALU_DEP_1) | instskip(NEXT) | instid1(VALU_DEP_1)
	v_clz_i32_u32_e32 v64, v11
	v_min_u32_e32 v64, 32, v64
	s_delay_alu instid0(VALU_DEP_1) | instskip(SKIP_1) | instid1(VALU_DEP_2)
	v_subrev_nc_u32_e32 v65, 28, v64
	v_sub_nc_u32_e32 v64, 29, v64
	v_lshlrev_b32_e32 v10, v65, v10
	v_bfe_u32 v65, v12, 27, 4
	s_delay_alu instid0(VALU_DEP_2) | instskip(NEXT) | instid1(VALU_DEP_2)
	v_and_b32_e32 v10, 7, v10
	v_cmp_eq_u32_e32 vcc_lo, 0, v65
	v_cndmask_b32_e32 v64, v65, v64, vcc_lo
	s_delay_alu instid0(VALU_DEP_3) | instskip(NEXT) | instid1(VALU_DEP_2)
	v_dual_cndmask_b32 v10, v11, v10 :: v_dual_and_b32 v11, 0x80000000, v12
	v_lshl_add_u32 v12, v64, 23, 0x3b800000
	s_delay_alu instid0(VALU_DEP_2) | instskip(NEXT) | instid1(VALU_DEP_1)
	v_lshlrev_b32_e32 v10, 20, v10
	v_or3_b32 v11, v11, v12, v10
.LBB6_7623:                             ;   in Loop: Header=BB6_7478 Depth=2
	s_or_b32 exec_lo, exec_lo, s26
	s_delay_alu instid0(VALU_DEP_1) | instskip(SKIP_2) | instid1(VALU_DEP_2)
	v_mul_f32_e32 v10, s25, v11
	v_mov_b32_e32 v66, 0x80
	s_mov_b32 s26, exec_lo
	v_and_b32_e32 v11, 0x7f800000, v10
	s_delay_alu instid0(VALU_DEP_1)
	v_cmpx_ne_u32_e32 0x7f800000, v11
	s_cbranch_execz .LBB6_7631
; %bb.7624:                             ;   in Loop: Header=BB6_7478 Depth=2
	v_mov_b32_e32 v66, 0
	s_mov_b32 s27, exec_lo
	v_cmpx_ne_u32_e32 0, v10
	s_cbranch_execz .LBB6_7630
; %bb.7625:                             ;   in Loop: Header=BB6_7478 Depth=2
	v_bfe_u32 v11, v10, 23, 8
	v_and_b32_e32 v12, 0x7fffff, v10
	s_delay_alu instid0(VALU_DEP_2) | instskip(SKIP_1) | instid1(VALU_DEP_3)
	v_sub_nc_u32_e32 v64, 0x78, v11
	v_cmp_gt_u32_e32 vcc_lo, 0x79, v11
	v_or_b32_e32 v65, 0x800000, v12
	s_delay_alu instid0(VALU_DEP_3) | instskip(SKIP_2) | instid1(VALU_DEP_3)
	v_cndmask_b32_e32 v64, 0, v64, vcc_lo
	v_cmp_eq_u32_e32 vcc_lo, 0, v11
	v_add_nc_u32_e32 v11, 0xffffff89, v11
	v_cndmask_b32_e64 v64, v64, 0x77, vcc_lo
	v_cndmask_b32_e32 v12, v65, v12, vcc_lo
	s_delay_alu instid0(VALU_DEP_3) | instskip(NEXT) | instid1(VALU_DEP_3)
	v_cndmask_b32_e64 v11, v11, 0xffffff8a, vcc_lo
	v_lshl_add_u32 v65, 0x100000, v64, -1
	s_delay_alu instid0(VALU_DEP_3) | instskip(SKIP_1) | instid1(VALU_DEP_4)
	v_lshrrev_b32_e32 v66, v64, v12
	v_lshlrev_b32_e64 v112, v64, 0x80000
	v_add_nc_u32_e32 v64, v64, v11
	s_delay_alu instid0(VALU_DEP_4) | instskip(NEXT) | instid1(VALU_DEP_4)
	v_and_b32_e32 v12, v65, v12
	v_bfe_u32 v68, v66, 20, 1
	s_delay_alu instid0(VALU_DEP_2) | instskip(NEXT) | instid1(VALU_DEP_2)
	v_cmp_eq_u32_e64 s10, v12, v112
	v_add_nc_u32_e32 v65, -1, v68
	s_delay_alu instid0(VALU_DEP_1) | instskip(SKIP_2) | instid1(VALU_DEP_2)
	v_cndmask_b32_e64 v12, 0, v65, s10
	v_lshrrev_b32_e32 v65, 23, v66
	s_mov_b32 s10, exec_lo
	v_add_nc_u32_e32 v12, v12, v66
	s_delay_alu instid0(VALU_DEP_2) | instskip(NEXT) | instid1(VALU_DEP_2)
	v_xor_b32_e32 v65, 1, v65
	v_and_b32_e32 v11, 0xfffff, v12
	s_delay_alu instid0(VALU_DEP_1) | instskip(NEXT) | instid1(VALU_DEP_3)
	v_add_nc_u32_e32 v12, v11, v66
                                        ; implicit-def: $vgpr11
	v_cmpx_ne_u32_e64 v64, v65
	s_xor_b32 s10, exec_lo, s10
; %bb.7626:                             ;   in Loop: Header=BB6_7478 Depth=2
	s_delay_alu instid0(VALU_DEP_2) | instskip(SKIP_2) | instid1(VALU_DEP_2)
	v_cmp_lt_u32_e32 vcc_lo, 0xffffff, v12
	v_sub_nc_u32_e32 v11, v64, v65
	v_cndmask_b32_e64 v64, 0, 1, vcc_lo
	v_add_co_ci_u32_e32 v11, vcc_lo, 0, v11, vcc_lo
	s_delay_alu instid0(VALU_DEP_2)
	v_lshrrev_b32_e32 v12, v64, v12
; %bb.7627:                             ;   in Loop: Header=BB6_7478 Depth=2
	s_and_not1_saveexec_b32 s10, s10
; %bb.7628:                             ;   in Loop: Header=BB6_7478 Depth=2
	s_delay_alu instid0(VALU_DEP_1)
	v_bfe_u32 v11, v12, 23, 1
; %bb.7629:                             ;   in Loop: Header=BB6_7478 Depth=2
	s_or_b32 exec_lo, exec_lo, s10
	v_lshrrev_b32_e32 v12, 20, v12
	s_delay_alu instid0(VALU_DEP_2) | instskip(SKIP_2) | instid1(VALU_DEP_4)
	v_cmp_gt_i32_e32 vcc_lo, 16, v11
	v_lshrrev_b32_e32 v10, 24, v10
	v_min_i32_e32 v64, 15, v11
	v_cndmask_b32_e32 v12, 7, v12, vcc_lo
	s_delay_alu instid0(VALU_DEP_3) | instskip(NEXT) | instid1(VALU_DEP_3)
	v_and_b32_e32 v10, 0x80, v10
	v_lshlrev_b32_e32 v64, 3, v64
	s_delay_alu instid0(VALU_DEP_3) | instskip(NEXT) | instid1(VALU_DEP_1)
	v_or_b32_e32 v11, v11, v12
	v_cmp_ne_u32_e32 vcc_lo, 0, v11
	v_and_b32_e32 v65, 7, v12
	s_delay_alu instid0(VALU_DEP_1) | instskip(NEXT) | instid1(VALU_DEP_1)
	v_or3_b32 v10, v64, v10, v65
	v_cndmask_b32_e32 v66, 0, v10, vcc_lo
.LBB6_7630:                             ;   in Loop: Header=BB6_7478 Depth=2
	s_or_b32 exec_lo, exec_lo, s27
.LBB6_7631:                             ;   in Loop: Header=BB6_7478 Depth=2
	s_delay_alu instid0(SALU_CYCLE_1) | instskip(SKIP_3) | instid1(VALU_DEP_1)
	s_or_b32 exec_lo, exec_lo, s26
	v_and_b32_e32 v11, 0xff, v13
	s_mov_b32 s10, 0
	s_mov_b32 s27, exec_lo
                                        ; implicit-def: $sgpr26
	v_cmpx_lt_i16_e32 0x7f, v11
	s_xor_b32 s27, exec_lo, s27
	s_cbranch_execnz .LBB6_7981
; %bb.7632:                             ;   in Loop: Header=BB6_7478 Depth=2
	s_or_saveexec_b32 s27, s27
	v_mov_b32_e32 v10, s26
	s_xor_b32 exec_lo, exec_lo, s27
	s_cbranch_execnz .LBB6_7984
.LBB6_7633:                             ;   in Loop: Header=BB6_7478 Depth=2
	s_or_b32 exec_lo, exec_lo, s27
	s_and_saveexec_b32 s26, s10
	s_cbranch_execz .LBB6_7635
.LBB6_7634:                             ;   in Loop: Header=BB6_7478 Depth=2
	v_bfe_u32 v64, v13, 3, 4
	s_delay_alu instid0(VALU_DEP_1) | instskip(SKIP_1) | instid1(VALU_DEP_1)
	v_cmp_eq_u32_e32 vcc_lo, 0, v64
	v_and_b32_e32 v10, 7, v13
	v_clz_i32_u32_e32 v11, v10
	s_delay_alu instid0(VALU_DEP_1) | instskip(NEXT) | instid1(VALU_DEP_1)
	v_min_u32_e32 v11, 32, v11
	v_subrev_nc_u32_e32 v12, 28, v11
	v_sub_nc_u32_e32 v11, 29, v11
	s_delay_alu instid0(VALU_DEP_2) | instskip(NEXT) | instid1(VALU_DEP_1)
	v_lshlrev_b32_e32 v12, v12, v13
	v_dual_cndmask_b32 v11, v64, v11 :: v_dual_and_b32 v12, 7, v12
	v_lshlrev_b32_e32 v65, 24, v13
	s_delay_alu instid0(VALU_DEP_2) | instskip(NEXT) | instid1(VALU_DEP_3)
	v_lshl_add_u32 v11, v11, 23, 0x3b800000
	v_cndmask_b32_e32 v10, v10, v12, vcc_lo
	s_delay_alu instid0(VALU_DEP_3) | instskip(NEXT) | instid1(VALU_DEP_2)
	v_and_b32_e32 v12, 0x80000000, v65
	v_lshlrev_b32_e32 v10, 20, v10
	s_delay_alu instid0(VALU_DEP_1)
	v_or3_b32 v10, v12, v11, v10
.LBB6_7635:                             ;   in Loop: Header=BB6_7478 Depth=2
	s_or_b32 exec_lo, exec_lo, s26
	s_delay_alu instid0(VALU_DEP_1) | instskip(SKIP_1) | instid1(VALU_DEP_1)
	v_dual_mul_f32 v10, s25, v10 :: v_dual_mov_b32 v65, 0x80
	s_mov_b32 s26, exec_lo
	v_and_b32_e32 v11, 0x7f800000, v10
	s_delay_alu instid0(VALU_DEP_1)
	v_cmpx_ne_u32_e32 0x7f800000, v11
	s_cbranch_execz .LBB6_7643
; %bb.7636:                             ;   in Loop: Header=BB6_7478 Depth=2
	v_mov_b32_e32 v65, 0
	s_mov_b32 s27, exec_lo
	v_cmpx_ne_u32_e32 0, v10
	s_cbranch_execz .LBB6_7642
; %bb.7637:                             ;   in Loop: Header=BB6_7478 Depth=2
	v_bfe_u32 v11, v10, 23, 8
	v_and_b32_e32 v12, 0x7fffff, v10
	s_delay_alu instid0(VALU_DEP_2) | instskip(SKIP_1) | instid1(VALU_DEP_3)
	v_sub_nc_u32_e32 v64, 0x78, v11
	v_cmp_gt_u32_e32 vcc_lo, 0x79, v11
	v_or_b32_e32 v65, 0x800000, v12
	s_delay_alu instid0(VALU_DEP_3) | instskip(SKIP_2) | instid1(VALU_DEP_3)
	v_cndmask_b32_e32 v64, 0, v64, vcc_lo
	v_cmp_eq_u32_e32 vcc_lo, 0, v11
	v_add_nc_u32_e32 v11, 0xffffff89, v11
	v_cndmask_b32_e64 v64, v64, 0x77, vcc_lo
	v_cndmask_b32_e32 v12, v65, v12, vcc_lo
	s_delay_alu instid0(VALU_DEP_3) | instskip(NEXT) | instid1(VALU_DEP_3)
	v_cndmask_b32_e64 v11, v11, 0xffffff8a, vcc_lo
	v_lshl_add_u32 v65, 0x100000, v64, -1
	s_delay_alu instid0(VALU_DEP_3) | instskip(SKIP_1) | instid1(VALU_DEP_4)
	v_lshrrev_b32_e32 v68, v64, v12
	v_lshlrev_b32_e64 v128, v64, 0x80000
	v_add_nc_u32_e32 v64, v64, v11
	s_delay_alu instid0(VALU_DEP_4) | instskip(NEXT) | instid1(VALU_DEP_4)
	v_and_b32_e32 v12, v65, v12
	v_bfe_u32 v112, v68, 20, 1
	s_delay_alu instid0(VALU_DEP_2) | instskip(NEXT) | instid1(VALU_DEP_2)
	v_cmp_eq_u32_e64 s10, v12, v128
	v_add_nc_u32_e32 v65, -1, v112
	s_delay_alu instid0(VALU_DEP_1) | instskip(SKIP_2) | instid1(VALU_DEP_2)
	v_cndmask_b32_e64 v12, 0, v65, s10
	v_lshrrev_b32_e32 v65, 23, v68
	s_mov_b32 s10, exec_lo
	v_add_nc_u32_e32 v12, v12, v68
	s_delay_alu instid0(VALU_DEP_2) | instskip(NEXT) | instid1(VALU_DEP_2)
	v_xor_b32_e32 v65, 1, v65
	v_and_b32_e32 v11, 0xfffff, v12
	s_delay_alu instid0(VALU_DEP_1) | instskip(NEXT) | instid1(VALU_DEP_3)
	v_add_nc_u32_e32 v12, v11, v68
                                        ; implicit-def: $vgpr11
	v_cmpx_ne_u32_e64 v64, v65
	s_xor_b32 s10, exec_lo, s10
; %bb.7638:                             ;   in Loop: Header=BB6_7478 Depth=2
	s_delay_alu instid0(VALU_DEP_2) | instskip(SKIP_2) | instid1(VALU_DEP_2)
	v_cmp_lt_u32_e32 vcc_lo, 0xffffff, v12
	v_sub_nc_u32_e32 v11, v64, v65
	v_cndmask_b32_e64 v64, 0, 1, vcc_lo
	v_add_co_ci_u32_e32 v11, vcc_lo, 0, v11, vcc_lo
	s_delay_alu instid0(VALU_DEP_2)
	v_lshrrev_b32_e32 v12, v64, v12
; %bb.7639:                             ;   in Loop: Header=BB6_7478 Depth=2
	s_and_not1_saveexec_b32 s10, s10
; %bb.7640:                             ;   in Loop: Header=BB6_7478 Depth=2
	s_delay_alu instid0(VALU_DEP_1)
	v_bfe_u32 v11, v12, 23, 1
; %bb.7641:                             ;   in Loop: Header=BB6_7478 Depth=2
	s_or_b32 exec_lo, exec_lo, s10
	v_lshrrev_b32_e32 v12, 20, v12
	s_delay_alu instid0(VALU_DEP_2) | instskip(SKIP_2) | instid1(VALU_DEP_3)
	v_min_i32_e32 v64, 15, v11
	v_cmp_gt_i32_e32 vcc_lo, 16, v11
	v_lshrrev_b32_e32 v10, 24, v10
	v_lshlrev_b32_e32 v64, 3, v64
	v_cndmask_b32_e32 v12, 7, v12, vcc_lo
	s_delay_alu instid0(VALU_DEP_3) | instskip(NEXT) | instid1(VALU_DEP_3)
	v_and_b32_e32 v10, 0x80, v10
	v_and_b32_e32 v64, 0xf8, v64
	s_delay_alu instid0(VALU_DEP_3) | instskip(SKIP_1) | instid1(VALU_DEP_2)
	v_and_b32_e32 v65, 7, v12
	v_or_b32_e32 v11, v11, v12
	v_or3_b32 v10, v64, v10, v65
	s_delay_alu instid0(VALU_DEP_2) | instskip(NEXT) | instid1(VALU_DEP_2)
	v_cmp_ne_u32_e32 vcc_lo, 0, v11
	v_cndmask_b32_e32 v65, 0, v10, vcc_lo
.LBB6_7642:                             ;   in Loop: Header=BB6_7478 Depth=2
	s_or_b32 exec_lo, exec_lo, s27
.LBB6_7643:                             ;   in Loop: Header=BB6_7478 Depth=2
	s_delay_alu instid0(SALU_CYCLE_1) | instskip(SKIP_3) | instid1(VALU_DEP_1)
	s_or_b32 exec_lo, exec_lo, s26
	v_lshrrev_b16 v10, 8, v13
	s_mov_b32 s10, 0
	s_mov_b32 s27, exec_lo
                                        ; implicit-def: $sgpr26
	v_cmpx_lt_i16_e32 0x7f, v10
	s_xor_b32 s27, exec_lo, s27
	s_cbranch_execnz .LBB6_7985
; %bb.7644:                             ;   in Loop: Header=BB6_7478 Depth=2
	s_or_saveexec_b32 s27, s27
	v_mov_b32_e32 v11, s26
	s_xor_b32 exec_lo, exec_lo, s27
	s_cbranch_execnz .LBB6_7988
.LBB6_7645:                             ;   in Loop: Header=BB6_7478 Depth=2
	s_or_b32 exec_lo, exec_lo, s27
	s_and_saveexec_b32 s26, s10
	s_cbranch_execz .LBB6_7647
.LBB6_7646:                             ;   in Loop: Header=BB6_7478 Depth=2
	v_and_b32_e32 v11, 0xffff, v10
	v_lshlrev_b32_e32 v10, 24, v10
	s_delay_alu instid0(VALU_DEP_2) | instskip(NEXT) | instid1(VALU_DEP_2)
	v_and_b32_e32 v12, 7, v11
	v_and_b32_e32 v10, 0x80000000, v10
	s_delay_alu instid0(VALU_DEP_2) | instskip(NEXT) | instid1(VALU_DEP_1)
	v_clz_i32_u32_e32 v64, v12
	v_min_u32_e32 v64, 32, v64
	s_delay_alu instid0(VALU_DEP_1) | instskip(SKIP_1) | instid1(VALU_DEP_2)
	v_subrev_nc_u32_e32 v68, 28, v64
	v_sub_nc_u32_e32 v64, 29, v64
	v_lshlrev_b32_e32 v68, v68, v11
	v_bfe_u32 v11, v11, 3, 4
	s_delay_alu instid0(VALU_DEP_2) | instskip(NEXT) | instid1(VALU_DEP_2)
	v_and_b32_e32 v68, 7, v68
	v_cmp_eq_u32_e32 vcc_lo, 0, v11
	v_cndmask_b32_e32 v11, v11, v64, vcc_lo
	s_delay_alu instid0(VALU_DEP_3) | instskip(NEXT) | instid1(VALU_DEP_2)
	v_cndmask_b32_e32 v12, v12, v68, vcc_lo
	v_lshl_add_u32 v11, v11, 23, 0x3b800000
	s_delay_alu instid0(VALU_DEP_2) | instskip(NEXT) | instid1(VALU_DEP_1)
	v_lshlrev_b32_e32 v12, 20, v12
	v_or3_b32 v11, v10, v11, v12
.LBB6_7647:                             ;   in Loop: Header=BB6_7478 Depth=2
	s_or_b32 exec_lo, exec_lo, s26
	s_delay_alu instid0(VALU_DEP_1) | instskip(SKIP_2) | instid1(VALU_DEP_2)
	v_mul_f32_e32 v10, s25, v11
	v_mov_b32_e32 v112, 0x8000
	s_mov_b32 s26, exec_lo
	v_and_b32_e32 v11, 0x7f800000, v10
	s_delay_alu instid0(VALU_DEP_1)
	v_cmpx_ne_u32_e32 0x7f800000, v11
	s_cbranch_execz .LBB6_7655
; %bb.7648:                             ;   in Loop: Header=BB6_7478 Depth=2
	v_mov_b32_e32 v112, 0
	s_mov_b32 s27, exec_lo
	v_cmpx_ne_u32_e32 0, v10
	s_cbranch_execz .LBB6_7654
; %bb.7649:                             ;   in Loop: Header=BB6_7478 Depth=2
	v_bfe_u32 v11, v10, 23, 8
	v_and_b32_e32 v12, 0x7fffff, v10
	s_delay_alu instid0(VALU_DEP_2) | instskip(SKIP_1) | instid1(VALU_DEP_3)
	v_sub_nc_u32_e32 v64, 0x78, v11
	v_cmp_gt_u32_e32 vcc_lo, 0x79, v11
	v_or_b32_e32 v68, 0x800000, v12
	s_delay_alu instid0(VALU_DEP_3) | instskip(SKIP_2) | instid1(VALU_DEP_3)
	v_cndmask_b32_e32 v64, 0, v64, vcc_lo
	v_cmp_eq_u32_e32 vcc_lo, 0, v11
	v_add_nc_u32_e32 v11, 0xffffff89, v11
	v_cndmask_b32_e64 v64, v64, 0x77, vcc_lo
	v_cndmask_b32_e32 v12, v68, v12, vcc_lo
	s_delay_alu instid0(VALU_DEP_3) | instskip(NEXT) | instid1(VALU_DEP_3)
	v_cndmask_b32_e64 v11, v11, 0xffffff8a, vcc_lo
	v_lshl_add_u32 v68, 0x100000, v64, -1
	s_delay_alu instid0(VALU_DEP_3) | instskip(SKIP_1) | instid1(VALU_DEP_4)
	v_lshrrev_b32_e32 v112, v64, v12
	v_lshlrev_b32_e64 v129, v64, 0x80000
	v_add_nc_u32_e32 v64, v64, v11
	s_delay_alu instid0(VALU_DEP_4) | instskip(NEXT) | instid1(VALU_DEP_4)
	v_and_b32_e32 v12, v68, v12
	v_bfe_u32 v128, v112, 20, 1
	s_delay_alu instid0(VALU_DEP_2) | instskip(NEXT) | instid1(VALU_DEP_2)
	v_cmp_eq_u32_e64 s10, v12, v129
	v_add_nc_u32_e32 v68, -1, v128
	s_delay_alu instid0(VALU_DEP_1) | instskip(SKIP_2) | instid1(VALU_DEP_2)
	v_cndmask_b32_e64 v12, 0, v68, s10
	v_lshrrev_b32_e32 v68, 23, v112
	s_mov_b32 s10, exec_lo
	v_add_nc_u32_e32 v12, v12, v112
	s_delay_alu instid0(VALU_DEP_2) | instskip(NEXT) | instid1(VALU_DEP_2)
	v_xor_b32_e32 v68, 1, v68
	v_and_b32_e32 v11, 0xfffff, v12
	s_delay_alu instid0(VALU_DEP_1) | instskip(NEXT) | instid1(VALU_DEP_3)
	v_add_nc_u32_e32 v12, v11, v112
                                        ; implicit-def: $vgpr11
	v_cmpx_ne_u32_e64 v64, v68
	s_xor_b32 s10, exec_lo, s10
; %bb.7650:                             ;   in Loop: Header=BB6_7478 Depth=2
	s_delay_alu instid0(VALU_DEP_2) | instskip(SKIP_2) | instid1(VALU_DEP_2)
	v_cmp_lt_u32_e32 vcc_lo, 0xffffff, v12
	v_sub_nc_u32_e32 v11, v64, v68
	v_cndmask_b32_e64 v64, 0, 1, vcc_lo
	v_add_co_ci_u32_e32 v11, vcc_lo, 0, v11, vcc_lo
	s_delay_alu instid0(VALU_DEP_2)
	v_lshrrev_b32_e32 v12, v64, v12
; %bb.7651:                             ;   in Loop: Header=BB6_7478 Depth=2
	s_and_not1_saveexec_b32 s10, s10
; %bb.7652:                             ;   in Loop: Header=BB6_7478 Depth=2
	s_delay_alu instid0(VALU_DEP_1)
	v_bfe_u32 v11, v12, 23, 1
; %bb.7653:                             ;   in Loop: Header=BB6_7478 Depth=2
	s_or_b32 exec_lo, exec_lo, s10
	v_lshrrev_b32_e32 v12, 20, v12
	s_delay_alu instid0(VALU_DEP_2) | instskip(SKIP_2) | instid1(VALU_DEP_3)
	v_min_i32_e32 v64, 15, v11
	v_cmp_gt_i32_e32 vcc_lo, 16, v11
	v_lshrrev_b32_e32 v10, 24, v10
	v_lshlrev_b32_e32 v64, 3, v64
	v_cndmask_b32_e32 v12, 7, v12, vcc_lo
	s_delay_alu instid0(VALU_DEP_3) | instskip(NEXT) | instid1(VALU_DEP_3)
	v_and_b32_e32 v10, 0x80, v10
	v_and_b32_e32 v64, 0xf8, v64
	s_delay_alu instid0(VALU_DEP_3) | instskip(SKIP_1) | instid1(VALU_DEP_2)
	v_and_b32_e32 v68, 7, v12
	v_or_b32_e32 v11, v11, v12
	v_or3_b32 v10, v10, v64, v68
	s_delay_alu instid0(VALU_DEP_2) | instskip(NEXT) | instid1(VALU_DEP_2)
	v_cmp_ne_u32_e32 vcc_lo, 0, v11
	v_lshlrev_b32_e32 v10, 8, v10
	s_delay_alu instid0(VALU_DEP_1)
	v_cndmask_b32_e32 v112, 0, v10, vcc_lo
.LBB6_7654:                             ;   in Loop: Header=BB6_7478 Depth=2
	s_or_b32 exec_lo, exec_lo, s27
.LBB6_7655:                             ;   in Loop: Header=BB6_7478 Depth=2
	s_delay_alu instid0(SALU_CYCLE_1) | instskip(SKIP_3) | instid1(VALU_DEP_1)
	s_or_b32 exec_lo, exec_lo, s26
	v_lshrrev_b32_e32 v10, 16, v13
	s_mov_b32 s10, 0
	s_mov_b32 s27, exec_lo
                                        ; implicit-def: $sgpr26
	v_and_b32_e32 v12, 0xff, v10
	s_delay_alu instid0(VALU_DEP_1)
	v_cmpx_lt_i16_e32 0x7f, v12
	s_xor_b32 s27, exec_lo, s27
	s_cbranch_execnz .LBB6_7989
; %bb.7656:                             ;   in Loop: Header=BB6_7478 Depth=2
	s_or_saveexec_b32 s27, s27
	v_mov_b32_e32 v11, s26
	s_xor_b32 exec_lo, exec_lo, s27
	s_cbranch_execnz .LBB6_7992
.LBB6_7657:                             ;   in Loop: Header=BB6_7478 Depth=2
	s_or_b32 exec_lo, exec_lo, s27
	s_and_saveexec_b32 s26, s10
	s_cbranch_execz .LBB6_7659
.LBB6_7658:                             ;   in Loop: Header=BB6_7478 Depth=2
	v_bfe_u32 v11, v13, 16, 3
	v_lshlrev_b32_e32 v68, 8, v13
	s_delay_alu instid0(VALU_DEP_2) | instskip(NEXT) | instid1(VALU_DEP_1)
	v_clz_i32_u32_e32 v12, v11
	v_min_u32_e32 v12, 32, v12
	s_delay_alu instid0(VALU_DEP_1) | instskip(SKIP_1) | instid1(VALU_DEP_2)
	v_subrev_nc_u32_e32 v64, 28, v12
	v_sub_nc_u32_e32 v12, 29, v12
	v_lshlrev_b32_e32 v10, v64, v10
	v_bfe_u32 v64, v13, 19, 4
	s_delay_alu instid0(VALU_DEP_2) | instskip(NEXT) | instid1(VALU_DEP_2)
	v_and_b32_e32 v10, 7, v10
	v_cmp_eq_u32_e32 vcc_lo, 0, v64
	v_cndmask_b32_e32 v12, v64, v12, vcc_lo
	s_delay_alu instid0(VALU_DEP_3) | instskip(NEXT) | instid1(VALU_DEP_2)
	v_dual_cndmask_b32 v10, v11, v10 :: v_dual_and_b32 v11, 0x80000000, v68
	v_lshl_add_u32 v12, v12, 23, 0x3b800000
	s_delay_alu instid0(VALU_DEP_2) | instskip(NEXT) | instid1(VALU_DEP_1)
	v_lshlrev_b32_e32 v10, 20, v10
	v_or3_b32 v11, v11, v12, v10
.LBB6_7659:                             ;   in Loop: Header=BB6_7478 Depth=2
	s_or_b32 exec_lo, exec_lo, s26
	s_delay_alu instid0(VALU_DEP_1) | instskip(SKIP_2) | instid1(VALU_DEP_2)
	v_mul_f32_e32 v10, s25, v11
	v_mov_b32_e32 v64, 0x80
	s_mov_b32 s26, exec_lo
	v_and_b32_e32 v11, 0x7f800000, v10
	s_delay_alu instid0(VALU_DEP_1)
	v_cmpx_ne_u32_e32 0x7f800000, v11
	s_cbranch_execz .LBB6_7667
; %bb.7660:                             ;   in Loop: Header=BB6_7478 Depth=2
	v_mov_b32_e32 v64, 0
	s_mov_b32 s27, exec_lo
	v_cmpx_ne_u32_e32 0, v10
	s_cbranch_execz .LBB6_7666
; %bb.7661:                             ;   in Loop: Header=BB6_7478 Depth=2
	v_bfe_u32 v11, v10, 23, 8
	v_and_b32_e32 v12, 0x7fffff, v10
	s_delay_alu instid0(VALU_DEP_2) | instskip(SKIP_1) | instid1(VALU_DEP_3)
	v_sub_nc_u32_e32 v64, 0x78, v11
	v_cmp_gt_u32_e32 vcc_lo, 0x79, v11
	v_or_b32_e32 v68, 0x800000, v12
	s_delay_alu instid0(VALU_DEP_3) | instskip(SKIP_2) | instid1(VALU_DEP_3)
	v_cndmask_b32_e32 v64, 0, v64, vcc_lo
	v_cmp_eq_u32_e32 vcc_lo, 0, v11
	v_add_nc_u32_e32 v11, 0xffffff89, v11
	v_cndmask_b32_e64 v64, v64, 0x77, vcc_lo
	v_cndmask_b32_e32 v12, v68, v12, vcc_lo
	s_delay_alu instid0(VALU_DEP_3) | instskip(NEXT) | instid1(VALU_DEP_3)
	v_cndmask_b32_e64 v11, v11, 0xffffff8a, vcc_lo
	v_lshl_add_u32 v68, 0x100000, v64, -1
	s_delay_alu instid0(VALU_DEP_3) | instskip(SKIP_1) | instid1(VALU_DEP_4)
	v_lshrrev_b32_e32 v128, v64, v12
	v_lshlrev_b32_e64 v130, v64, 0x80000
	v_add_nc_u32_e32 v64, v64, v11
	s_delay_alu instid0(VALU_DEP_4) | instskip(NEXT) | instid1(VALU_DEP_4)
	v_and_b32_e32 v12, v68, v12
	v_bfe_u32 v129, v128, 20, 1
	s_delay_alu instid0(VALU_DEP_2) | instskip(NEXT) | instid1(VALU_DEP_2)
	v_cmp_eq_u32_e64 s10, v12, v130
	v_add_nc_u32_e32 v68, -1, v129
	s_delay_alu instid0(VALU_DEP_1) | instskip(SKIP_2) | instid1(VALU_DEP_2)
	v_cndmask_b32_e64 v12, 0, v68, s10
	v_lshrrev_b32_e32 v68, 23, v128
	s_mov_b32 s10, exec_lo
	v_add_nc_u32_e32 v12, v12, v128
	s_delay_alu instid0(VALU_DEP_2) | instskip(NEXT) | instid1(VALU_DEP_2)
	v_xor_b32_e32 v68, 1, v68
	v_and_b32_e32 v11, 0xfffff, v12
	s_delay_alu instid0(VALU_DEP_1) | instskip(NEXT) | instid1(VALU_DEP_3)
	v_add_nc_u32_e32 v12, v11, v128
                                        ; implicit-def: $vgpr11
	v_cmpx_ne_u32_e64 v64, v68
	s_xor_b32 s10, exec_lo, s10
; %bb.7662:                             ;   in Loop: Header=BB6_7478 Depth=2
	s_delay_alu instid0(VALU_DEP_2) | instskip(SKIP_2) | instid1(VALU_DEP_2)
	v_cmp_lt_u32_e32 vcc_lo, 0xffffff, v12
	v_sub_nc_u32_e32 v11, v64, v68
	v_cndmask_b32_e64 v64, 0, 1, vcc_lo
	v_add_co_ci_u32_e32 v11, vcc_lo, 0, v11, vcc_lo
	s_delay_alu instid0(VALU_DEP_2)
	v_lshrrev_b32_e32 v12, v64, v12
; %bb.7663:                             ;   in Loop: Header=BB6_7478 Depth=2
	s_and_not1_saveexec_b32 s10, s10
; %bb.7664:                             ;   in Loop: Header=BB6_7478 Depth=2
	s_delay_alu instid0(VALU_DEP_1)
	v_bfe_u32 v11, v12, 23, 1
; %bb.7665:                             ;   in Loop: Header=BB6_7478 Depth=2
	s_or_b32 exec_lo, exec_lo, s10
	v_lshrrev_b32_e32 v12, 20, v12
	s_delay_alu instid0(VALU_DEP_2) | instskip(SKIP_2) | instid1(VALU_DEP_3)
	v_min_i32_e32 v64, 15, v11
	v_cmp_gt_i32_e32 vcc_lo, 16, v11
	v_lshrrev_b32_e32 v10, 24, v10
	v_lshlrev_b32_e32 v64, 3, v64
	v_cndmask_b32_e32 v12, 7, v12, vcc_lo
	s_delay_alu instid0(VALU_DEP_3) | instskip(NEXT) | instid1(VALU_DEP_3)
	v_and_b32_e32 v10, 0x80, v10
	v_and_b32_e32 v64, 0xf8, v64
	s_delay_alu instid0(VALU_DEP_3) | instskip(SKIP_1) | instid1(VALU_DEP_2)
	v_and_b32_e32 v68, 7, v12
	v_or_b32_e32 v11, v11, v12
	v_or3_b32 v10, v64, v10, v68
	s_delay_alu instid0(VALU_DEP_2) | instskip(NEXT) | instid1(VALU_DEP_2)
	v_cmp_ne_u32_e32 vcc_lo, 0, v11
	v_cndmask_b32_e32 v64, 0, v10, vcc_lo
.LBB6_7666:                             ;   in Loop: Header=BB6_7478 Depth=2
	s_or_b32 exec_lo, exec_lo, s27
.LBB6_7667:                             ;   in Loop: Header=BB6_7478 Depth=2
	s_delay_alu instid0(SALU_CYCLE_1) | instskip(SKIP_3) | instid1(VALU_DEP_1)
	s_or_b32 exec_lo, exec_lo, s26
	v_lshrrev_b32_e32 v10, 24, v13
	s_mov_b32 s10, 0
	s_mov_b32 s27, exec_lo
                                        ; implicit-def: $sgpr26
	v_cmpx_lt_i16_e32 0x7f, v10
	s_xor_b32 s27, exec_lo, s27
	s_cbranch_execnz .LBB6_7993
; %bb.7668:                             ;   in Loop: Header=BB6_7478 Depth=2
	s_or_saveexec_b32 s27, s27
	v_mov_b32_e32 v11, s26
	s_xor_b32 exec_lo, exec_lo, s27
	s_cbranch_execnz .LBB6_7996
.LBB6_7669:                             ;   in Loop: Header=BB6_7478 Depth=2
	s_or_b32 exec_lo, exec_lo, s27
	s_and_saveexec_b32 s26, s10
	s_cbranch_execz .LBB6_7671
.LBB6_7670:                             ;   in Loop: Header=BB6_7478 Depth=2
	v_bfe_u32 v11, v13, 24, 3
	s_delay_alu instid0(VALU_DEP_1) | instskip(NEXT) | instid1(VALU_DEP_1)
	v_clz_i32_u32_e32 v12, v11
	v_min_u32_e32 v12, 32, v12
	s_delay_alu instid0(VALU_DEP_1) | instskip(SKIP_1) | instid1(VALU_DEP_2)
	v_subrev_nc_u32_e32 v68, 28, v12
	v_sub_nc_u32_e32 v12, 29, v12
	v_lshlrev_b32_e32 v10, v68, v10
	v_bfe_u32 v68, v13, 27, 4
	s_delay_alu instid0(VALU_DEP_2) | instskip(NEXT) | instid1(VALU_DEP_2)
	v_and_b32_e32 v10, 7, v10
	v_cmp_eq_u32_e32 vcc_lo, 0, v68
	v_cndmask_b32_e32 v12, v68, v12, vcc_lo
	s_delay_alu instid0(VALU_DEP_3) | instskip(NEXT) | instid1(VALU_DEP_2)
	v_dual_cndmask_b32 v10, v11, v10 :: v_dual_and_b32 v11, 0x80000000, v13
	v_lshl_add_u32 v12, v12, 23, 0x3b800000
	s_delay_alu instid0(VALU_DEP_2) | instskip(NEXT) | instid1(VALU_DEP_1)
	v_lshlrev_b32_e32 v10, 20, v10
	v_or3_b32 v11, v11, v12, v10
.LBB6_7671:                             ;   in Loop: Header=BB6_7478 Depth=2
	s_or_b32 exec_lo, exec_lo, s26
	s_delay_alu instid0(VALU_DEP_1) | instskip(SKIP_2) | instid1(VALU_DEP_2)
	v_mul_f32_e32 v10, s25, v11
	v_mov_b32_e32 v68, 0x8000
	s_mov_b32 s25, exec_lo
	v_and_b32_e32 v11, 0x7f800000, v10
	s_delay_alu instid0(VALU_DEP_1)
	v_cmpx_ne_u32_e32 0x7f800000, v11
	s_cbranch_execz .LBB6_7679
; %bb.7672:                             ;   in Loop: Header=BB6_7478 Depth=2
	v_mov_b32_e32 v68, 0
	s_mov_b32 s26, exec_lo
	v_cmpx_ne_u32_e32 0, v10
	s_cbranch_execz .LBB6_7678
; %bb.7673:                             ;   in Loop: Header=BB6_7478 Depth=2
	v_bfe_u32 v11, v10, 23, 8
	s_delay_alu instid0(VALU_DEP_1) | instskip(SKIP_1) | instid1(VALU_DEP_2)
	v_sub_nc_u32_e32 v13, 0x78, v11
	v_cmp_gt_u32_e32 vcc_lo, 0x79, v11
	v_dual_cndmask_b32 v13, 0, v13 :: v_dual_and_b32 v12, 0x7fffff, v10
	s_delay_alu instid0(VALU_DEP_1) | instskip(SKIP_2) | instid1(VALU_DEP_4)
	v_or_b32_e32 v68, 0x800000, v12
	v_cmp_eq_u32_e32 vcc_lo, 0, v11
	v_add_nc_u32_e32 v11, 0xffffff89, v11
	v_cndmask_b32_e64 v13, v13, 0x77, vcc_lo
	s_delay_alu instid0(VALU_DEP_4) | instskip(NEXT) | instid1(VALU_DEP_3)
	v_cndmask_b32_e32 v12, v68, v12, vcc_lo
	v_cndmask_b32_e64 v11, v11, 0xffffff8a, vcc_lo
	s_delay_alu instid0(VALU_DEP_3) | instskip(NEXT) | instid1(VALU_DEP_3)
	v_lshl_add_u32 v68, 0x100000, v13, -1
	v_lshrrev_b32_e32 v128, v13, v12
	v_lshlrev_b32_e64 v130, v13, 0x80000
	s_delay_alu instid0(VALU_DEP_4) | instskip(NEXT) | instid1(VALU_DEP_4)
	v_add_nc_u32_e32 v13, v13, v11
	v_and_b32_e32 v12, v68, v12
	s_delay_alu instid0(VALU_DEP_4) | instskip(NEXT) | instid1(VALU_DEP_2)
	v_bfe_u32 v129, v128, 20, 1
	v_cmp_eq_u32_e64 s10, v12, v130
	s_delay_alu instid0(VALU_DEP_2) | instskip(NEXT) | instid1(VALU_DEP_1)
	v_add_nc_u32_e32 v68, -1, v129
	v_cndmask_b32_e64 v12, 0, v68, s10
	v_lshrrev_b32_e32 v68, 23, v128
	s_mov_b32 s10, exec_lo
	s_delay_alu instid0(VALU_DEP_2) | instskip(NEXT) | instid1(VALU_DEP_2)
	v_add_nc_u32_e32 v12, v12, v128
	v_xor_b32_e32 v68, 1, v68
	s_delay_alu instid0(VALU_DEP_2) | instskip(NEXT) | instid1(VALU_DEP_1)
	v_and_b32_e32 v11, 0xfffff, v12
	v_add_nc_u32_e32 v12, v11, v128
                                        ; implicit-def: $vgpr11
	s_delay_alu instid0(VALU_DEP_3)
	v_cmpx_ne_u32_e64 v13, v68
	s_xor_b32 s10, exec_lo, s10
; %bb.7674:                             ;   in Loop: Header=BB6_7478 Depth=2
	s_delay_alu instid0(VALU_DEP_2) | instskip(SKIP_2) | instid1(VALU_DEP_2)
	v_cmp_lt_u32_e32 vcc_lo, 0xffffff, v12
	v_sub_nc_u32_e32 v11, v13, v68
	v_cndmask_b32_e64 v13, 0, 1, vcc_lo
	v_add_co_ci_u32_e32 v11, vcc_lo, 0, v11, vcc_lo
	s_delay_alu instid0(VALU_DEP_2)
	v_lshrrev_b32_e32 v12, v13, v12
; %bb.7675:                             ;   in Loop: Header=BB6_7478 Depth=2
	s_and_not1_saveexec_b32 s10, s10
; %bb.7676:                             ;   in Loop: Header=BB6_7478 Depth=2
	s_delay_alu instid0(VALU_DEP_1)
	v_bfe_u32 v11, v12, 23, 1
; %bb.7677:                             ;   in Loop: Header=BB6_7478 Depth=2
	s_or_b32 exec_lo, exec_lo, s10
	v_lshrrev_b32_e32 v12, 20, v12
	s_delay_alu instid0(VALU_DEP_2) | instskip(SKIP_2) | instid1(VALU_DEP_2)
	v_cmp_gt_i32_e32 vcc_lo, 16, v11
	v_min_i32_e32 v13, 15, v11
	v_lshrrev_b32_e32 v10, 24, v10
	v_dual_cndmask_b32 v12, 7, v12 :: v_dual_lshlrev_b32 v13, 3, v13
	s_delay_alu instid0(VALU_DEP_2) | instskip(NEXT) | instid1(VALU_DEP_2)
	v_and_b32_e32 v10, 0x80, v10
	v_or_b32_e32 v11, v11, v12
	v_and_b32_e32 v68, 7, v12
	s_delay_alu instid0(VALU_DEP_2) | instskip(SKIP_1) | instid1(VALU_DEP_1)
	v_cmp_ne_u32_e32 vcc_lo, 0, v11
	v_and_b32_e32 v13, 0xf8, v13
	v_or3_b32 v10, v10, v13, v68
	s_delay_alu instid0(VALU_DEP_1) | instskip(NEXT) | instid1(VALU_DEP_1)
	v_lshlrev_b32_e32 v10, 8, v10
	v_cndmask_b32_e32 v68, 0, v10, vcc_lo
.LBB6_7678:                             ;   in Loop: Header=BB6_7478 Depth=2
	s_or_b32 exec_lo, exec_lo, s26
.LBB6_7679:                             ;   in Loop: Header=BB6_7478 Depth=2
	s_delay_alu instid0(SALU_CYCLE_1) | instskip(SKIP_4) | instid1(VALU_DEP_1)
	s_or_b32 exec_lo, exec_lo, s25
	global_load_b128 v[10:13], v[16:17], off slc dlc
	v_and_b32_e32 v129, 0xff, v25
	s_mov_b32 s10, 0
	s_mov_b32 s26, exec_lo
                                        ; implicit-def: $sgpr25
	v_cmpx_lt_i16_e64 0x7f, v129
	s_xor_b32 s26, exec_lo, s26
	s_cbranch_execnz .LBB6_7997
; %bb.7680:                             ;   in Loop: Header=BB6_7478 Depth=2
	s_or_saveexec_b32 s26, s26
	v_mov_b32_e32 v128, s25
	s_xor_b32 exec_lo, exec_lo, s26
	s_cbranch_execnz .LBB6_8000
.LBB6_7681:                             ;   in Loop: Header=BB6_7478 Depth=2
	s_or_b32 exec_lo, exec_lo, s26
	s_and_saveexec_b32 s25, s10
	s_cbranch_execz .LBB6_7683
.LBB6_7682:                             ;   in Loop: Header=BB6_7478 Depth=2
	v_and_b32_e32 v128, 7, v25
	v_bfe_u32 v131, v25, 3, 4
	s_delay_alu instid0(VALU_DEP_2) | instskip(NEXT) | instid1(VALU_DEP_2)
	v_clz_i32_u32_e32 v129, v128
	v_cmp_eq_u32_e32 vcc_lo, 0, v131
	s_delay_alu instid0(VALU_DEP_2) | instskip(NEXT) | instid1(VALU_DEP_1)
	v_min_u32_e32 v129, 32, v129
	v_subrev_nc_u32_e32 v130, 28, v129
	v_sub_nc_u32_e32 v129, 29, v129
	s_delay_alu instid0(VALU_DEP_2) | instskip(NEXT) | instid1(VALU_DEP_1)
	v_lshlrev_b32_e32 v130, v130, v25
	v_dual_cndmask_b32 v129, v131, v129 :: v_dual_and_b32 v130, 7, v130
	v_lshlrev_b32_e32 v25, 24, v25
	s_delay_alu instid0(VALU_DEP_2) | instskip(NEXT) | instid1(VALU_DEP_2)
	v_lshl_add_u32 v129, v129, 23, 0x3b800000
	v_dual_cndmask_b32 v128, v128, v130 :: v_dual_and_b32 v25, 0x80000000, v25
	s_delay_alu instid0(VALU_DEP_1) | instskip(NEXT) | instid1(VALU_DEP_1)
	v_lshlrev_b32_e32 v128, 20, v128
	v_or3_b32 v128, v25, v129, v128
.LBB6_7683:                             ;   in Loop: Header=BB6_7478 Depth=2
	s_or_b32 exec_lo, exec_lo, s25
	s_waitcnt vmcnt(0)
	v_and_b32_e32 v129, 0xff, v10
	s_mov_b32 s10, 0
	s_mov_b32 s26, exec_lo
                                        ; implicit-def: $sgpr25
	s_delay_alu instid0(VALU_DEP_1)
	v_cmpx_lt_i16_e64 0x7f, v129
	s_xor_b32 s26, exec_lo, s26
	s_cbranch_execnz .LBB6_8001
; %bb.7684:                             ;   in Loop: Header=BB6_7478 Depth=2
	s_or_saveexec_b32 s26, s26
	v_mov_b32_e32 v25, s25
	s_xor_b32 exec_lo, exec_lo, s26
	s_cbranch_execnz .LBB6_8004
.LBB6_7685:                             ;   in Loop: Header=BB6_7478 Depth=2
	s_or_b32 exec_lo, exec_lo, s26
	s_and_saveexec_b32 s25, s10
	s_cbranch_execz .LBB6_7687
.LBB6_7686:                             ;   in Loop: Header=BB6_7478 Depth=2
	v_and_b32_e32 v25, 7, v10
	v_bfe_u32 v131, v10, 3, 4
	v_lshlrev_b32_e32 v132, 24, v10
	s_delay_alu instid0(VALU_DEP_3) | instskip(NEXT) | instid1(VALU_DEP_3)
	v_clz_i32_u32_e32 v129, v25
	v_cmp_eq_u32_e32 vcc_lo, 0, v131
	s_delay_alu instid0(VALU_DEP_2) | instskip(NEXT) | instid1(VALU_DEP_1)
	v_min_u32_e32 v129, 32, v129
	v_subrev_nc_u32_e32 v130, 28, v129
	v_sub_nc_u32_e32 v129, 29, v129
	s_delay_alu instid0(VALU_DEP_1) | instskip(NEXT) | instid1(VALU_DEP_1)
	v_dual_cndmask_b32 v129, v131, v129 :: v_dual_lshlrev_b32 v130, v130, v10
	v_and_b32_e32 v130, 7, v130
	s_delay_alu instid0(VALU_DEP_2) | instskip(NEXT) | instid1(VALU_DEP_2)
	v_lshl_add_u32 v129, v129, 23, 0x3b800000
	v_dual_cndmask_b32 v25, v25, v130 :: v_dual_and_b32 v130, 0x80000000, v132
	s_delay_alu instid0(VALU_DEP_1) | instskip(NEXT) | instid1(VALU_DEP_1)
	v_lshlrev_b32_e32 v25, 20, v25
	v_or3_b32 v25, v130, v129, v25
.LBB6_7687:                             ;   in Loop: Header=BB6_7478 Depth=2
	s_or_b32 exec_lo, exec_lo, s25
	s_delay_alu instid0(VALU_DEP_1) | instskip(NEXT) | instid1(VALU_DEP_1)
	v_add_f32_e32 v128, v128, v25
	v_and_b32_e32 v25, 0x7f800000, v128
	s_delay_alu instid0(VALU_DEP_1)
	v_cmp_ne_u32_e32 vcc_lo, 0x7f800000, v25
	v_mov_b32_e32 v25, 0x80
	s_and_saveexec_b32 s25, vcc_lo
	s_cbranch_execz .LBB6_7695
; %bb.7688:                             ;   in Loop: Header=BB6_7478 Depth=2
	v_mov_b32_e32 v25, 0
	s_mov_b32 s26, exec_lo
	v_cmpx_ne_u32_e32 0, v128
	s_cbranch_execz .LBB6_7694
; %bb.7689:                             ;   in Loop: Header=BB6_7478 Depth=2
	v_bfe_u32 v25, v128, 23, 8
	s_delay_alu instid0(VALU_DEP_1) | instskip(SKIP_1) | instid1(VALU_DEP_2)
	v_sub_nc_u32_e32 v130, 0x78, v25
	v_cmp_gt_u32_e32 vcc_lo, 0x79, v25
	v_dual_cndmask_b32 v130, 0, v130 :: v_dual_and_b32 v129, 0x7fffff, v128
	s_delay_alu instid0(VALU_DEP_1) | instskip(SKIP_2) | instid1(VALU_DEP_4)
	v_or_b32_e32 v131, 0x800000, v129
	v_cmp_eq_u32_e32 vcc_lo, 0, v25
	v_add_nc_u32_e32 v25, 0xffffff89, v25
	v_cndmask_b32_e64 v130, v130, 0x77, vcc_lo
	s_delay_alu instid0(VALU_DEP_4) | instskip(NEXT) | instid1(VALU_DEP_3)
	v_cndmask_b32_e32 v129, v131, v129, vcc_lo
	v_cndmask_b32_e64 v25, v25, 0xffffff8a, vcc_lo
	s_delay_alu instid0(VALU_DEP_3) | instskip(NEXT) | instid1(VALU_DEP_3)
	v_lshl_add_u32 v131, 0x100000, v130, -1
	v_lshrrev_b32_e32 v132, v130, v129
	v_lshlrev_b32_e64 v134, v130, 0x80000
	s_delay_alu instid0(VALU_DEP_4) | instskip(NEXT) | instid1(VALU_DEP_4)
	v_add_nc_u32_e32 v130, v130, v25
	v_and_b32_e32 v129, v131, v129
	s_delay_alu instid0(VALU_DEP_4) | instskip(NEXT) | instid1(VALU_DEP_2)
	v_bfe_u32 v133, v132, 20, 1
	v_cmp_eq_u32_e64 s10, v129, v134
	s_delay_alu instid0(VALU_DEP_2) | instskip(NEXT) | instid1(VALU_DEP_1)
	v_add_nc_u32_e32 v131, -1, v133
	v_cndmask_b32_e64 v129, 0, v131, s10
	v_lshrrev_b32_e32 v131, 23, v132
	s_mov_b32 s10, exec_lo
	s_delay_alu instid0(VALU_DEP_2) | instskip(NEXT) | instid1(VALU_DEP_2)
	v_add_nc_u32_e32 v129, v129, v132
	v_xor_b32_e32 v131, 1, v131
	s_delay_alu instid0(VALU_DEP_2) | instskip(NEXT) | instid1(VALU_DEP_1)
	v_and_b32_e32 v25, 0xfffff, v129
	v_add_nc_u32_e32 v129, v25, v132
                                        ; implicit-def: $vgpr25
	s_delay_alu instid0(VALU_DEP_3)
	v_cmpx_ne_u32_e64 v130, v131
	s_xor_b32 s10, exec_lo, s10
; %bb.7690:                             ;   in Loop: Header=BB6_7478 Depth=2
	s_delay_alu instid0(VALU_DEP_2) | instskip(SKIP_2) | instid1(VALU_DEP_2)
	v_cmp_lt_u32_e32 vcc_lo, 0xffffff, v129
	v_sub_nc_u32_e32 v25, v130, v131
	v_cndmask_b32_e64 v130, 0, 1, vcc_lo
	v_add_co_ci_u32_e32 v25, vcc_lo, 0, v25, vcc_lo
	s_delay_alu instid0(VALU_DEP_2)
	v_lshrrev_b32_e32 v129, v130, v129
; %bb.7691:                             ;   in Loop: Header=BB6_7478 Depth=2
	s_and_not1_saveexec_b32 s10, s10
; %bb.7692:                             ;   in Loop: Header=BB6_7478 Depth=2
	s_delay_alu instid0(VALU_DEP_1)
	v_bfe_u32 v25, v129, 23, 1
; %bb.7693:                             ;   in Loop: Header=BB6_7478 Depth=2
	s_or_b32 exec_lo, exec_lo, s10
	v_lshrrev_b32_e32 v129, 20, v129
	s_delay_alu instid0(VALU_DEP_2) | instskip(SKIP_2) | instid1(VALU_DEP_2)
	v_cmp_gt_i32_e32 vcc_lo, 16, v25
	v_lshrrev_b32_e32 v128, 24, v128
	v_min_i32_e32 v130, 15, v25
	v_dual_cndmask_b32 v129, 7, v129 :: v_dual_and_b32 v128, 0x80, v128
	s_delay_alu instid0(VALU_DEP_1) | instskip(SKIP_1) | instid1(VALU_DEP_2)
	v_or_b32_e32 v25, v25, v129
	v_and_b32_e32 v131, 7, v129
	v_cmp_ne_u32_e32 vcc_lo, 0, v25
	v_lshlrev_b32_e32 v130, 3, v130
	s_delay_alu instid0(VALU_DEP_1) | instskip(NEXT) | instid1(VALU_DEP_1)
	v_or3_b32 v128, v130, v128, v131
	v_cndmask_b32_e32 v25, 0, v128, vcc_lo
.LBB6_7694:                             ;   in Loop: Header=BB6_7478 Depth=2
	s_or_b32 exec_lo, exec_lo, s26
.LBB6_7695:                             ;   in Loop: Header=BB6_7478 Depth=2
	s_delay_alu instid0(SALU_CYCLE_1) | instskip(SKIP_3) | instid1(VALU_DEP_1)
	s_or_b32 exec_lo, exec_lo, s25
	v_and_b32_e32 v129, 0xff, v67
	s_mov_b32 s10, 0
	s_mov_b32 s26, exec_lo
                                        ; implicit-def: $sgpr25
	v_cmpx_lt_i16_e64 0x7f, v129
	s_xor_b32 s26, exec_lo, s26
	s_cbranch_execnz .LBB6_8005
; %bb.7696:                             ;   in Loop: Header=BB6_7478 Depth=2
	s_or_saveexec_b32 s26, s26
	v_mov_b32_e32 v128, s25
	s_xor_b32 exec_lo, exec_lo, s26
	s_cbranch_execnz .LBB6_8008
.LBB6_7697:                             ;   in Loop: Header=BB6_7478 Depth=2
	s_or_b32 exec_lo, exec_lo, s26
	s_and_saveexec_b32 s25, s10
	s_cbranch_execz .LBB6_7699
.LBB6_7698:                             ;   in Loop: Header=BB6_7478 Depth=2
	v_bfe_u32 v131, v67, 3, 4
	s_delay_alu instid0(VALU_DEP_1) | instskip(SKIP_1) | instid1(VALU_DEP_1)
	v_cmp_eq_u32_e32 vcc_lo, 0, v131
	v_and_b32_e32 v128, 7, v67
	v_clz_i32_u32_e32 v129, v128
	s_delay_alu instid0(VALU_DEP_1) | instskip(NEXT) | instid1(VALU_DEP_1)
	v_min_u32_e32 v129, 32, v129
	v_subrev_nc_u32_e32 v130, 28, v129
	v_sub_nc_u32_e32 v129, 29, v129
	s_delay_alu instid0(VALU_DEP_1) | instskip(NEXT) | instid1(VALU_DEP_1)
	v_dual_cndmask_b32 v129, v131, v129 :: v_dual_lshlrev_b32 v130, v130, v67
	v_and_b32_e32 v130, 7, v130
	v_lshlrev_b32_e32 v67, 24, v67
	s_delay_alu instid0(VALU_DEP_3) | instskip(NEXT) | instid1(VALU_DEP_2)
	v_lshl_add_u32 v129, v129, 23, 0x3b800000
	v_dual_cndmask_b32 v128, v128, v130 :: v_dual_and_b32 v67, 0x80000000, v67
	s_delay_alu instid0(VALU_DEP_1) | instskip(NEXT) | instid1(VALU_DEP_1)
	v_lshlrev_b32_e32 v128, 20, v128
	v_or3_b32 v128, v67, v129, v128
.LBB6_7699:                             ;   in Loop: Header=BB6_7478 Depth=2
	s_or_b32 exec_lo, exec_lo, s25
	v_lshrrev_b16 v67, 8, v10
	s_mov_b32 s10, 0
	s_mov_b32 s26, exec_lo
                                        ; implicit-def: $sgpr25
	s_delay_alu instid0(VALU_DEP_1)
	v_cmpx_lt_i16_e32 0x7f, v67
	s_xor_b32 s26, exec_lo, s26
	s_cbranch_execnz .LBB6_8009
; %bb.7700:                             ;   in Loop: Header=BB6_7478 Depth=2
	s_or_saveexec_b32 s26, s26
	v_mov_b32_e32 v129, s25
	s_xor_b32 exec_lo, exec_lo, s26
	s_cbranch_execnz .LBB6_8012
.LBB6_7701:                             ;   in Loop: Header=BB6_7478 Depth=2
	s_or_b32 exec_lo, exec_lo, s26
	s_and_saveexec_b32 s25, s10
	s_cbranch_execz .LBB6_7703
.LBB6_7702:                             ;   in Loop: Header=BB6_7478 Depth=2
	v_and_b32_e32 v129, 0xffff, v67
	v_lshlrev_b32_e32 v67, 24, v67
	s_delay_alu instid0(VALU_DEP_2) | instskip(NEXT) | instid1(VALU_DEP_2)
	v_and_b32_e32 v130, 7, v129
	v_and_b32_e32 v67, 0x80000000, v67
	s_delay_alu instid0(VALU_DEP_2) | instskip(NEXT) | instid1(VALU_DEP_1)
	v_clz_i32_u32_e32 v131, v130
	v_min_u32_e32 v131, 32, v131
	s_delay_alu instid0(VALU_DEP_1) | instskip(SKIP_1) | instid1(VALU_DEP_2)
	v_subrev_nc_u32_e32 v132, 28, v131
	v_sub_nc_u32_e32 v131, 29, v131
	v_lshlrev_b32_e32 v132, v132, v129
	v_bfe_u32 v129, v129, 3, 4
	s_delay_alu instid0(VALU_DEP_2) | instskip(NEXT) | instid1(VALU_DEP_2)
	v_and_b32_e32 v132, 7, v132
	v_cmp_eq_u32_e32 vcc_lo, 0, v129
	s_delay_alu instid0(VALU_DEP_2) | instskip(NEXT) | instid1(VALU_DEP_1)
	v_dual_cndmask_b32 v129, v129, v131 :: v_dual_cndmask_b32 v130, v130, v132
	v_lshl_add_u32 v129, v129, 23, 0x3b800000
	s_delay_alu instid0(VALU_DEP_2) | instskip(NEXT) | instid1(VALU_DEP_1)
	v_lshlrev_b32_e32 v130, 20, v130
	v_or3_b32 v129, v67, v129, v130
.LBB6_7703:                             ;   in Loop: Header=BB6_7478 Depth=2
	s_or_b32 exec_lo, exec_lo, s25
	s_delay_alu instid0(VALU_DEP_1) | instskip(NEXT) | instid1(VALU_DEP_1)
	v_add_f32_e32 v128, v128, v129
	v_and_b32_e32 v67, 0x7f800000, v128
	s_delay_alu instid0(VALU_DEP_1)
	v_cmp_ne_u32_e32 vcc_lo, 0x7f800000, v67
	v_mov_b32_e32 v67, 0x80
	s_and_saveexec_b32 s25, vcc_lo
	s_cbranch_execz .LBB6_7711
; %bb.7704:                             ;   in Loop: Header=BB6_7478 Depth=2
	v_mov_b32_e32 v67, 0
	s_mov_b32 s26, exec_lo
	v_cmpx_ne_u32_e32 0, v128
	s_cbranch_execz .LBB6_7710
; %bb.7705:                             ;   in Loop: Header=BB6_7478 Depth=2
	v_bfe_u32 v67, v128, 23, 8
	s_delay_alu instid0(VALU_DEP_1) | instskip(SKIP_1) | instid1(VALU_DEP_2)
	v_sub_nc_u32_e32 v130, 0x78, v67
	v_cmp_gt_u32_e32 vcc_lo, 0x79, v67
	v_dual_cndmask_b32 v130, 0, v130 :: v_dual_and_b32 v129, 0x7fffff, v128
	s_delay_alu instid0(VALU_DEP_1) | instskip(SKIP_2) | instid1(VALU_DEP_4)
	v_or_b32_e32 v131, 0x800000, v129
	v_cmp_eq_u32_e32 vcc_lo, 0, v67
	v_add_nc_u32_e32 v67, 0xffffff89, v67
	v_cndmask_b32_e64 v130, v130, 0x77, vcc_lo
	s_delay_alu instid0(VALU_DEP_2) | instskip(SKIP_1) | instid1(VALU_DEP_3)
	v_cndmask_b32_e64 v67, v67, 0xffffff8a, vcc_lo
	v_cndmask_b32_e32 v129, v131, v129, vcc_lo
	v_lshl_add_u32 v131, 0x100000, v130, -1
	v_lshlrev_b32_e64 v134, v130, 0x80000
	s_delay_alu instid0(VALU_DEP_3) | instskip(SKIP_1) | instid1(VALU_DEP_4)
	v_lshrrev_b32_e32 v132, v130, v129
	v_add_nc_u32_e32 v130, v130, v67
	v_and_b32_e32 v129, v131, v129
	s_delay_alu instid0(VALU_DEP_3) | instskip(NEXT) | instid1(VALU_DEP_2)
	v_bfe_u32 v133, v132, 20, 1
	v_cmp_eq_u32_e64 s10, v129, v134
	s_delay_alu instid0(VALU_DEP_2) | instskip(NEXT) | instid1(VALU_DEP_1)
	v_add_nc_u32_e32 v131, -1, v133
	v_cndmask_b32_e64 v129, 0, v131, s10
	v_lshrrev_b32_e32 v131, 23, v132
	s_mov_b32 s10, exec_lo
	s_delay_alu instid0(VALU_DEP_2) | instskip(NEXT) | instid1(VALU_DEP_2)
	v_add_nc_u32_e32 v129, v129, v132
	v_xor_b32_e32 v131, 1, v131
	s_delay_alu instid0(VALU_DEP_2) | instskip(NEXT) | instid1(VALU_DEP_1)
	v_and_b32_e32 v67, 0xfffff, v129
	v_add_nc_u32_e32 v129, v67, v132
                                        ; implicit-def: $vgpr67
	s_delay_alu instid0(VALU_DEP_3)
	v_cmpx_ne_u32_e64 v130, v131
	s_xor_b32 s10, exec_lo, s10
; %bb.7706:                             ;   in Loop: Header=BB6_7478 Depth=2
	s_delay_alu instid0(VALU_DEP_2) | instskip(SKIP_2) | instid1(VALU_DEP_2)
	v_cmp_lt_u32_e32 vcc_lo, 0xffffff, v129
	v_sub_nc_u32_e32 v67, v130, v131
	v_cndmask_b32_e64 v130, 0, 1, vcc_lo
	v_add_co_ci_u32_e32 v67, vcc_lo, 0, v67, vcc_lo
	s_delay_alu instid0(VALU_DEP_2)
	v_lshrrev_b32_e32 v129, v130, v129
; %bb.7707:                             ;   in Loop: Header=BB6_7478 Depth=2
	s_and_not1_saveexec_b32 s10, s10
; %bb.7708:                             ;   in Loop: Header=BB6_7478 Depth=2
	s_delay_alu instid0(VALU_DEP_1)
	v_bfe_u32 v67, v129, 23, 1
; %bb.7709:                             ;   in Loop: Header=BB6_7478 Depth=2
	s_or_b32 exec_lo, exec_lo, s10
	v_lshrrev_b32_e32 v129, 20, v129
	s_delay_alu instid0(VALU_DEP_2) | instskip(SKIP_2) | instid1(VALU_DEP_2)
	v_cmp_gt_i32_e32 vcc_lo, 16, v67
	v_lshrrev_b32_e32 v128, 24, v128
	v_min_i32_e32 v130, 15, v67
	v_dual_cndmask_b32 v129, 7, v129 :: v_dual_and_b32 v128, 0x80, v128
	s_delay_alu instid0(VALU_DEP_1) | instskip(SKIP_1) | instid1(VALU_DEP_2)
	v_or_b32_e32 v67, v67, v129
	v_and_b32_e32 v131, 7, v129
	v_cmp_ne_u32_e32 vcc_lo, 0, v67
	v_lshlrev_b32_e32 v130, 3, v130
	s_delay_alu instid0(VALU_DEP_1) | instskip(NEXT) | instid1(VALU_DEP_1)
	v_or3_b32 v128, v130, v128, v131
	v_cndmask_b32_e32 v67, 0, v128, vcc_lo
.LBB6_7710:                             ;   in Loop: Header=BB6_7478 Depth=2
	s_or_b32 exec_lo, exec_lo, s26
.LBB6_7711:                             ;   in Loop: Header=BB6_7478 Depth=2
	s_delay_alu instid0(SALU_CYCLE_1) | instskip(SKIP_3) | instid1(VALU_DEP_1)
	s_or_b32 exec_lo, exec_lo, s25
	v_and_b32_e32 v129, 0xff, v114
	s_mov_b32 s10, 0
	s_mov_b32 s26, exec_lo
                                        ; implicit-def: $sgpr25
	v_cmpx_lt_i16_e64 0x7f, v129
	s_xor_b32 s26, exec_lo, s26
	s_cbranch_execnz .LBB6_8013
; %bb.7712:                             ;   in Loop: Header=BB6_7478 Depth=2
	s_or_saveexec_b32 s26, s26
	v_mov_b32_e32 v128, s25
	s_xor_b32 exec_lo, exec_lo, s26
	s_cbranch_execnz .LBB6_8016
.LBB6_7713:                             ;   in Loop: Header=BB6_7478 Depth=2
	s_or_b32 exec_lo, exec_lo, s26
	s_and_saveexec_b32 s25, s10
	s_cbranch_execz .LBB6_7715
.LBB6_7714:                             ;   in Loop: Header=BB6_7478 Depth=2
	v_bfe_u32 v131, v114, 3, 4
	s_delay_alu instid0(VALU_DEP_1) | instskip(SKIP_1) | instid1(VALU_DEP_1)
	v_cmp_eq_u32_e32 vcc_lo, 0, v131
	v_and_b32_e32 v128, 7, v114
	v_clz_i32_u32_e32 v129, v128
	s_delay_alu instid0(VALU_DEP_1) | instskip(NEXT) | instid1(VALU_DEP_1)
	v_min_u32_e32 v129, 32, v129
	v_subrev_nc_u32_e32 v130, 28, v129
	v_sub_nc_u32_e32 v129, 29, v129
	s_delay_alu instid0(VALU_DEP_1) | instskip(SKIP_1) | instid1(VALU_DEP_2)
	v_dual_cndmask_b32 v129, v131, v129 :: v_dual_lshlrev_b32 v130, v130, v114
	v_lshlrev_b32_e32 v114, 24, v114
	v_and_b32_e32 v130, 7, v130
	s_delay_alu instid0(VALU_DEP_3) | instskip(NEXT) | instid1(VALU_DEP_3)
	v_lshl_add_u32 v129, v129, 23, 0x3b800000
	v_and_b32_e32 v114, 0x80000000, v114
	s_delay_alu instid0(VALU_DEP_3) | instskip(NEXT) | instid1(VALU_DEP_1)
	v_cndmask_b32_e32 v128, v128, v130, vcc_lo
	v_lshlrev_b32_e32 v128, 20, v128
	s_delay_alu instid0(VALU_DEP_1)
	v_or3_b32 v128, v114, v129, v128
.LBB6_7715:                             ;   in Loop: Header=BB6_7478 Depth=2
	s_or_b32 exec_lo, exec_lo, s25
	v_lshrrev_b32_e32 v114, 16, v10
	s_mov_b32 s10, 0
	s_mov_b32 s26, exec_lo
                                        ; implicit-def: $sgpr25
	s_delay_alu instid0(VALU_DEP_1) | instskip(NEXT) | instid1(VALU_DEP_1)
	v_and_b32_e32 v130, 0xff, v114
	v_cmpx_lt_i16_e64 0x7f, v130
	s_xor_b32 s26, exec_lo, s26
	s_cbranch_execnz .LBB6_8017
; %bb.7716:                             ;   in Loop: Header=BB6_7478 Depth=2
	s_or_saveexec_b32 s26, s26
	v_mov_b32_e32 v129, s25
	s_xor_b32 exec_lo, exec_lo, s26
	s_cbranch_execnz .LBB6_8020
.LBB6_7717:                             ;   in Loop: Header=BB6_7478 Depth=2
	s_or_b32 exec_lo, exec_lo, s26
	s_and_saveexec_b32 s25, s10
	s_cbranch_execz .LBB6_7719
.LBB6_7718:                             ;   in Loop: Header=BB6_7478 Depth=2
	v_bfe_u32 v129, v10, 16, 3
	v_lshlrev_b32_e32 v132, 8, v10
	s_delay_alu instid0(VALU_DEP_2) | instskip(NEXT) | instid1(VALU_DEP_1)
	v_clz_i32_u32_e32 v130, v129
	v_min_u32_e32 v130, 32, v130
	s_delay_alu instid0(VALU_DEP_1) | instskip(SKIP_1) | instid1(VALU_DEP_2)
	v_subrev_nc_u32_e32 v131, 28, v130
	v_sub_nc_u32_e32 v130, 29, v130
	v_lshlrev_b32_e32 v114, v131, v114
	v_bfe_u32 v131, v10, 19, 4
	s_delay_alu instid0(VALU_DEP_2) | instskip(NEXT) | instid1(VALU_DEP_2)
	v_and_b32_e32 v114, 7, v114
	v_cmp_eq_u32_e32 vcc_lo, 0, v131
	v_cndmask_b32_e32 v130, v131, v130, vcc_lo
	s_delay_alu instid0(VALU_DEP_3) | instskip(NEXT) | instid1(VALU_DEP_2)
	v_dual_cndmask_b32 v114, v129, v114 :: v_dual_and_b32 v129, 0x80000000, v132
	v_lshl_add_u32 v130, v130, 23, 0x3b800000
	s_delay_alu instid0(VALU_DEP_2) | instskip(NEXT) | instid1(VALU_DEP_1)
	v_lshlrev_b32_e32 v114, 20, v114
	v_or3_b32 v129, v129, v130, v114
.LBB6_7719:                             ;   in Loop: Header=BB6_7478 Depth=2
	s_or_b32 exec_lo, exec_lo, s25
	s_delay_alu instid0(VALU_DEP_1) | instskip(NEXT) | instid1(VALU_DEP_1)
	v_add_f32_e32 v128, v128, v129
	v_and_b32_e32 v114, 0x7f800000, v128
	s_delay_alu instid0(VALU_DEP_1)
	v_cmp_ne_u32_e32 vcc_lo, 0x7f800000, v114
	v_mov_b32_e32 v114, 0x80
	s_and_saveexec_b32 s25, vcc_lo
	s_cbranch_execz .LBB6_7727
; %bb.7720:                             ;   in Loop: Header=BB6_7478 Depth=2
	v_mov_b32_e32 v114, 0
	s_mov_b32 s26, exec_lo
	v_cmpx_ne_u32_e32 0, v128
	s_cbranch_execz .LBB6_7726
; %bb.7721:                             ;   in Loop: Header=BB6_7478 Depth=2
	v_bfe_u32 v114, v128, 23, 8
	s_delay_alu instid0(VALU_DEP_1) | instskip(SKIP_1) | instid1(VALU_DEP_2)
	v_sub_nc_u32_e32 v130, 0x78, v114
	v_cmp_gt_u32_e32 vcc_lo, 0x79, v114
	v_dual_cndmask_b32 v130, 0, v130 :: v_dual_and_b32 v129, 0x7fffff, v128
	s_delay_alu instid0(VALU_DEP_1) | instskip(SKIP_2) | instid1(VALU_DEP_4)
	v_or_b32_e32 v131, 0x800000, v129
	v_cmp_eq_u32_e32 vcc_lo, 0, v114
	v_add_nc_u32_e32 v114, 0xffffff89, v114
	v_cndmask_b32_e64 v130, v130, 0x77, vcc_lo
	s_delay_alu instid0(VALU_DEP_4) | instskip(NEXT) | instid1(VALU_DEP_3)
	v_cndmask_b32_e32 v129, v131, v129, vcc_lo
	v_cndmask_b32_e64 v114, v114, 0xffffff8a, vcc_lo
	s_delay_alu instid0(VALU_DEP_3) | instskip(NEXT) | instid1(VALU_DEP_3)
	v_lshl_add_u32 v131, 0x100000, v130, -1
	v_lshrrev_b32_e32 v132, v130, v129
	v_lshlrev_b32_e64 v134, v130, 0x80000
	s_delay_alu instid0(VALU_DEP_4) | instskip(NEXT) | instid1(VALU_DEP_4)
	v_add_nc_u32_e32 v130, v130, v114
	v_and_b32_e32 v129, v131, v129
	s_delay_alu instid0(VALU_DEP_4) | instskip(NEXT) | instid1(VALU_DEP_2)
	v_bfe_u32 v133, v132, 20, 1
	v_cmp_eq_u32_e64 s10, v129, v134
	s_delay_alu instid0(VALU_DEP_2) | instskip(NEXT) | instid1(VALU_DEP_1)
	v_add_nc_u32_e32 v131, -1, v133
	v_cndmask_b32_e64 v129, 0, v131, s10
	v_lshrrev_b32_e32 v131, 23, v132
	s_mov_b32 s10, exec_lo
	s_delay_alu instid0(VALU_DEP_2) | instskip(NEXT) | instid1(VALU_DEP_2)
	v_add_nc_u32_e32 v129, v129, v132
	v_xor_b32_e32 v131, 1, v131
	s_delay_alu instid0(VALU_DEP_2) | instskip(NEXT) | instid1(VALU_DEP_1)
	v_and_b32_e32 v114, 0xfffff, v129
	v_add_nc_u32_e32 v129, v114, v132
                                        ; implicit-def: $vgpr114
	s_delay_alu instid0(VALU_DEP_3)
	v_cmpx_ne_u32_e64 v130, v131
	s_xor_b32 s10, exec_lo, s10
; %bb.7722:                             ;   in Loop: Header=BB6_7478 Depth=2
	s_delay_alu instid0(VALU_DEP_2) | instskip(SKIP_2) | instid1(VALU_DEP_2)
	v_cmp_lt_u32_e32 vcc_lo, 0xffffff, v129
	v_sub_nc_u32_e32 v114, v130, v131
	v_cndmask_b32_e64 v130, 0, 1, vcc_lo
	v_add_co_ci_u32_e32 v114, vcc_lo, 0, v114, vcc_lo
	s_delay_alu instid0(VALU_DEP_2)
	v_lshrrev_b32_e32 v129, v130, v129
; %bb.7723:                             ;   in Loop: Header=BB6_7478 Depth=2
	s_and_not1_saveexec_b32 s10, s10
; %bb.7724:                             ;   in Loop: Header=BB6_7478 Depth=2
	s_delay_alu instid0(VALU_DEP_1)
	v_bfe_u32 v114, v129, 23, 1
; %bb.7725:                             ;   in Loop: Header=BB6_7478 Depth=2
	s_or_b32 exec_lo, exec_lo, s10
	v_lshrrev_b32_e32 v129, 20, v129
	s_delay_alu instid0(VALU_DEP_2) | instskip(SKIP_2) | instid1(VALU_DEP_2)
	v_cmp_gt_i32_e32 vcc_lo, 16, v114
	v_lshrrev_b32_e32 v128, 24, v128
	v_min_i32_e32 v130, 15, v114
	v_dual_cndmask_b32 v129, 7, v129 :: v_dual_and_b32 v128, 0x80, v128
	s_delay_alu instid0(VALU_DEP_2) | instskip(NEXT) | instid1(VALU_DEP_2)
	v_lshlrev_b32_e32 v130, 3, v130
	v_or_b32_e32 v114, v114, v129
	s_delay_alu instid0(VALU_DEP_1) | instskip(SKIP_1) | instid1(VALU_DEP_1)
	v_cmp_ne_u32_e32 vcc_lo, 0, v114
	v_and_b32_e32 v131, 7, v129
	v_or3_b32 v128, v130, v128, v131
	s_delay_alu instid0(VALU_DEP_1)
	v_cndmask_b32_e32 v114, 0, v128, vcc_lo
.LBB6_7726:                             ;   in Loop: Header=BB6_7478 Depth=2
	s_or_b32 exec_lo, exec_lo, s26
.LBB6_7727:                             ;   in Loop: Header=BB6_7478 Depth=2
	s_delay_alu instid0(SALU_CYCLE_1) | instskip(SKIP_3) | instid1(VALU_DEP_1)
	s_or_b32 exec_lo, exec_lo, s25
	v_and_b32_e32 v129, 0xff, v117
	s_mov_b32 s10, 0
	s_mov_b32 s26, exec_lo
                                        ; implicit-def: $sgpr25
	v_cmpx_lt_i16_e64 0x7f, v129
	s_xor_b32 s26, exec_lo, s26
	s_cbranch_execnz .LBB6_8021
; %bb.7728:                             ;   in Loop: Header=BB6_7478 Depth=2
	s_or_saveexec_b32 s26, s26
	v_mov_b32_e32 v128, s25
	s_xor_b32 exec_lo, exec_lo, s26
	s_cbranch_execnz .LBB6_8024
.LBB6_7729:                             ;   in Loop: Header=BB6_7478 Depth=2
	s_or_b32 exec_lo, exec_lo, s26
	s_and_saveexec_b32 s25, s10
	s_cbranch_execz .LBB6_7731
.LBB6_7730:                             ;   in Loop: Header=BB6_7478 Depth=2
	v_lshlrev_b32_e32 v117, 8, v117
	s_delay_alu instid0(VALU_DEP_1) | instskip(SKIP_1) | instid1(VALU_DEP_2)
	v_and_b32_e32 v128, 0xff00, v117
	v_bfe_u32 v117, v117, 11, 4
	v_bfe_u32 v130, v128, 8, 3
	s_delay_alu instid0(VALU_DEP_2) | instskip(NEXT) | instid1(VALU_DEP_2)
	v_cmp_eq_u32_e32 vcc_lo, 0, v117
	v_clz_i32_u32_e32 v131, v130
	s_delay_alu instid0(VALU_DEP_1) | instskip(NEXT) | instid1(VALU_DEP_1)
	v_min_u32_e32 v131, 32, v131
	v_subrev_nc_u32_e32 v132, 28, v131
	v_sub_nc_u32_e32 v131, 29, v131
	s_delay_alu instid0(VALU_DEP_2) | instskip(NEXT) | instid1(VALU_DEP_2)
	v_lshlrev_b32_e32 v129, v132, v129
	v_cndmask_b32_e32 v117, v117, v131, vcc_lo
	s_delay_alu instid0(VALU_DEP_2) | instskip(SKIP_1) | instid1(VALU_DEP_3)
	v_and_b32_e32 v129, 7, v129
	v_lshlrev_b32_e32 v128, 16, v128
	v_lshl_add_u32 v117, v117, 23, 0x3b800000
	s_delay_alu instid0(VALU_DEP_2) | instskip(NEXT) | instid1(VALU_DEP_1)
	v_dual_cndmask_b32 v129, v130, v129 :: v_dual_and_b32 v128, 0x80000000, v128
	v_lshlrev_b32_e32 v129, 20, v129
	s_delay_alu instid0(VALU_DEP_1)
	v_or3_b32 v128, v128, v117, v129
.LBB6_7731:                             ;   in Loop: Header=BB6_7478 Depth=2
	s_or_b32 exec_lo, exec_lo, s25
	v_lshrrev_b32_e32 v117, 24, v10
	s_mov_b32 s10, 0
	s_mov_b32 s26, exec_lo
                                        ; implicit-def: $sgpr25
	s_delay_alu instid0(VALU_DEP_1)
	v_cmpx_lt_i16_e32 0x7f, v117
	s_xor_b32 s26, exec_lo, s26
	s_cbranch_execnz .LBB6_8025
; %bb.7732:                             ;   in Loop: Header=BB6_7478 Depth=2
	s_or_saveexec_b32 s26, s26
	v_mov_b32_e32 v129, s25
	s_xor_b32 exec_lo, exec_lo, s26
	s_cbranch_execnz .LBB6_8028
.LBB6_7733:                             ;   in Loop: Header=BB6_7478 Depth=2
	s_or_b32 exec_lo, exec_lo, s26
	s_and_saveexec_b32 s25, s10
	s_cbranch_execz .LBB6_7735
.LBB6_7734:                             ;   in Loop: Header=BB6_7478 Depth=2
	v_bfe_u32 v129, v10, 24, 3
	s_delay_alu instid0(VALU_DEP_1) | instskip(NEXT) | instid1(VALU_DEP_1)
	v_clz_i32_u32_e32 v130, v129
	v_min_u32_e32 v130, 32, v130
	s_delay_alu instid0(VALU_DEP_1) | instskip(SKIP_1) | instid1(VALU_DEP_2)
	v_subrev_nc_u32_e32 v131, 28, v130
	v_sub_nc_u32_e32 v130, 29, v130
	v_lshlrev_b32_e32 v117, v131, v117
	v_bfe_u32 v131, v10, 27, 4
	v_and_b32_e32 v10, 0x80000000, v10
	s_delay_alu instid0(VALU_DEP_2) | instskip(NEXT) | instid1(VALU_DEP_4)
	v_cmp_eq_u32_e32 vcc_lo, 0, v131
	v_dual_cndmask_b32 v130, v131, v130 :: v_dual_and_b32 v117, 7, v117
	s_delay_alu instid0(VALU_DEP_1) | instskip(NEXT) | instid1(VALU_DEP_2)
	v_cndmask_b32_e32 v117, v129, v117, vcc_lo
	v_lshl_add_u32 v129, v130, 23, 0x3b800000
	s_delay_alu instid0(VALU_DEP_2) | instskip(NEXT) | instid1(VALU_DEP_1)
	v_lshlrev_b32_e32 v117, 20, v117
	v_or3_b32 v129, v10, v129, v117
.LBB6_7735:                             ;   in Loop: Header=BB6_7478 Depth=2
	s_or_b32 exec_lo, exec_lo, s25
	s_delay_alu instid0(VALU_DEP_1) | instskip(NEXT) | instid1(VALU_DEP_1)
	v_add_f32_e32 v117, v128, v129
	v_and_b32_e32 v10, 0x7f800000, v117
	s_delay_alu instid0(VALU_DEP_1)
	v_cmp_ne_u32_e32 vcc_lo, 0x7f800000, v10
	v_mov_b32_e32 v10, 0x80
	s_and_saveexec_b32 s25, vcc_lo
	s_cbranch_execz .LBB6_7743
; %bb.7736:                             ;   in Loop: Header=BB6_7478 Depth=2
	v_mov_b32_e32 v10, 0
	s_mov_b32 s26, exec_lo
	v_cmpx_ne_u32_e32 0, v117
	s_cbranch_execz .LBB6_7742
; %bb.7737:                             ;   in Loop: Header=BB6_7478 Depth=2
	v_bfe_u32 v10, v117, 23, 8
	v_and_b32_e32 v128, 0x7fffff, v117
	s_delay_alu instid0(VALU_DEP_2) | instskip(SKIP_1) | instid1(VALU_DEP_3)
	v_sub_nc_u32_e32 v129, 0x78, v10
	v_cmp_gt_u32_e32 vcc_lo, 0x79, v10
	v_or_b32_e32 v130, 0x800000, v128
	s_delay_alu instid0(VALU_DEP_3) | instskip(SKIP_2) | instid1(VALU_DEP_4)
	v_cndmask_b32_e32 v129, 0, v129, vcc_lo
	v_cmp_eq_u32_e32 vcc_lo, 0, v10
	v_add_nc_u32_e32 v10, 0xffffff89, v10
	v_cndmask_b32_e32 v128, v130, v128, vcc_lo
	s_delay_alu instid0(VALU_DEP_4) | instskip(NEXT) | instid1(VALU_DEP_3)
	v_cndmask_b32_e64 v129, v129, 0x77, vcc_lo
	v_cndmask_b32_e64 v10, v10, 0xffffff8a, vcc_lo
	s_delay_alu instid0(VALU_DEP_2) | instskip(SKIP_2) | instid1(VALU_DEP_4)
	v_lshrrev_b32_e32 v131, v129, v128
	v_lshl_add_u32 v130, 0x100000, v129, -1
	v_lshlrev_b32_e64 v133, v129, 0x80000
	v_add_nc_u32_e32 v129, v129, v10
	s_delay_alu instid0(VALU_DEP_4) | instskip(NEXT) | instid1(VALU_DEP_4)
	v_bfe_u32 v132, v131, 20, 1
	v_and_b32_e32 v128, v130, v128
	s_delay_alu instid0(VALU_DEP_2) | instskip(NEXT) | instid1(VALU_DEP_2)
	v_add_nc_u32_e32 v130, -1, v132
	v_cmp_eq_u32_e64 s10, v128, v133
	s_delay_alu instid0(VALU_DEP_1) | instskip(SKIP_2) | instid1(VALU_DEP_2)
	v_cndmask_b32_e64 v128, 0, v130, s10
	v_lshrrev_b32_e32 v130, 23, v131
	s_mov_b32 s10, exec_lo
	v_add_nc_u32_e32 v128, v128, v131
	s_delay_alu instid0(VALU_DEP_2) | instskip(NEXT) | instid1(VALU_DEP_2)
	v_xor_b32_e32 v130, 1, v130
	v_and_b32_e32 v10, 0xfffff, v128
	s_delay_alu instid0(VALU_DEP_1) | instskip(NEXT) | instid1(VALU_DEP_3)
	v_add_nc_u32_e32 v128, v10, v131
                                        ; implicit-def: $vgpr10
	v_cmpx_ne_u32_e64 v129, v130
	s_xor_b32 s10, exec_lo, s10
; %bb.7738:                             ;   in Loop: Header=BB6_7478 Depth=2
	s_delay_alu instid0(VALU_DEP_2) | instskip(SKIP_2) | instid1(VALU_DEP_2)
	v_cmp_lt_u32_e32 vcc_lo, 0xffffff, v128
	v_sub_nc_u32_e32 v10, v129, v130
	v_cndmask_b32_e64 v129, 0, 1, vcc_lo
	v_add_co_ci_u32_e32 v10, vcc_lo, 0, v10, vcc_lo
	s_delay_alu instid0(VALU_DEP_2)
	v_lshrrev_b32_e32 v128, v129, v128
; %bb.7739:                             ;   in Loop: Header=BB6_7478 Depth=2
	s_and_not1_saveexec_b32 s10, s10
; %bb.7740:                             ;   in Loop: Header=BB6_7478 Depth=2
	s_delay_alu instid0(VALU_DEP_1)
	v_bfe_u32 v10, v128, 23, 1
; %bb.7741:                             ;   in Loop: Header=BB6_7478 Depth=2
	s_or_b32 exec_lo, exec_lo, s10
	v_lshrrev_b32_e32 v128, 20, v128
	s_delay_alu instid0(VALU_DEP_2) | instskip(SKIP_2) | instid1(VALU_DEP_2)
	v_cmp_gt_i32_e32 vcc_lo, 16, v10
	v_lshrrev_b32_e32 v117, 24, v117
	v_min_i32_e32 v129, 15, v10
	v_dual_cndmask_b32 v128, 7, v128 :: v_dual_and_b32 v117, 0x80, v117
	s_delay_alu instid0(VALU_DEP_2) | instskip(NEXT) | instid1(VALU_DEP_2)
	v_lshlrev_b32_e32 v129, 3, v129
	v_and_b32_e32 v130, 7, v128
	v_or_b32_e32 v10, v10, v128
	s_delay_alu instid0(VALU_DEP_2) | instskip(NEXT) | instid1(VALU_DEP_2)
	v_or3_b32 v117, v129, v117, v130
	v_cmp_ne_u32_e32 vcc_lo, 0, v10
	s_delay_alu instid0(VALU_DEP_2)
	v_cndmask_b32_e32 v10, 0, v117, vcc_lo
.LBB6_7742:                             ;   in Loop: Header=BB6_7478 Depth=2
	s_or_b32 exec_lo, exec_lo, s26
.LBB6_7743:                             ;   in Loop: Header=BB6_7478 Depth=2
	s_delay_alu instid0(SALU_CYCLE_1) | instskip(SKIP_3) | instid1(VALU_DEP_1)
	s_or_b32 exec_lo, exec_lo, s25
	v_or_b32_e32 v119, v119, v116
	s_mov_b32 s10, 0
	s_mov_b32 s26, exec_lo
                                        ; implicit-def: $sgpr25
	v_and_b32_e32 v117, 0xff, v119
	s_delay_alu instid0(VALU_DEP_1)
	v_cmpx_lt_i16_e32 0x7f, v117
	s_xor_b32 s26, exec_lo, s26
	s_cbranch_execnz .LBB6_8029
; %bb.7744:                             ;   in Loop: Header=BB6_7478 Depth=2
	s_or_saveexec_b32 s26, s26
	v_mov_b32_e32 v116, s25
	s_xor_b32 exec_lo, exec_lo, s26
	s_cbranch_execnz .LBB6_8032
.LBB6_7745:                             ;   in Loop: Header=BB6_7478 Depth=2
	s_or_b32 exec_lo, exec_lo, s26
	s_and_saveexec_b32 s25, s10
	s_cbranch_execz .LBB6_7747
.LBB6_7746:                             ;   in Loop: Header=BB6_7478 Depth=2
	v_bfe_u32 v129, v119, 3, 4
	v_lshlrev_b32_e32 v130, 24, v119
	s_delay_alu instid0(VALU_DEP_2) | instskip(SKIP_1) | instid1(VALU_DEP_1)
	v_cmp_eq_u32_e32 vcc_lo, 0, v129
	v_and_b32_e32 v116, 7, v119
	v_clz_i32_u32_e32 v117, v116
	s_delay_alu instid0(VALU_DEP_1) | instskip(NEXT) | instid1(VALU_DEP_1)
	v_min_u32_e32 v117, 32, v117
	v_subrev_nc_u32_e32 v128, 28, v117
	v_sub_nc_u32_e32 v117, 29, v117
	s_delay_alu instid0(VALU_DEP_1) | instskip(NEXT) | instid1(VALU_DEP_1)
	v_dual_cndmask_b32 v117, v129, v117 :: v_dual_lshlrev_b32 v128, v128, v119
	v_and_b32_e32 v128, 7, v128
	s_delay_alu instid0(VALU_DEP_2) | instskip(NEXT) | instid1(VALU_DEP_2)
	v_lshl_add_u32 v117, v117, 23, 0x3b800000
	v_cndmask_b32_e32 v116, v116, v128, vcc_lo
	v_and_b32_e32 v128, 0x80000000, v130
	s_delay_alu instid0(VALU_DEP_2) | instskip(NEXT) | instid1(VALU_DEP_1)
	v_lshlrev_b32_e32 v116, 20, v116
	v_or3_b32 v116, v128, v117, v116
.LBB6_7747:                             ;   in Loop: Header=BB6_7478 Depth=2
	s_or_b32 exec_lo, exec_lo, s25
	v_and_b32_e32 v128, 0xff, v11
	s_mov_b32 s10, 0
	s_mov_b32 s26, exec_lo
                                        ; implicit-def: $sgpr25
	s_delay_alu instid0(VALU_DEP_1)
	v_cmpx_lt_i16_e64 0x7f, v128
	s_xor_b32 s26, exec_lo, s26
	s_cbranch_execnz .LBB6_8033
; %bb.7748:                             ;   in Loop: Header=BB6_7478 Depth=2
	s_or_saveexec_b32 s26, s26
	v_mov_b32_e32 v117, s25
	s_xor_b32 exec_lo, exec_lo, s26
	s_cbranch_execnz .LBB6_8036
.LBB6_7749:                             ;   in Loop: Header=BB6_7478 Depth=2
	s_or_b32 exec_lo, exec_lo, s26
	s_and_saveexec_b32 s25, s10
	s_cbranch_execz .LBB6_7751
.LBB6_7750:                             ;   in Loop: Header=BB6_7478 Depth=2
	v_bfe_u32 v130, v11, 3, 4
	v_lshlrev_b32_e32 v131, 24, v11
	s_delay_alu instid0(VALU_DEP_2) | instskip(SKIP_1) | instid1(VALU_DEP_1)
	v_cmp_eq_u32_e32 vcc_lo, 0, v130
	v_and_b32_e32 v117, 7, v11
	v_clz_i32_u32_e32 v128, v117
	s_delay_alu instid0(VALU_DEP_1) | instskip(NEXT) | instid1(VALU_DEP_1)
	v_min_u32_e32 v128, 32, v128
	v_subrev_nc_u32_e32 v129, 28, v128
	v_sub_nc_u32_e32 v128, 29, v128
	s_delay_alu instid0(VALU_DEP_1) | instskip(NEXT) | instid1(VALU_DEP_1)
	v_dual_cndmask_b32 v128, v130, v128 :: v_dual_lshlrev_b32 v129, v129, v11
	v_and_b32_e32 v129, 7, v129
	s_delay_alu instid0(VALU_DEP_2) | instskip(NEXT) | instid1(VALU_DEP_2)
	v_lshl_add_u32 v128, v128, 23, 0x3b800000
	v_cndmask_b32_e32 v117, v117, v129, vcc_lo
	v_and_b32_e32 v129, 0x80000000, v131
	s_delay_alu instid0(VALU_DEP_2) | instskip(NEXT) | instid1(VALU_DEP_1)
	v_lshlrev_b32_e32 v117, 20, v117
	v_or3_b32 v117, v129, v128, v117
.LBB6_7751:                             ;   in Loop: Header=BB6_7478 Depth=2
	s_or_b32 exec_lo, exec_lo, s25
	s_delay_alu instid0(VALU_DEP_1) | instskip(NEXT) | instid1(VALU_DEP_1)
	v_add_f32_e32 v117, v116, v117
	v_and_b32_e32 v116, 0x7f800000, v117
	s_delay_alu instid0(VALU_DEP_1)
	v_cmp_ne_u32_e32 vcc_lo, 0x7f800000, v116
	v_mov_b32_e32 v116, 0x80
	s_and_saveexec_b32 s25, vcc_lo
	s_cbranch_execz .LBB6_7759
; %bb.7752:                             ;   in Loop: Header=BB6_7478 Depth=2
	v_mov_b32_e32 v116, 0
	s_mov_b32 s26, exec_lo
	v_cmpx_ne_u32_e32 0, v117
	s_cbranch_execz .LBB6_7758
; %bb.7753:                             ;   in Loop: Header=BB6_7478 Depth=2
	v_bfe_u32 v116, v117, 23, 8
	v_and_b32_e32 v128, 0x7fffff, v117
	s_delay_alu instid0(VALU_DEP_2) | instskip(SKIP_1) | instid1(VALU_DEP_3)
	v_sub_nc_u32_e32 v129, 0x78, v116
	v_cmp_gt_u32_e32 vcc_lo, 0x79, v116
	v_or_b32_e32 v130, 0x800000, v128
	s_delay_alu instid0(VALU_DEP_3) | instskip(SKIP_2) | instid1(VALU_DEP_4)
	v_cndmask_b32_e32 v129, 0, v129, vcc_lo
	v_cmp_eq_u32_e32 vcc_lo, 0, v116
	v_add_nc_u32_e32 v116, 0xffffff89, v116
	v_cndmask_b32_e32 v128, v130, v128, vcc_lo
	s_delay_alu instid0(VALU_DEP_4) | instskip(NEXT) | instid1(VALU_DEP_3)
	v_cndmask_b32_e64 v129, v129, 0x77, vcc_lo
	v_cndmask_b32_e64 v116, v116, 0xffffff8a, vcc_lo
	s_delay_alu instid0(VALU_DEP_2) | instskip(SKIP_2) | instid1(VALU_DEP_4)
	v_lshrrev_b32_e32 v131, v129, v128
	v_lshl_add_u32 v130, 0x100000, v129, -1
	v_lshlrev_b32_e64 v133, v129, 0x80000
	v_add_nc_u32_e32 v129, v129, v116
	s_delay_alu instid0(VALU_DEP_4) | instskip(NEXT) | instid1(VALU_DEP_4)
	v_bfe_u32 v132, v131, 20, 1
	v_and_b32_e32 v128, v130, v128
	s_delay_alu instid0(VALU_DEP_2) | instskip(NEXT) | instid1(VALU_DEP_2)
	v_add_nc_u32_e32 v130, -1, v132
	v_cmp_eq_u32_e64 s10, v128, v133
	s_delay_alu instid0(VALU_DEP_1) | instskip(SKIP_2) | instid1(VALU_DEP_2)
	v_cndmask_b32_e64 v128, 0, v130, s10
	v_lshrrev_b32_e32 v130, 23, v131
	s_mov_b32 s10, exec_lo
	v_add_nc_u32_e32 v128, v128, v131
	s_delay_alu instid0(VALU_DEP_2) | instskip(NEXT) | instid1(VALU_DEP_2)
	v_xor_b32_e32 v130, 1, v130
	v_and_b32_e32 v116, 0xfffff, v128
	s_delay_alu instid0(VALU_DEP_1) | instskip(NEXT) | instid1(VALU_DEP_3)
	v_add_nc_u32_e32 v128, v116, v131
                                        ; implicit-def: $vgpr116
	v_cmpx_ne_u32_e64 v129, v130
	s_xor_b32 s10, exec_lo, s10
; %bb.7754:                             ;   in Loop: Header=BB6_7478 Depth=2
	s_delay_alu instid0(VALU_DEP_2) | instskip(SKIP_2) | instid1(VALU_DEP_2)
	v_cmp_lt_u32_e32 vcc_lo, 0xffffff, v128
	v_sub_nc_u32_e32 v116, v129, v130
	v_cndmask_b32_e64 v129, 0, 1, vcc_lo
	v_add_co_ci_u32_e32 v116, vcc_lo, 0, v116, vcc_lo
	s_delay_alu instid0(VALU_DEP_2)
	v_lshrrev_b32_e32 v128, v129, v128
; %bb.7755:                             ;   in Loop: Header=BB6_7478 Depth=2
	s_and_not1_saveexec_b32 s10, s10
; %bb.7756:                             ;   in Loop: Header=BB6_7478 Depth=2
	s_delay_alu instid0(VALU_DEP_1)
	v_bfe_u32 v116, v128, 23, 1
; %bb.7757:                             ;   in Loop: Header=BB6_7478 Depth=2
	s_or_b32 exec_lo, exec_lo, s10
	v_lshrrev_b32_e32 v128, 20, v128
	s_delay_alu instid0(VALU_DEP_2) | instskip(SKIP_2) | instid1(VALU_DEP_2)
	v_cmp_gt_i32_e32 vcc_lo, 16, v116
	v_lshrrev_b32_e32 v117, 24, v117
	v_min_i32_e32 v129, 15, v116
	v_dual_cndmask_b32 v128, 7, v128 :: v_dual_and_b32 v117, 0x80, v117
	s_delay_alu instid0(VALU_DEP_2) | instskip(NEXT) | instid1(VALU_DEP_2)
	v_lshlrev_b32_e32 v129, 3, v129
	v_and_b32_e32 v130, 7, v128
	v_or_b32_e32 v116, v116, v128
	s_delay_alu instid0(VALU_DEP_2) | instskip(NEXT) | instid1(VALU_DEP_2)
	v_or3_b32 v117, v129, v117, v130
	v_cmp_ne_u32_e32 vcc_lo, 0, v116
	s_delay_alu instid0(VALU_DEP_2)
	v_cndmask_b32_e32 v116, 0, v117, vcc_lo
.LBB6_7758:                             ;   in Loop: Header=BB6_7478 Depth=2
	s_or_b32 exec_lo, exec_lo, s26
.LBB6_7759:                             ;   in Loop: Header=BB6_7478 Depth=2
	s_delay_alu instid0(SALU_CYCLE_1) | instskip(SKIP_3) | instid1(VALU_DEP_1)
	s_or_b32 exec_lo, exec_lo, s25
	v_lshrrev_b16 v128, 8, v119
	s_mov_b32 s10, 0
	s_mov_b32 s26, exec_lo
                                        ; implicit-def: $sgpr25
	v_cmpx_lt_i16_e64 0x7f, v128
	s_xor_b32 s26, exec_lo, s26
	s_cbranch_execnz .LBB6_8037
; %bb.7760:                             ;   in Loop: Header=BB6_7478 Depth=2
	s_or_saveexec_b32 s26, s26
	v_mov_b32_e32 v117, s25
	s_xor_b32 exec_lo, exec_lo, s26
	s_cbranch_execnz .LBB6_8040
.LBB6_7761:                             ;   in Loop: Header=BB6_7478 Depth=2
	s_or_b32 exec_lo, exec_lo, s26
	s_and_saveexec_b32 s25, s10
	s_cbranch_execz .LBB6_7763
.LBB6_7762:                             ;   in Loop: Header=BB6_7478 Depth=2
	v_and_b32_e32 v117, 0xffff, v128
	s_delay_alu instid0(VALU_DEP_1) | instskip(NEXT) | instid1(VALU_DEP_1)
	v_and_b32_e32 v129, 7, v117
	v_clz_i32_u32_e32 v130, v129
	s_delay_alu instid0(VALU_DEP_1) | instskip(NEXT) | instid1(VALU_DEP_1)
	v_min_u32_e32 v130, 32, v130
	v_subrev_nc_u32_e32 v131, 28, v130
	v_sub_nc_u32_e32 v130, 29, v130
	s_delay_alu instid0(VALU_DEP_2) | instskip(SKIP_1) | instid1(VALU_DEP_2)
	v_lshlrev_b32_e32 v131, v131, v117
	v_bfe_u32 v117, v117, 3, 4
	v_and_b32_e32 v131, 7, v131
	s_delay_alu instid0(VALU_DEP_2) | instskip(SKIP_1) | instid1(VALU_DEP_1)
	v_cmp_eq_u32_e32 vcc_lo, 0, v117
	v_dual_cndmask_b32 v117, v117, v130 :: v_dual_lshlrev_b32 v128, 24, v128
	v_dual_cndmask_b32 v129, v129, v131 :: v_dual_and_b32 v128, 0x80000000, v128
	s_delay_alu instid0(VALU_DEP_2) | instskip(NEXT) | instid1(VALU_DEP_2)
	v_lshl_add_u32 v117, v117, 23, 0x3b800000
	v_lshlrev_b32_e32 v129, 20, v129
	s_delay_alu instid0(VALU_DEP_1)
	v_or3_b32 v117, v128, v117, v129
.LBB6_7763:                             ;   in Loop: Header=BB6_7478 Depth=2
	s_or_b32 exec_lo, exec_lo, s25
	v_lshrrev_b16 v128, 8, v11
	s_mov_b32 s10, 0
	s_mov_b32 s26, exec_lo
                                        ; implicit-def: $sgpr25
	s_delay_alu instid0(VALU_DEP_1)
	v_cmpx_lt_i16_e64 0x7f, v128
	s_xor_b32 s26, exec_lo, s26
	s_cbranch_execnz .LBB6_8041
; %bb.7764:                             ;   in Loop: Header=BB6_7478 Depth=2
	s_or_saveexec_b32 s26, s26
	v_mov_b32_e32 v129, s25
	s_xor_b32 exec_lo, exec_lo, s26
	s_cbranch_execnz .LBB6_8044
.LBB6_7765:                             ;   in Loop: Header=BB6_7478 Depth=2
	s_or_b32 exec_lo, exec_lo, s26
	s_and_saveexec_b32 s25, s10
	s_cbranch_execz .LBB6_7767
.LBB6_7766:                             ;   in Loop: Header=BB6_7478 Depth=2
	v_and_b32_e32 v129, 0xffff, v128
	v_lshlrev_b32_e32 v128, 24, v128
	s_delay_alu instid0(VALU_DEP_2) | instskip(NEXT) | instid1(VALU_DEP_2)
	v_and_b32_e32 v130, 7, v129
	v_and_b32_e32 v128, 0x80000000, v128
	s_delay_alu instid0(VALU_DEP_2) | instskip(NEXT) | instid1(VALU_DEP_1)
	v_clz_i32_u32_e32 v131, v130
	v_min_u32_e32 v131, 32, v131
	s_delay_alu instid0(VALU_DEP_1) | instskip(SKIP_1) | instid1(VALU_DEP_2)
	v_subrev_nc_u32_e32 v132, 28, v131
	v_sub_nc_u32_e32 v131, 29, v131
	v_lshlrev_b32_e32 v132, v132, v129
	v_bfe_u32 v129, v129, 3, 4
	s_delay_alu instid0(VALU_DEP_2) | instskip(NEXT) | instid1(VALU_DEP_2)
	v_and_b32_e32 v132, 7, v132
	v_cmp_eq_u32_e32 vcc_lo, 0, v129
	s_delay_alu instid0(VALU_DEP_2) | instskip(NEXT) | instid1(VALU_DEP_1)
	v_dual_cndmask_b32 v129, v129, v131 :: v_dual_cndmask_b32 v130, v130, v132
	v_lshl_add_u32 v129, v129, 23, 0x3b800000
	s_delay_alu instid0(VALU_DEP_2) | instskip(NEXT) | instid1(VALU_DEP_1)
	v_lshlrev_b32_e32 v130, 20, v130
	v_or3_b32 v129, v128, v129, v130
.LBB6_7767:                             ;   in Loop: Header=BB6_7478 Depth=2
	s_or_b32 exec_lo, exec_lo, s25
	s_delay_alu instid0(VALU_DEP_1) | instskip(NEXT) | instid1(VALU_DEP_1)
	v_add_f32_e32 v128, v117, v129
	v_and_b32_e32 v117, 0x7f800000, v128
	s_delay_alu instid0(VALU_DEP_1)
	v_cmp_ne_u32_e32 vcc_lo, 0x7f800000, v117
	v_mov_b32_e32 v117, 0x8000
	s_and_saveexec_b32 s25, vcc_lo
	s_cbranch_execz .LBB6_7775
; %bb.7768:                             ;   in Loop: Header=BB6_7478 Depth=2
	v_mov_b32_e32 v117, 0
	s_mov_b32 s26, exec_lo
	v_cmpx_ne_u32_e32 0, v128
	s_cbranch_execz .LBB6_7774
; %bb.7769:                             ;   in Loop: Header=BB6_7478 Depth=2
	v_bfe_u32 v117, v128, 23, 8
	s_delay_alu instid0(VALU_DEP_1) | instskip(SKIP_1) | instid1(VALU_DEP_2)
	v_sub_nc_u32_e32 v130, 0x78, v117
	v_cmp_gt_u32_e32 vcc_lo, 0x79, v117
	v_dual_cndmask_b32 v130, 0, v130 :: v_dual_and_b32 v129, 0x7fffff, v128
	s_delay_alu instid0(VALU_DEP_1) | instskip(SKIP_2) | instid1(VALU_DEP_4)
	v_or_b32_e32 v131, 0x800000, v129
	v_cmp_eq_u32_e32 vcc_lo, 0, v117
	v_add_nc_u32_e32 v117, 0xffffff89, v117
	v_cndmask_b32_e64 v130, v130, 0x77, vcc_lo
	s_delay_alu instid0(VALU_DEP_4) | instskip(NEXT) | instid1(VALU_DEP_3)
	v_cndmask_b32_e32 v129, v131, v129, vcc_lo
	v_cndmask_b32_e64 v117, v117, 0xffffff8a, vcc_lo
	s_delay_alu instid0(VALU_DEP_3) | instskip(NEXT) | instid1(VALU_DEP_3)
	v_lshl_add_u32 v131, 0x100000, v130, -1
	v_lshrrev_b32_e32 v132, v130, v129
	v_lshlrev_b32_e64 v134, v130, 0x80000
	s_delay_alu instid0(VALU_DEP_4) | instskip(NEXT) | instid1(VALU_DEP_4)
	v_add_nc_u32_e32 v130, v130, v117
	v_and_b32_e32 v129, v131, v129
	s_delay_alu instid0(VALU_DEP_4) | instskip(NEXT) | instid1(VALU_DEP_2)
	v_bfe_u32 v133, v132, 20, 1
	v_cmp_eq_u32_e64 s10, v129, v134
	s_delay_alu instid0(VALU_DEP_2) | instskip(NEXT) | instid1(VALU_DEP_1)
	v_add_nc_u32_e32 v131, -1, v133
	v_cndmask_b32_e64 v129, 0, v131, s10
	v_lshrrev_b32_e32 v131, 23, v132
	s_mov_b32 s10, exec_lo
	s_delay_alu instid0(VALU_DEP_2) | instskip(NEXT) | instid1(VALU_DEP_2)
	v_add_nc_u32_e32 v129, v129, v132
	v_xor_b32_e32 v131, 1, v131
	s_delay_alu instid0(VALU_DEP_2) | instskip(NEXT) | instid1(VALU_DEP_1)
	v_and_b32_e32 v117, 0xfffff, v129
	v_add_nc_u32_e32 v129, v117, v132
                                        ; implicit-def: $vgpr117
	s_delay_alu instid0(VALU_DEP_3)
	v_cmpx_ne_u32_e64 v130, v131
	s_xor_b32 s10, exec_lo, s10
; %bb.7770:                             ;   in Loop: Header=BB6_7478 Depth=2
	s_delay_alu instid0(VALU_DEP_2) | instskip(SKIP_2) | instid1(VALU_DEP_2)
	v_cmp_lt_u32_e32 vcc_lo, 0xffffff, v129
	v_sub_nc_u32_e32 v117, v130, v131
	v_cndmask_b32_e64 v130, 0, 1, vcc_lo
	v_add_co_ci_u32_e32 v117, vcc_lo, 0, v117, vcc_lo
	s_delay_alu instid0(VALU_DEP_2)
	v_lshrrev_b32_e32 v129, v130, v129
; %bb.7771:                             ;   in Loop: Header=BB6_7478 Depth=2
	s_and_not1_saveexec_b32 s10, s10
; %bb.7772:                             ;   in Loop: Header=BB6_7478 Depth=2
	s_delay_alu instid0(VALU_DEP_1)
	v_bfe_u32 v117, v129, 23, 1
; %bb.7773:                             ;   in Loop: Header=BB6_7478 Depth=2
	s_or_b32 exec_lo, exec_lo, s10
	v_lshrrev_b32_e32 v129, 20, v129
	s_delay_alu instid0(VALU_DEP_2) | instskip(SKIP_2) | instid1(VALU_DEP_2)
	v_cmp_gt_i32_e32 vcc_lo, 16, v117
	v_min_i32_e32 v130, 15, v117
	v_lshrrev_b32_e32 v128, 24, v128
	v_dual_cndmask_b32 v129, 7, v129 :: v_dual_lshlrev_b32 v130, 3, v130
	s_delay_alu instid0(VALU_DEP_2) | instskip(NEXT) | instid1(VALU_DEP_2)
	v_and_b32_e32 v128, 0x80, v128
	v_or_b32_e32 v117, v117, v129
	v_and_b32_e32 v131, 7, v129
	s_delay_alu instid0(VALU_DEP_2) | instskip(SKIP_1) | instid1(VALU_DEP_1)
	v_cmp_ne_u32_e32 vcc_lo, 0, v117
	v_and_b32_e32 v130, 0xf8, v130
	v_or3_b32 v128, v128, v130, v131
	s_delay_alu instid0(VALU_DEP_1) | instskip(NEXT) | instid1(VALU_DEP_1)
	v_lshlrev_b32_e32 v128, 8, v128
	v_cndmask_b32_e32 v117, 0, v128, vcc_lo
.LBB6_7774:                             ;   in Loop: Header=BB6_7478 Depth=2
	s_or_b32 exec_lo, exec_lo, s26
.LBB6_7775:                             ;   in Loop: Header=BB6_7478 Depth=2
	s_delay_alu instid0(SALU_CYCLE_1) | instskip(SKIP_3) | instid1(VALU_DEP_1)
	s_or_b32 exec_lo, exec_lo, s25
	v_or_b32_e32 v118, v118, v115
	s_mov_b32 s10, 0
	s_mov_b32 s26, exec_lo
                                        ; implicit-def: $sgpr25
	v_and_b32_e32 v128, 0xff, v118
	s_delay_alu instid0(VALU_DEP_1)
	v_cmpx_lt_i16_e64 0x7f, v128
	s_xor_b32 s26, exec_lo, s26
	s_cbranch_execnz .LBB6_8045
; %bb.7776:                             ;   in Loop: Header=BB6_7478 Depth=2
	s_or_saveexec_b32 s26, s26
	v_mov_b32_e32 v115, s25
	s_xor_b32 exec_lo, exec_lo, s26
	s_cbranch_execnz .LBB6_8048
.LBB6_7777:                             ;   in Loop: Header=BB6_7478 Depth=2
	s_or_b32 exec_lo, exec_lo, s26
	v_lshl_or_b32 v118, v118, 16, v119
	s_and_saveexec_b32 s25, s10
	s_cbranch_execz .LBB6_7779
.LBB6_7778:                             ;   in Loop: Header=BB6_7478 Depth=2
	s_delay_alu instid0(VALU_DEP_1) | instskip(SKIP_1) | instid1(VALU_DEP_2)
	v_bfe_u32 v115, v118, 16, 3
	v_lshrrev_b32_e32 v128, 16, v118
	v_clz_i32_u32_e32 v119, v115
	s_delay_alu instid0(VALU_DEP_1) | instskip(NEXT) | instid1(VALU_DEP_1)
	v_min_u32_e32 v119, 32, v119
	v_subrev_nc_u32_e32 v129, 28, v119
	v_sub_nc_u32_e32 v119, 29, v119
	s_delay_alu instid0(VALU_DEP_2) | instskip(SKIP_1) | instid1(VALU_DEP_1)
	v_lshlrev_b32_e32 v128, v129, v128
	v_bfe_u32 v129, v118, 19, 4
	v_cmp_eq_u32_e32 vcc_lo, 0, v129
	s_delay_alu instid0(VALU_DEP_3) | instskip(NEXT) | instid1(VALU_DEP_1)
	v_dual_cndmask_b32 v119, v129, v119 :: v_dual_and_b32 v128, 7, v128
	v_dual_cndmask_b32 v115, v115, v128 :: v_dual_lshlrev_b32 v130, 8, v118
	s_delay_alu instid0(VALU_DEP_2) | instskip(NEXT) | instid1(VALU_DEP_2)
	v_lshl_add_u32 v119, v119, 23, 0x3b800000
	v_and_b32_e32 v128, 0x80000000, v130
	s_delay_alu instid0(VALU_DEP_3) | instskip(NEXT) | instid1(VALU_DEP_1)
	v_lshlrev_b32_e32 v115, 20, v115
	v_or3_b32 v115, v128, v119, v115
.LBB6_7779:                             ;   in Loop: Header=BB6_7478 Depth=2
	s_or_b32 exec_lo, exec_lo, s25
	v_lshrrev_b32_e32 v119, 16, v11
	s_mov_b32 s10, 0
	s_mov_b32 s26, exec_lo
                                        ; implicit-def: $sgpr25
	s_delay_alu instid0(VALU_DEP_1) | instskip(NEXT) | instid1(VALU_DEP_1)
	v_and_b32_e32 v129, 0xff, v119
	v_cmpx_lt_i16_e64 0x7f, v129
	s_xor_b32 s26, exec_lo, s26
	s_cbranch_execnz .LBB6_8049
; %bb.7780:                             ;   in Loop: Header=BB6_7478 Depth=2
	s_or_saveexec_b32 s26, s26
	v_mov_b32_e32 v128, s25
	s_xor_b32 exec_lo, exec_lo, s26
	s_cbranch_execnz .LBB6_8052
.LBB6_7781:                             ;   in Loop: Header=BB6_7478 Depth=2
	s_or_b32 exec_lo, exec_lo, s26
	s_and_saveexec_b32 s25, s10
	s_cbranch_execz .LBB6_7783
.LBB6_7782:                             ;   in Loop: Header=BB6_7478 Depth=2
	v_bfe_u32 v128, v11, 16, 3
	v_lshlrev_b32_e32 v131, 8, v11
	s_delay_alu instid0(VALU_DEP_2) | instskip(NEXT) | instid1(VALU_DEP_1)
	v_clz_i32_u32_e32 v129, v128
	v_min_u32_e32 v129, 32, v129
	s_delay_alu instid0(VALU_DEP_1) | instskip(SKIP_1) | instid1(VALU_DEP_2)
	v_subrev_nc_u32_e32 v130, 28, v129
	v_sub_nc_u32_e32 v129, 29, v129
	v_lshlrev_b32_e32 v119, v130, v119
	v_bfe_u32 v130, v11, 19, 4
	s_delay_alu instid0(VALU_DEP_2) | instskip(NEXT) | instid1(VALU_DEP_2)
	v_and_b32_e32 v119, 7, v119
	v_cmp_eq_u32_e32 vcc_lo, 0, v130
	v_cndmask_b32_e32 v129, v130, v129, vcc_lo
	s_delay_alu instid0(VALU_DEP_3) | instskip(SKIP_1) | instid1(VALU_DEP_3)
	v_cndmask_b32_e32 v119, v128, v119, vcc_lo
	v_and_b32_e32 v128, 0x80000000, v131
	v_lshl_add_u32 v129, v129, 23, 0x3b800000
	s_delay_alu instid0(VALU_DEP_3) | instskip(NEXT) | instid1(VALU_DEP_1)
	v_lshlrev_b32_e32 v119, 20, v119
	v_or3_b32 v128, v128, v129, v119
.LBB6_7783:                             ;   in Loop: Header=BB6_7478 Depth=2
	s_or_b32 exec_lo, exec_lo, s25
	s_delay_alu instid0(VALU_DEP_1) | instskip(NEXT) | instid1(VALU_DEP_1)
	v_add_f32_e32 v119, v115, v128
	v_and_b32_e32 v115, 0x7f800000, v119
	s_delay_alu instid0(VALU_DEP_1)
	v_cmp_ne_u32_e32 vcc_lo, 0x7f800000, v115
	v_mov_b32_e32 v115, 0x80
	s_and_saveexec_b32 s25, vcc_lo
	s_cbranch_execz .LBB6_7791
; %bb.7784:                             ;   in Loop: Header=BB6_7478 Depth=2
	v_mov_b32_e32 v115, 0
	s_mov_b32 s26, exec_lo
	v_cmpx_ne_u32_e32 0, v119
	s_cbranch_execz .LBB6_7790
; %bb.7785:                             ;   in Loop: Header=BB6_7478 Depth=2
	v_bfe_u32 v115, v119, 23, 8
	s_delay_alu instid0(VALU_DEP_1) | instskip(SKIP_1) | instid1(VALU_DEP_2)
	v_sub_nc_u32_e32 v129, 0x78, v115
	v_cmp_gt_u32_e32 vcc_lo, 0x79, v115
	v_dual_cndmask_b32 v129, 0, v129 :: v_dual_and_b32 v128, 0x7fffff, v119
	s_delay_alu instid0(VALU_DEP_1) | instskip(SKIP_2) | instid1(VALU_DEP_4)
	v_or_b32_e32 v130, 0x800000, v128
	v_cmp_eq_u32_e32 vcc_lo, 0, v115
	v_add_nc_u32_e32 v115, 0xffffff89, v115
	v_cndmask_b32_e64 v129, v129, 0x77, vcc_lo
	s_delay_alu instid0(VALU_DEP_4) | instskip(NEXT) | instid1(VALU_DEP_3)
	v_cndmask_b32_e32 v128, v130, v128, vcc_lo
	v_cndmask_b32_e64 v115, v115, 0xffffff8a, vcc_lo
	s_delay_alu instid0(VALU_DEP_3) | instskip(NEXT) | instid1(VALU_DEP_3)
	v_lshl_add_u32 v130, 0x100000, v129, -1
	v_lshrrev_b32_e32 v131, v129, v128
	v_lshlrev_b32_e64 v133, v129, 0x80000
	s_delay_alu instid0(VALU_DEP_4) | instskip(NEXT) | instid1(VALU_DEP_4)
	v_add_nc_u32_e32 v129, v129, v115
	v_and_b32_e32 v128, v130, v128
	s_delay_alu instid0(VALU_DEP_4) | instskip(NEXT) | instid1(VALU_DEP_2)
	v_bfe_u32 v132, v131, 20, 1
	v_cmp_eq_u32_e64 s10, v128, v133
	s_delay_alu instid0(VALU_DEP_2) | instskip(NEXT) | instid1(VALU_DEP_1)
	v_add_nc_u32_e32 v130, -1, v132
	v_cndmask_b32_e64 v128, 0, v130, s10
	v_lshrrev_b32_e32 v130, 23, v131
	s_mov_b32 s10, exec_lo
	s_delay_alu instid0(VALU_DEP_2) | instskip(NEXT) | instid1(VALU_DEP_2)
	v_add_nc_u32_e32 v128, v128, v131
	v_xor_b32_e32 v130, 1, v130
	s_delay_alu instid0(VALU_DEP_2) | instskip(NEXT) | instid1(VALU_DEP_1)
	v_and_b32_e32 v115, 0xfffff, v128
	v_add_nc_u32_e32 v128, v115, v131
                                        ; implicit-def: $vgpr115
	s_delay_alu instid0(VALU_DEP_3)
	v_cmpx_ne_u32_e64 v129, v130
	s_xor_b32 s10, exec_lo, s10
; %bb.7786:                             ;   in Loop: Header=BB6_7478 Depth=2
	s_delay_alu instid0(VALU_DEP_2) | instskip(SKIP_2) | instid1(VALU_DEP_2)
	v_cmp_lt_u32_e32 vcc_lo, 0xffffff, v128
	v_sub_nc_u32_e32 v115, v129, v130
	v_cndmask_b32_e64 v129, 0, 1, vcc_lo
	v_add_co_ci_u32_e32 v115, vcc_lo, 0, v115, vcc_lo
	s_delay_alu instid0(VALU_DEP_2)
	v_lshrrev_b32_e32 v128, v129, v128
; %bb.7787:                             ;   in Loop: Header=BB6_7478 Depth=2
	s_and_not1_saveexec_b32 s10, s10
; %bb.7788:                             ;   in Loop: Header=BB6_7478 Depth=2
	s_delay_alu instid0(VALU_DEP_1)
	v_bfe_u32 v115, v128, 23, 1
; %bb.7789:                             ;   in Loop: Header=BB6_7478 Depth=2
	s_or_b32 exec_lo, exec_lo, s10
	v_lshrrev_b32_e32 v128, 20, v128
	s_delay_alu instid0(VALU_DEP_2) | instskip(SKIP_2) | instid1(VALU_DEP_2)
	v_cmp_gt_i32_e32 vcc_lo, 16, v115
	v_min_i32_e32 v129, 15, v115
	v_lshrrev_b32_e32 v119, 24, v119
	v_dual_cndmask_b32 v128, 7, v128 :: v_dual_lshlrev_b32 v129, 3, v129
	s_delay_alu instid0(VALU_DEP_2) | instskip(NEXT) | instid1(VALU_DEP_2)
	v_and_b32_e32 v119, 0x80, v119
	v_or_b32_e32 v115, v115, v128
	s_delay_alu instid0(VALU_DEP_3) | instskip(NEXT) | instid1(VALU_DEP_2)
	v_and_b32_e32 v129, 0xf8, v129
	v_cmp_ne_u32_e32 vcc_lo, 0, v115
	v_and_b32_e32 v130, 7, v128
	s_delay_alu instid0(VALU_DEP_1) | instskip(NEXT) | instid1(VALU_DEP_1)
	v_or3_b32 v119, v129, v119, v130
	v_cndmask_b32_e32 v115, 0, v119, vcc_lo
.LBB6_7790:                             ;   in Loop: Header=BB6_7478 Depth=2
	s_or_b32 exec_lo, exec_lo, s26
.LBB6_7791:                             ;   in Loop: Header=BB6_7478 Depth=2
	s_delay_alu instid0(SALU_CYCLE_1) | instskip(SKIP_3) | instid1(VALU_DEP_1)
	s_or_b32 exec_lo, exec_lo, s25
	v_lshrrev_b32_e32 v128, 24, v118
	s_mov_b32 s10, 0
	s_mov_b32 s26, exec_lo
                                        ; implicit-def: $sgpr25
	v_cmpx_lt_i16_e64 0x7f, v128
	s_xor_b32 s26, exec_lo, s26
	s_cbranch_execnz .LBB6_8053
; %bb.7792:                             ;   in Loop: Header=BB6_7478 Depth=2
	s_or_saveexec_b32 s26, s26
	v_mov_b32_e32 v119, s25
	s_xor_b32 exec_lo, exec_lo, s26
	s_cbranch_execnz .LBB6_8056
.LBB6_7793:                             ;   in Loop: Header=BB6_7478 Depth=2
	s_or_b32 exec_lo, exec_lo, s26
	s_and_saveexec_b32 s25, s10
	s_cbranch_execz .LBB6_7795
.LBB6_7794:                             ;   in Loop: Header=BB6_7478 Depth=2
	v_bfe_u32 v119, v118, 24, 3
	s_delay_alu instid0(VALU_DEP_1) | instskip(NEXT) | instid1(VALU_DEP_1)
	v_clz_i32_u32_e32 v129, v119
	v_min_u32_e32 v129, 32, v129
	s_delay_alu instid0(VALU_DEP_1) | instskip(SKIP_1) | instid1(VALU_DEP_2)
	v_subrev_nc_u32_e32 v130, 28, v129
	v_sub_nc_u32_e32 v129, 29, v129
	v_lshlrev_b32_e32 v128, v130, v128
	v_bfe_u32 v130, v118, 27, 4
	v_and_b32_e32 v118, 0x80000000, v118
	s_delay_alu instid0(VALU_DEP_2) | instskip(NEXT) | instid1(VALU_DEP_4)
	v_cmp_eq_u32_e32 vcc_lo, 0, v130
	v_dual_cndmask_b32 v129, v130, v129 :: v_dual_and_b32 v128, 7, v128
	s_delay_alu instid0(VALU_DEP_1) | instskip(NEXT) | instid1(VALU_DEP_2)
	v_cndmask_b32_e32 v119, v119, v128, vcc_lo
	v_lshl_add_u32 v128, v129, 23, 0x3b800000
	s_delay_alu instid0(VALU_DEP_2) | instskip(NEXT) | instid1(VALU_DEP_1)
	v_lshlrev_b32_e32 v119, 20, v119
	v_or3_b32 v119, v118, v128, v119
.LBB6_7795:                             ;   in Loop: Header=BB6_7478 Depth=2
	s_or_b32 exec_lo, exec_lo, s25
	v_lshrrev_b32_e32 v118, 24, v11
	s_mov_b32 s10, 0
	s_mov_b32 s26, exec_lo
                                        ; implicit-def: $sgpr25
	s_delay_alu instid0(VALU_DEP_1)
	v_cmpx_lt_i16_e32 0x7f, v118
	s_xor_b32 s26, exec_lo, s26
	s_cbranch_execnz .LBB6_8057
; %bb.7796:                             ;   in Loop: Header=BB6_7478 Depth=2
	s_or_saveexec_b32 s26, s26
	v_mov_b32_e32 v128, s25
	s_xor_b32 exec_lo, exec_lo, s26
	s_cbranch_execnz .LBB6_8060
.LBB6_7797:                             ;   in Loop: Header=BB6_7478 Depth=2
	s_or_b32 exec_lo, exec_lo, s26
	s_and_saveexec_b32 s25, s10
	s_cbranch_execz .LBB6_7799
.LBB6_7798:                             ;   in Loop: Header=BB6_7478 Depth=2
	v_bfe_u32 v128, v11, 24, 3
	s_delay_alu instid0(VALU_DEP_1) | instskip(NEXT) | instid1(VALU_DEP_1)
	v_clz_i32_u32_e32 v129, v128
	v_min_u32_e32 v129, 32, v129
	s_delay_alu instid0(VALU_DEP_1) | instskip(SKIP_1) | instid1(VALU_DEP_2)
	v_subrev_nc_u32_e32 v130, 28, v129
	v_sub_nc_u32_e32 v129, 29, v129
	v_lshlrev_b32_e32 v118, v130, v118
	v_bfe_u32 v130, v11, 27, 4
	v_and_b32_e32 v11, 0x80000000, v11
	s_delay_alu instid0(VALU_DEP_2) | instskip(NEXT) | instid1(VALU_DEP_4)
	v_cmp_eq_u32_e32 vcc_lo, 0, v130
	v_dual_cndmask_b32 v129, v130, v129 :: v_dual_and_b32 v118, 7, v118
	s_delay_alu instid0(VALU_DEP_1) | instskip(NEXT) | instid1(VALU_DEP_2)
	v_cndmask_b32_e32 v118, v128, v118, vcc_lo
	v_lshl_add_u32 v128, v129, 23, 0x3b800000
	s_delay_alu instid0(VALU_DEP_2) | instskip(NEXT) | instid1(VALU_DEP_1)
	v_lshlrev_b32_e32 v118, 20, v118
	v_or3_b32 v128, v11, v128, v118
.LBB6_7799:                             ;   in Loop: Header=BB6_7478 Depth=2
	s_or_b32 exec_lo, exec_lo, s25
	s_delay_alu instid0(VALU_DEP_1) | instskip(NEXT) | instid1(VALU_DEP_1)
	v_add_f32_e32 v118, v119, v128
	v_and_b32_e32 v11, 0x7f800000, v118
	s_delay_alu instid0(VALU_DEP_1)
	v_cmp_ne_u32_e32 vcc_lo, 0x7f800000, v11
	v_mov_b32_e32 v11, 0x8000
	s_and_saveexec_b32 s25, vcc_lo
	s_cbranch_execz .LBB6_7807
; %bb.7800:                             ;   in Loop: Header=BB6_7478 Depth=2
	v_mov_b32_e32 v11, 0
	s_mov_b32 s26, exec_lo
	v_cmpx_ne_u32_e32 0, v118
	s_cbranch_execz .LBB6_7806
; %bb.7801:                             ;   in Loop: Header=BB6_7478 Depth=2
	v_bfe_u32 v11, v118, 23, 8
	s_delay_alu instid0(VALU_DEP_1) | instskip(SKIP_1) | instid1(VALU_DEP_2)
	v_sub_nc_u32_e32 v128, 0x78, v11
	v_cmp_gt_u32_e32 vcc_lo, 0x79, v11
	v_dual_cndmask_b32 v128, 0, v128 :: v_dual_and_b32 v119, 0x7fffff, v118
	s_delay_alu instid0(VALU_DEP_1) | instskip(SKIP_2) | instid1(VALU_DEP_4)
	v_or_b32_e32 v129, 0x800000, v119
	v_cmp_eq_u32_e32 vcc_lo, 0, v11
	v_add_nc_u32_e32 v11, 0xffffff89, v11
	v_cndmask_b32_e64 v128, v128, 0x77, vcc_lo
	s_delay_alu instid0(VALU_DEP_4) | instskip(NEXT) | instid1(VALU_DEP_3)
	v_cndmask_b32_e32 v119, v129, v119, vcc_lo
	v_cndmask_b32_e64 v11, v11, 0xffffff8a, vcc_lo
	s_delay_alu instid0(VALU_DEP_3) | instskip(NEXT) | instid1(VALU_DEP_3)
	v_lshl_add_u32 v129, 0x100000, v128, -1
	v_lshrrev_b32_e32 v130, v128, v119
	v_lshlrev_b32_e64 v132, v128, 0x80000
	s_delay_alu instid0(VALU_DEP_4) | instskip(NEXT) | instid1(VALU_DEP_4)
	v_add_nc_u32_e32 v128, v128, v11
	v_and_b32_e32 v119, v129, v119
	s_delay_alu instid0(VALU_DEP_4) | instskip(NEXT) | instid1(VALU_DEP_2)
	v_bfe_u32 v131, v130, 20, 1
	v_cmp_eq_u32_e64 s10, v119, v132
	s_delay_alu instid0(VALU_DEP_2) | instskip(NEXT) | instid1(VALU_DEP_1)
	v_add_nc_u32_e32 v129, -1, v131
	v_cndmask_b32_e64 v119, 0, v129, s10
	v_lshrrev_b32_e32 v129, 23, v130
	s_mov_b32 s10, exec_lo
	s_delay_alu instid0(VALU_DEP_2) | instskip(NEXT) | instid1(VALU_DEP_2)
	v_add_nc_u32_e32 v119, v119, v130
	v_xor_b32_e32 v129, 1, v129
	s_delay_alu instid0(VALU_DEP_2) | instskip(NEXT) | instid1(VALU_DEP_1)
	v_and_b32_e32 v11, 0xfffff, v119
	v_add_nc_u32_e32 v119, v11, v130
                                        ; implicit-def: $vgpr11
	s_delay_alu instid0(VALU_DEP_3)
	v_cmpx_ne_u32_e64 v128, v129
	s_xor_b32 s10, exec_lo, s10
; %bb.7802:                             ;   in Loop: Header=BB6_7478 Depth=2
	s_delay_alu instid0(VALU_DEP_2) | instskip(SKIP_2) | instid1(VALU_DEP_2)
	v_cmp_lt_u32_e32 vcc_lo, 0xffffff, v119
	v_sub_nc_u32_e32 v11, v128, v129
	v_cndmask_b32_e64 v128, 0, 1, vcc_lo
	v_add_co_ci_u32_e32 v11, vcc_lo, 0, v11, vcc_lo
	s_delay_alu instid0(VALU_DEP_2)
	v_lshrrev_b32_e32 v119, v128, v119
; %bb.7803:                             ;   in Loop: Header=BB6_7478 Depth=2
	s_and_not1_saveexec_b32 s10, s10
; %bb.7804:                             ;   in Loop: Header=BB6_7478 Depth=2
	s_delay_alu instid0(VALU_DEP_1)
	v_bfe_u32 v11, v119, 23, 1
; %bb.7805:                             ;   in Loop: Header=BB6_7478 Depth=2
	s_or_b32 exec_lo, exec_lo, s10
	v_lshrrev_b32_e32 v119, 20, v119
	s_delay_alu instid0(VALU_DEP_2) | instskip(SKIP_2) | instid1(VALU_DEP_2)
	v_cmp_gt_i32_e32 vcc_lo, 16, v11
	v_min_i32_e32 v128, 15, v11
	v_lshrrev_b32_e32 v118, 24, v118
	v_dual_cndmask_b32 v119, 7, v119 :: v_dual_lshlrev_b32 v128, 3, v128
	s_delay_alu instid0(VALU_DEP_2) | instskip(NEXT) | instid1(VALU_DEP_2)
	v_and_b32_e32 v118, 0x80, v118
	v_or_b32_e32 v11, v11, v119
	v_and_b32_e32 v129, 7, v119
	s_delay_alu instid0(VALU_DEP_2) | instskip(SKIP_1) | instid1(VALU_DEP_1)
	v_cmp_ne_u32_e32 vcc_lo, 0, v11
	v_and_b32_e32 v128, 0xf8, v128
	v_or3_b32 v118, v118, v128, v129
	s_delay_alu instid0(VALU_DEP_1) | instskip(NEXT) | instid1(VALU_DEP_1)
	v_lshlrev_b32_e32 v118, 8, v118
	v_cndmask_b32_e32 v11, 0, v118, vcc_lo
.LBB6_7806:                             ;   in Loop: Header=BB6_7478 Depth=2
	s_or_b32 exec_lo, exec_lo, s26
.LBB6_7807:                             ;   in Loop: Header=BB6_7478 Depth=2
	s_delay_alu instid0(SALU_CYCLE_1) | instskip(SKIP_3) | instid1(VALU_DEP_1)
	s_or_b32 exec_lo, exec_lo, s25
	v_and_b32_e32 v119, 0xff, v113
	s_mov_b32 s10, 0
	s_mov_b32 s26, exec_lo
                                        ; implicit-def: $sgpr25
	v_cmpx_lt_i16_e32 0x7f, v119
	s_xor_b32 s26, exec_lo, s26
	s_cbranch_execnz .LBB6_8061
; %bb.7808:                             ;   in Loop: Header=BB6_7478 Depth=2
	s_or_saveexec_b32 s26, s26
	v_mov_b32_e32 v118, s25
	s_xor_b32 exec_lo, exec_lo, s26
	s_cbranch_execnz .LBB6_8064
.LBB6_7809:                             ;   in Loop: Header=BB6_7478 Depth=2
	s_or_b32 exec_lo, exec_lo, s26
	s_and_saveexec_b32 s25, s10
	s_cbranch_execz .LBB6_7811
.LBB6_7810:                             ;   in Loop: Header=BB6_7478 Depth=2
	v_bfe_u32 v129, v113, 3, 4
	s_delay_alu instid0(VALU_DEP_1) | instskip(SKIP_1) | instid1(VALU_DEP_1)
	v_cmp_eq_u32_e32 vcc_lo, 0, v129
	v_and_b32_e32 v118, 7, v113
	v_clz_i32_u32_e32 v119, v118
	s_delay_alu instid0(VALU_DEP_1) | instskip(NEXT) | instid1(VALU_DEP_1)
	v_min_u32_e32 v119, 32, v119
	v_subrev_nc_u32_e32 v128, 28, v119
	v_sub_nc_u32_e32 v119, 29, v119
	s_delay_alu instid0(VALU_DEP_1) | instskip(NEXT) | instid1(VALU_DEP_1)
	v_dual_cndmask_b32 v119, v129, v119 :: v_dual_lshlrev_b32 v128, v128, v113
	v_and_b32_e32 v128, 7, v128
	v_lshlrev_b32_e32 v113, 24, v113
	s_delay_alu instid0(VALU_DEP_3) | instskip(NEXT) | instid1(VALU_DEP_2)
	v_lshl_add_u32 v119, v119, 23, 0x3b800000
	v_dual_cndmask_b32 v118, v118, v128 :: v_dual_and_b32 v113, 0x80000000, v113
	s_delay_alu instid0(VALU_DEP_1) | instskip(NEXT) | instid1(VALU_DEP_1)
	v_lshlrev_b32_e32 v118, 20, v118
	v_or3_b32 v118, v113, v119, v118
.LBB6_7811:                             ;   in Loop: Header=BB6_7478 Depth=2
	s_or_b32 exec_lo, exec_lo, s25
	v_and_b32_e32 v119, 0xff, v12
	s_mov_b32 s10, 0
	s_mov_b32 s26, exec_lo
                                        ; implicit-def: $sgpr25
	s_delay_alu instid0(VALU_DEP_1)
	v_cmpx_lt_i16_e32 0x7f, v119
	s_xor_b32 s26, exec_lo, s26
	s_cbranch_execnz .LBB6_8065
; %bb.7812:                             ;   in Loop: Header=BB6_7478 Depth=2
	s_or_saveexec_b32 s26, s26
	v_mov_b32_e32 v113, s25
	s_xor_b32 exec_lo, exec_lo, s26
	s_cbranch_execnz .LBB6_8068
.LBB6_7813:                             ;   in Loop: Header=BB6_7478 Depth=2
	s_or_b32 exec_lo, exec_lo, s26
	s_and_saveexec_b32 s25, s10
	s_cbranch_execz .LBB6_7815
.LBB6_7814:                             ;   in Loop: Header=BB6_7478 Depth=2
	v_and_b32_e32 v113, 7, v12
	v_bfe_u32 v129, v12, 3, 4
	v_lshlrev_b32_e32 v130, 24, v12
	s_delay_alu instid0(VALU_DEP_3) | instskip(NEXT) | instid1(VALU_DEP_3)
	v_clz_i32_u32_e32 v119, v113
	v_cmp_eq_u32_e32 vcc_lo, 0, v129
	s_delay_alu instid0(VALU_DEP_2) | instskip(NEXT) | instid1(VALU_DEP_1)
	v_min_u32_e32 v119, 32, v119
	v_subrev_nc_u32_e32 v128, 28, v119
	v_sub_nc_u32_e32 v119, 29, v119
	s_delay_alu instid0(VALU_DEP_1) | instskip(NEXT) | instid1(VALU_DEP_1)
	v_dual_cndmask_b32 v119, v129, v119 :: v_dual_lshlrev_b32 v128, v128, v12
	v_and_b32_e32 v128, 7, v128
	s_delay_alu instid0(VALU_DEP_2) | instskip(NEXT) | instid1(VALU_DEP_2)
	v_lshl_add_u32 v119, v119, 23, 0x3b800000
	v_dual_cndmask_b32 v113, v113, v128 :: v_dual_and_b32 v128, 0x80000000, v130
	s_delay_alu instid0(VALU_DEP_1) | instskip(NEXT) | instid1(VALU_DEP_1)
	v_lshlrev_b32_e32 v113, 20, v113
	v_or3_b32 v113, v128, v119, v113
.LBB6_7815:                             ;   in Loop: Header=BB6_7478 Depth=2
	s_or_b32 exec_lo, exec_lo, s25
	s_delay_alu instid0(VALU_DEP_1) | instskip(NEXT) | instid1(VALU_DEP_1)
	v_add_f32_e32 v118, v118, v113
	v_and_b32_e32 v113, 0x7f800000, v118
	s_delay_alu instid0(VALU_DEP_1)
	v_cmp_ne_u32_e32 vcc_lo, 0x7f800000, v113
	v_mov_b32_e32 v113, 0x80
	s_and_saveexec_b32 s25, vcc_lo
	s_cbranch_execz .LBB6_7823
; %bb.7816:                             ;   in Loop: Header=BB6_7478 Depth=2
	v_mov_b32_e32 v113, 0
	s_mov_b32 s26, exec_lo
	v_cmpx_ne_u32_e32 0, v118
	s_cbranch_execz .LBB6_7822
; %bb.7817:                             ;   in Loop: Header=BB6_7478 Depth=2
	v_bfe_u32 v113, v118, 23, 8
	s_delay_alu instid0(VALU_DEP_1) | instskip(SKIP_1) | instid1(VALU_DEP_2)
	v_sub_nc_u32_e32 v128, 0x78, v113
	v_cmp_gt_u32_e32 vcc_lo, 0x79, v113
	v_dual_cndmask_b32 v128, 0, v128 :: v_dual_and_b32 v119, 0x7fffff, v118
	s_delay_alu instid0(VALU_DEP_1) | instskip(SKIP_2) | instid1(VALU_DEP_4)
	v_or_b32_e32 v129, 0x800000, v119
	v_cmp_eq_u32_e32 vcc_lo, 0, v113
	v_add_nc_u32_e32 v113, 0xffffff89, v113
	v_cndmask_b32_e64 v128, v128, 0x77, vcc_lo
	s_delay_alu instid0(VALU_DEP_2) | instskip(SKIP_1) | instid1(VALU_DEP_3)
	v_cndmask_b32_e64 v113, v113, 0xffffff8a, vcc_lo
	v_cndmask_b32_e32 v119, v129, v119, vcc_lo
	v_lshl_add_u32 v129, 0x100000, v128, -1
	v_lshlrev_b32_e64 v132, v128, 0x80000
	s_delay_alu instid0(VALU_DEP_3) | instskip(SKIP_1) | instid1(VALU_DEP_4)
	v_lshrrev_b32_e32 v130, v128, v119
	v_add_nc_u32_e32 v128, v128, v113
	v_and_b32_e32 v119, v129, v119
	s_delay_alu instid0(VALU_DEP_3) | instskip(NEXT) | instid1(VALU_DEP_2)
	v_bfe_u32 v131, v130, 20, 1
	v_cmp_eq_u32_e64 s10, v119, v132
	s_delay_alu instid0(VALU_DEP_2) | instskip(NEXT) | instid1(VALU_DEP_1)
	v_add_nc_u32_e32 v129, -1, v131
	v_cndmask_b32_e64 v119, 0, v129, s10
	v_lshrrev_b32_e32 v129, 23, v130
	s_mov_b32 s10, exec_lo
	s_delay_alu instid0(VALU_DEP_2) | instskip(NEXT) | instid1(VALU_DEP_2)
	v_add_nc_u32_e32 v119, v119, v130
	v_xor_b32_e32 v129, 1, v129
	s_delay_alu instid0(VALU_DEP_2) | instskip(NEXT) | instid1(VALU_DEP_1)
	v_and_b32_e32 v113, 0xfffff, v119
	v_add_nc_u32_e32 v119, v113, v130
                                        ; implicit-def: $vgpr113
	s_delay_alu instid0(VALU_DEP_3)
	v_cmpx_ne_u32_e64 v128, v129
	s_xor_b32 s10, exec_lo, s10
; %bb.7818:                             ;   in Loop: Header=BB6_7478 Depth=2
	s_delay_alu instid0(VALU_DEP_2) | instskip(SKIP_2) | instid1(VALU_DEP_2)
	v_cmp_lt_u32_e32 vcc_lo, 0xffffff, v119
	v_sub_nc_u32_e32 v113, v128, v129
	v_cndmask_b32_e64 v128, 0, 1, vcc_lo
	v_add_co_ci_u32_e32 v113, vcc_lo, 0, v113, vcc_lo
	s_delay_alu instid0(VALU_DEP_2)
	v_lshrrev_b32_e32 v119, v128, v119
; %bb.7819:                             ;   in Loop: Header=BB6_7478 Depth=2
	s_and_not1_saveexec_b32 s10, s10
; %bb.7820:                             ;   in Loop: Header=BB6_7478 Depth=2
	s_delay_alu instid0(VALU_DEP_1)
	v_bfe_u32 v113, v119, 23, 1
; %bb.7821:                             ;   in Loop: Header=BB6_7478 Depth=2
	s_or_b32 exec_lo, exec_lo, s10
	v_lshrrev_b32_e32 v119, 20, v119
	s_delay_alu instid0(VALU_DEP_2) | instskip(SKIP_2) | instid1(VALU_DEP_2)
	v_cmp_gt_i32_e32 vcc_lo, 16, v113
	v_lshrrev_b32_e32 v118, 24, v118
	v_min_i32_e32 v128, 15, v113
	v_dual_cndmask_b32 v119, 7, v119 :: v_dual_and_b32 v118, 0x80, v118
	s_delay_alu instid0(VALU_DEP_1) | instskip(SKIP_1) | instid1(VALU_DEP_2)
	v_or_b32_e32 v113, v113, v119
	v_and_b32_e32 v129, 7, v119
	v_cmp_ne_u32_e32 vcc_lo, 0, v113
	v_lshlrev_b32_e32 v128, 3, v128
	s_delay_alu instid0(VALU_DEP_1) | instskip(NEXT) | instid1(VALU_DEP_1)
	v_or3_b32 v118, v128, v118, v129
	v_cndmask_b32_e32 v113, 0, v118, vcc_lo
.LBB6_7822:                             ;   in Loop: Header=BB6_7478 Depth=2
	s_or_b32 exec_lo, exec_lo, s26
.LBB6_7823:                             ;   in Loop: Header=BB6_7478 Depth=2
	s_delay_alu instid0(SALU_CYCLE_1) | instskip(SKIP_3) | instid1(VALU_DEP_1)
	s_or_b32 exec_lo, exec_lo, s25
	v_and_b32_e32 v119, 0xff, v103
	s_mov_b32 s10, 0
	s_mov_b32 s26, exec_lo
                                        ; implicit-def: $sgpr25
	v_cmpx_lt_i16_e32 0x7f, v119
	s_xor_b32 s26, exec_lo, s26
	s_cbranch_execnz .LBB6_8069
; %bb.7824:                             ;   in Loop: Header=BB6_7478 Depth=2
	s_or_saveexec_b32 s26, s26
	v_mov_b32_e32 v118, s25
	s_xor_b32 exec_lo, exec_lo, s26
	s_cbranch_execnz .LBB6_8072
.LBB6_7825:                             ;   in Loop: Header=BB6_7478 Depth=2
	s_or_b32 exec_lo, exec_lo, s26
	s_and_saveexec_b32 s25, s10
	s_cbranch_execz .LBB6_7827
.LBB6_7826:                             ;   in Loop: Header=BB6_7478 Depth=2
	v_and_b32_e32 v118, 7, v103
	v_bfe_u32 v129, v103, 3, 4
	s_delay_alu instid0(VALU_DEP_2) | instskip(NEXT) | instid1(VALU_DEP_2)
	v_clz_i32_u32_e32 v119, v118
	v_cmp_eq_u32_e32 vcc_lo, 0, v129
	s_delay_alu instid0(VALU_DEP_2) | instskip(NEXT) | instid1(VALU_DEP_1)
	v_min_u32_e32 v119, 32, v119
	v_subrev_nc_u32_e32 v128, 28, v119
	v_sub_nc_u32_e32 v119, 29, v119
	s_delay_alu instid0(VALU_DEP_2) | instskip(NEXT) | instid1(VALU_DEP_1)
	v_lshlrev_b32_e32 v128, v128, v103
	v_dual_cndmask_b32 v119, v129, v119 :: v_dual_and_b32 v128, 7, v128
	v_lshlrev_b32_e32 v103, 24, v103
	s_delay_alu instid0(VALU_DEP_2) | instskip(NEXT) | instid1(VALU_DEP_2)
	v_lshl_add_u32 v119, v119, 23, 0x3b800000
	v_dual_cndmask_b32 v118, v118, v128 :: v_dual_and_b32 v103, 0x80000000, v103
	s_delay_alu instid0(VALU_DEP_1) | instskip(NEXT) | instid1(VALU_DEP_1)
	v_lshlrev_b32_e32 v118, 20, v118
	v_or3_b32 v118, v103, v119, v118
.LBB6_7827:                             ;   in Loop: Header=BB6_7478 Depth=2
	s_or_b32 exec_lo, exec_lo, s25
	v_lshrrev_b16 v103, 8, v12
	s_mov_b32 s10, 0
	s_mov_b32 s26, exec_lo
                                        ; implicit-def: $sgpr25
	s_delay_alu instid0(VALU_DEP_1)
	v_cmpx_lt_i16_e32 0x7f, v103
	s_xor_b32 s26, exec_lo, s26
	s_cbranch_execnz .LBB6_8073
; %bb.7828:                             ;   in Loop: Header=BB6_7478 Depth=2
	s_or_saveexec_b32 s26, s26
	v_mov_b32_e32 v119, s25
	s_xor_b32 exec_lo, exec_lo, s26
	s_cbranch_execnz .LBB6_8076
.LBB6_7829:                             ;   in Loop: Header=BB6_7478 Depth=2
	s_or_b32 exec_lo, exec_lo, s26
	s_and_saveexec_b32 s25, s10
	s_cbranch_execz .LBB6_7831
.LBB6_7830:                             ;   in Loop: Header=BB6_7478 Depth=2
	v_and_b32_e32 v119, 0xffff, v103
	v_lshlrev_b32_e32 v103, 24, v103
	s_delay_alu instid0(VALU_DEP_2) | instskip(NEXT) | instid1(VALU_DEP_2)
	v_and_b32_e32 v128, 7, v119
	v_and_b32_e32 v103, 0x80000000, v103
	s_delay_alu instid0(VALU_DEP_2) | instskip(NEXT) | instid1(VALU_DEP_1)
	v_clz_i32_u32_e32 v129, v128
	v_min_u32_e32 v129, 32, v129
	s_delay_alu instid0(VALU_DEP_1) | instskip(SKIP_1) | instid1(VALU_DEP_2)
	v_subrev_nc_u32_e32 v130, 28, v129
	v_sub_nc_u32_e32 v129, 29, v129
	v_lshlrev_b32_e32 v130, v130, v119
	v_bfe_u32 v119, v119, 3, 4
	s_delay_alu instid0(VALU_DEP_2) | instskip(NEXT) | instid1(VALU_DEP_2)
	v_and_b32_e32 v130, 7, v130
	v_cmp_eq_u32_e32 vcc_lo, 0, v119
	s_delay_alu instid0(VALU_DEP_2) | instskip(NEXT) | instid1(VALU_DEP_1)
	v_dual_cndmask_b32 v119, v119, v129 :: v_dual_cndmask_b32 v128, v128, v130
	v_lshl_add_u32 v119, v119, 23, 0x3b800000
	s_delay_alu instid0(VALU_DEP_2) | instskip(NEXT) | instid1(VALU_DEP_1)
	v_lshlrev_b32_e32 v128, 20, v128
	v_or3_b32 v119, v103, v119, v128
.LBB6_7831:                             ;   in Loop: Header=BB6_7478 Depth=2
	s_or_b32 exec_lo, exec_lo, s25
	s_delay_alu instid0(VALU_DEP_1) | instskip(NEXT) | instid1(VALU_DEP_1)
	v_add_f32_e32 v118, v118, v119
	v_and_b32_e32 v103, 0x7f800000, v118
	s_delay_alu instid0(VALU_DEP_1)
	v_cmp_ne_u32_e32 vcc_lo, 0x7f800000, v103
	v_mov_b32_e32 v103, 0x80
	s_and_saveexec_b32 s25, vcc_lo
	s_cbranch_execz .LBB6_7839
; %bb.7832:                             ;   in Loop: Header=BB6_7478 Depth=2
	v_mov_b32_e32 v103, 0
	s_mov_b32 s26, exec_lo
	v_cmpx_ne_u32_e32 0, v118
	s_cbranch_execz .LBB6_7838
; %bb.7833:                             ;   in Loop: Header=BB6_7478 Depth=2
	v_bfe_u32 v103, v118, 23, 8
	s_delay_alu instid0(VALU_DEP_1) | instskip(SKIP_1) | instid1(VALU_DEP_2)
	v_sub_nc_u32_e32 v128, 0x78, v103
	v_cmp_gt_u32_e32 vcc_lo, 0x79, v103
	v_dual_cndmask_b32 v128, 0, v128 :: v_dual_and_b32 v119, 0x7fffff, v118
	s_delay_alu instid0(VALU_DEP_1) | instskip(SKIP_2) | instid1(VALU_DEP_4)
	v_or_b32_e32 v129, 0x800000, v119
	v_cmp_eq_u32_e32 vcc_lo, 0, v103
	v_add_nc_u32_e32 v103, 0xffffff89, v103
	v_cndmask_b32_e64 v128, v128, 0x77, vcc_lo
	s_delay_alu instid0(VALU_DEP_4) | instskip(NEXT) | instid1(VALU_DEP_3)
	v_cndmask_b32_e32 v119, v129, v119, vcc_lo
	v_cndmask_b32_e64 v103, v103, 0xffffff8a, vcc_lo
	s_delay_alu instid0(VALU_DEP_3) | instskip(NEXT) | instid1(VALU_DEP_3)
	v_lshl_add_u32 v129, 0x100000, v128, -1
	v_lshrrev_b32_e32 v130, v128, v119
	v_lshlrev_b32_e64 v132, v128, 0x80000
	s_delay_alu instid0(VALU_DEP_4) | instskip(NEXT) | instid1(VALU_DEP_4)
	v_add_nc_u32_e32 v128, v128, v103
	v_and_b32_e32 v119, v129, v119
	s_delay_alu instid0(VALU_DEP_4) | instskip(NEXT) | instid1(VALU_DEP_2)
	v_bfe_u32 v131, v130, 20, 1
	v_cmp_eq_u32_e64 s10, v119, v132
	s_delay_alu instid0(VALU_DEP_2) | instskip(NEXT) | instid1(VALU_DEP_1)
	v_add_nc_u32_e32 v129, -1, v131
	v_cndmask_b32_e64 v119, 0, v129, s10
	v_lshrrev_b32_e32 v129, 23, v130
	s_mov_b32 s10, exec_lo
	s_delay_alu instid0(VALU_DEP_2) | instskip(NEXT) | instid1(VALU_DEP_2)
	v_add_nc_u32_e32 v119, v119, v130
	v_xor_b32_e32 v129, 1, v129
	s_delay_alu instid0(VALU_DEP_2) | instskip(NEXT) | instid1(VALU_DEP_1)
	v_and_b32_e32 v103, 0xfffff, v119
	v_add_nc_u32_e32 v119, v103, v130
                                        ; implicit-def: $vgpr103
	s_delay_alu instid0(VALU_DEP_3)
	v_cmpx_ne_u32_e64 v128, v129
	s_xor_b32 s10, exec_lo, s10
; %bb.7834:                             ;   in Loop: Header=BB6_7478 Depth=2
	s_delay_alu instid0(VALU_DEP_2) | instskip(SKIP_2) | instid1(VALU_DEP_2)
	v_cmp_lt_u32_e32 vcc_lo, 0xffffff, v119
	v_sub_nc_u32_e32 v103, v128, v129
	v_cndmask_b32_e64 v128, 0, 1, vcc_lo
	v_add_co_ci_u32_e32 v103, vcc_lo, 0, v103, vcc_lo
	s_delay_alu instid0(VALU_DEP_2)
	v_lshrrev_b32_e32 v119, v128, v119
; %bb.7835:                             ;   in Loop: Header=BB6_7478 Depth=2
	s_and_not1_saveexec_b32 s10, s10
; %bb.7836:                             ;   in Loop: Header=BB6_7478 Depth=2
	s_delay_alu instid0(VALU_DEP_1)
	v_bfe_u32 v103, v119, 23, 1
; %bb.7837:                             ;   in Loop: Header=BB6_7478 Depth=2
	s_or_b32 exec_lo, exec_lo, s10
	v_lshrrev_b32_e32 v119, 20, v119
	s_delay_alu instid0(VALU_DEP_2) | instskip(SKIP_2) | instid1(VALU_DEP_2)
	v_cmp_gt_i32_e32 vcc_lo, 16, v103
	v_lshrrev_b32_e32 v118, 24, v118
	v_min_i32_e32 v128, 15, v103
	v_dual_cndmask_b32 v119, 7, v119 :: v_dual_and_b32 v118, 0x80, v118
	s_delay_alu instid0(VALU_DEP_1) | instskip(SKIP_1) | instid1(VALU_DEP_2)
	v_or_b32_e32 v103, v103, v119
	v_and_b32_e32 v129, 7, v119
	v_cmp_ne_u32_e32 vcc_lo, 0, v103
	v_lshlrev_b32_e32 v128, 3, v128
	s_delay_alu instid0(VALU_DEP_1) | instskip(NEXT) | instid1(VALU_DEP_1)
	v_or3_b32 v118, v128, v118, v129
	v_cndmask_b32_e32 v103, 0, v118, vcc_lo
.LBB6_7838:                             ;   in Loop: Header=BB6_7478 Depth=2
	s_or_b32 exec_lo, exec_lo, s26
.LBB6_7839:                             ;   in Loop: Header=BB6_7478 Depth=2
	s_delay_alu instid0(SALU_CYCLE_1) | instskip(SKIP_3) | instid1(VALU_DEP_1)
	s_or_b32 exec_lo, exec_lo, s25
	v_and_b32_e32 v119, 0xff, v69
	s_mov_b32 s10, 0
	s_mov_b32 s26, exec_lo
                                        ; implicit-def: $sgpr25
	v_cmpx_lt_i16_e32 0x7f, v119
	s_xor_b32 s26, exec_lo, s26
	s_cbranch_execnz .LBB6_8077
; %bb.7840:                             ;   in Loop: Header=BB6_7478 Depth=2
	s_or_saveexec_b32 s26, s26
	v_mov_b32_e32 v118, s25
	s_xor_b32 exec_lo, exec_lo, s26
	s_cbranch_execnz .LBB6_8080
.LBB6_7841:                             ;   in Loop: Header=BB6_7478 Depth=2
	s_or_b32 exec_lo, exec_lo, s26
	s_and_saveexec_b32 s25, s10
	s_cbranch_execz .LBB6_7843
.LBB6_7842:                             ;   in Loop: Header=BB6_7478 Depth=2
	v_bfe_u32 v129, v69, 3, 4
	s_delay_alu instid0(VALU_DEP_1) | instskip(SKIP_1) | instid1(VALU_DEP_1)
	v_cmp_eq_u32_e32 vcc_lo, 0, v129
	v_and_b32_e32 v118, 7, v69
	v_clz_i32_u32_e32 v119, v118
	s_delay_alu instid0(VALU_DEP_1) | instskip(NEXT) | instid1(VALU_DEP_1)
	v_min_u32_e32 v119, 32, v119
	v_subrev_nc_u32_e32 v128, 28, v119
	v_sub_nc_u32_e32 v119, 29, v119
	s_delay_alu instid0(VALU_DEP_1) | instskip(NEXT) | instid1(VALU_DEP_1)
	v_dual_cndmask_b32 v119, v129, v119 :: v_dual_lshlrev_b32 v128, v128, v69
	v_and_b32_e32 v128, 7, v128
	v_lshlrev_b32_e32 v69, 24, v69
	s_delay_alu instid0(VALU_DEP_3) | instskip(NEXT) | instid1(VALU_DEP_2)
	v_lshl_add_u32 v119, v119, 23, 0x3b800000
	v_dual_cndmask_b32 v118, v118, v128 :: v_dual_and_b32 v69, 0x80000000, v69
	s_delay_alu instid0(VALU_DEP_1) | instskip(NEXT) | instid1(VALU_DEP_1)
	v_lshlrev_b32_e32 v118, 20, v118
	v_or3_b32 v118, v69, v119, v118
.LBB6_7843:                             ;   in Loop: Header=BB6_7478 Depth=2
	s_or_b32 exec_lo, exec_lo, s25
	v_lshrrev_b32_e32 v69, 16, v12
	s_mov_b32 s10, 0
	s_mov_b32 s26, exec_lo
                                        ; implicit-def: $sgpr25
	s_delay_alu instid0(VALU_DEP_1) | instskip(NEXT) | instid1(VALU_DEP_1)
	v_and_b32_e32 v128, 0xff, v69
	v_cmpx_lt_i16_e64 0x7f, v128
	s_xor_b32 s26, exec_lo, s26
	s_cbranch_execnz .LBB6_8081
; %bb.7844:                             ;   in Loop: Header=BB6_7478 Depth=2
	s_or_saveexec_b32 s26, s26
	v_mov_b32_e32 v119, s25
	s_xor_b32 exec_lo, exec_lo, s26
	s_cbranch_execnz .LBB6_8084
.LBB6_7845:                             ;   in Loop: Header=BB6_7478 Depth=2
	s_or_b32 exec_lo, exec_lo, s26
	s_and_saveexec_b32 s25, s10
	s_cbranch_execz .LBB6_7847
.LBB6_7846:                             ;   in Loop: Header=BB6_7478 Depth=2
	v_bfe_u32 v119, v12, 16, 3
	s_delay_alu instid0(VALU_DEP_1) | instskip(NEXT) | instid1(VALU_DEP_1)
	v_clz_i32_u32_e32 v128, v119
	v_min_u32_e32 v128, 32, v128
	s_delay_alu instid0(VALU_DEP_1) | instskip(SKIP_1) | instid1(VALU_DEP_2)
	v_subrev_nc_u32_e32 v129, 28, v128
	v_sub_nc_u32_e32 v128, 29, v128
	v_lshlrev_b32_e32 v69, v129, v69
	v_bfe_u32 v129, v12, 19, 4
	s_delay_alu instid0(VALU_DEP_1) | instskip(NEXT) | instid1(VALU_DEP_3)
	v_cmp_eq_u32_e32 vcc_lo, 0, v129
	v_dual_cndmask_b32 v128, v129, v128 :: v_dual_and_b32 v69, 7, v69
	s_delay_alu instid0(VALU_DEP_1) | instskip(NEXT) | instid1(VALU_DEP_2)
	v_dual_cndmask_b32 v69, v119, v69 :: v_dual_lshlrev_b32 v130, 8, v12
	v_lshl_add_u32 v128, v128, 23, 0x3b800000
	s_delay_alu instid0(VALU_DEP_2) | instskip(NEXT) | instid1(VALU_DEP_3)
	v_and_b32_e32 v119, 0x80000000, v130
	v_lshlrev_b32_e32 v69, 20, v69
	s_delay_alu instid0(VALU_DEP_1)
	v_or3_b32 v119, v119, v128, v69
.LBB6_7847:                             ;   in Loop: Header=BB6_7478 Depth=2
	s_or_b32 exec_lo, exec_lo, s25
	s_delay_alu instid0(VALU_DEP_1) | instskip(NEXT) | instid1(VALU_DEP_1)
	v_add_f32_e32 v118, v118, v119
	v_and_b32_e32 v69, 0x7f800000, v118
	s_delay_alu instid0(VALU_DEP_1)
	v_cmp_ne_u32_e32 vcc_lo, 0x7f800000, v69
	v_mov_b32_e32 v69, 0x80
	s_and_saveexec_b32 s25, vcc_lo
	s_cbranch_execz .LBB6_7855
; %bb.7848:                             ;   in Loop: Header=BB6_7478 Depth=2
	v_mov_b32_e32 v69, 0
	s_mov_b32 s26, exec_lo
	v_cmpx_ne_u32_e32 0, v118
	s_cbranch_execz .LBB6_7854
; %bb.7849:                             ;   in Loop: Header=BB6_7478 Depth=2
	v_bfe_u32 v69, v118, 23, 8
	s_delay_alu instid0(VALU_DEP_1) | instskip(SKIP_1) | instid1(VALU_DEP_2)
	v_sub_nc_u32_e32 v128, 0x78, v69
	v_cmp_gt_u32_e32 vcc_lo, 0x79, v69
	v_dual_cndmask_b32 v128, 0, v128 :: v_dual_and_b32 v119, 0x7fffff, v118
	s_delay_alu instid0(VALU_DEP_1) | instskip(SKIP_2) | instid1(VALU_DEP_4)
	v_or_b32_e32 v129, 0x800000, v119
	v_cmp_eq_u32_e32 vcc_lo, 0, v69
	v_add_nc_u32_e32 v69, 0xffffff89, v69
	v_cndmask_b32_e64 v128, v128, 0x77, vcc_lo
	s_delay_alu instid0(VALU_DEP_2) | instskip(SKIP_1) | instid1(VALU_DEP_3)
	v_cndmask_b32_e64 v69, v69, 0xffffff8a, vcc_lo
	v_cndmask_b32_e32 v119, v129, v119, vcc_lo
	v_lshl_add_u32 v129, 0x100000, v128, -1
	v_lshlrev_b32_e64 v132, v128, 0x80000
	s_delay_alu instid0(VALU_DEP_3) | instskip(SKIP_1) | instid1(VALU_DEP_4)
	v_lshrrev_b32_e32 v130, v128, v119
	v_add_nc_u32_e32 v128, v128, v69
	v_and_b32_e32 v119, v129, v119
	s_delay_alu instid0(VALU_DEP_3) | instskip(NEXT) | instid1(VALU_DEP_2)
	v_bfe_u32 v131, v130, 20, 1
	v_cmp_eq_u32_e64 s10, v119, v132
	s_delay_alu instid0(VALU_DEP_2) | instskip(NEXT) | instid1(VALU_DEP_1)
	v_add_nc_u32_e32 v129, -1, v131
	v_cndmask_b32_e64 v119, 0, v129, s10
	v_lshrrev_b32_e32 v129, 23, v130
	s_mov_b32 s10, exec_lo
	s_delay_alu instid0(VALU_DEP_2) | instskip(NEXT) | instid1(VALU_DEP_2)
	v_add_nc_u32_e32 v119, v119, v130
	v_xor_b32_e32 v129, 1, v129
	s_delay_alu instid0(VALU_DEP_2) | instskip(NEXT) | instid1(VALU_DEP_1)
	v_and_b32_e32 v69, 0xfffff, v119
	v_add_nc_u32_e32 v119, v69, v130
                                        ; implicit-def: $vgpr69
	s_delay_alu instid0(VALU_DEP_3)
	v_cmpx_ne_u32_e64 v128, v129
	s_xor_b32 s10, exec_lo, s10
; %bb.7850:                             ;   in Loop: Header=BB6_7478 Depth=2
	s_delay_alu instid0(VALU_DEP_2) | instskip(SKIP_2) | instid1(VALU_DEP_2)
	v_cmp_lt_u32_e32 vcc_lo, 0xffffff, v119
	v_sub_nc_u32_e32 v69, v128, v129
	v_cndmask_b32_e64 v128, 0, 1, vcc_lo
	v_add_co_ci_u32_e32 v69, vcc_lo, 0, v69, vcc_lo
	s_delay_alu instid0(VALU_DEP_2)
	v_lshrrev_b32_e32 v119, v128, v119
; %bb.7851:                             ;   in Loop: Header=BB6_7478 Depth=2
	s_and_not1_saveexec_b32 s10, s10
; %bb.7852:                             ;   in Loop: Header=BB6_7478 Depth=2
	s_delay_alu instid0(VALU_DEP_1)
	v_bfe_u32 v69, v119, 23, 1
; %bb.7853:                             ;   in Loop: Header=BB6_7478 Depth=2
	s_or_b32 exec_lo, exec_lo, s10
	v_lshrrev_b32_e32 v119, 20, v119
	s_delay_alu instid0(VALU_DEP_2) | instskip(SKIP_2) | instid1(VALU_DEP_2)
	v_cmp_gt_i32_e32 vcc_lo, 16, v69
	v_lshrrev_b32_e32 v118, 24, v118
	v_min_i32_e32 v128, 15, v69
	v_dual_cndmask_b32 v119, 7, v119 :: v_dual_and_b32 v118, 0x80, v118
	s_delay_alu instid0(VALU_DEP_1) | instskip(SKIP_1) | instid1(VALU_DEP_2)
	v_or_b32_e32 v69, v69, v119
	v_and_b32_e32 v129, 7, v119
	v_cmp_ne_u32_e32 vcc_lo, 0, v69
	v_lshlrev_b32_e32 v128, 3, v128
	s_delay_alu instid0(VALU_DEP_1) | instskip(NEXT) | instid1(VALU_DEP_1)
	v_or3_b32 v118, v128, v118, v129
	v_cndmask_b32_e32 v69, 0, v118, vcc_lo
.LBB6_7854:                             ;   in Loop: Header=BB6_7478 Depth=2
	s_or_b32 exec_lo, exec_lo, s26
.LBB6_7855:                             ;   in Loop: Header=BB6_7478 Depth=2
	s_delay_alu instid0(SALU_CYCLE_1) | instskip(SKIP_3) | instid1(VALU_DEP_1)
	s_or_b32 exec_lo, exec_lo, s25
	v_and_b32_e32 v119, 0xff, v66
	s_mov_b32 s10, 0
	s_mov_b32 s26, exec_lo
                                        ; implicit-def: $sgpr25
	v_cmpx_lt_i16_e32 0x7f, v119
	s_xor_b32 s26, exec_lo, s26
	s_cbranch_execnz .LBB6_8085
; %bb.7856:                             ;   in Loop: Header=BB6_7478 Depth=2
	s_or_saveexec_b32 s26, s26
	v_mov_b32_e32 v118, s25
	s_xor_b32 exec_lo, exec_lo, s26
	s_cbranch_execnz .LBB6_8088
.LBB6_7857:                             ;   in Loop: Header=BB6_7478 Depth=2
	s_or_b32 exec_lo, exec_lo, s26
	s_and_saveexec_b32 s25, s10
	s_cbranch_execz .LBB6_7859
.LBB6_7858:                             ;   in Loop: Header=BB6_7478 Depth=2
	v_lshlrev_b32_e32 v66, 8, v66
	s_delay_alu instid0(VALU_DEP_1) | instskip(SKIP_1) | instid1(VALU_DEP_2)
	v_and_b32_e32 v118, 0xff00, v66
	v_bfe_u32 v66, v66, 11, 4
	v_bfe_u32 v128, v118, 8, 3
	s_delay_alu instid0(VALU_DEP_2) | instskip(SKIP_1) | instid1(VALU_DEP_3)
	v_cmp_eq_u32_e32 vcc_lo, 0, v66
	v_lshlrev_b32_e32 v118, 16, v118
	v_clz_i32_u32_e32 v129, v128
	s_delay_alu instid0(VALU_DEP_2) | instskip(NEXT) | instid1(VALU_DEP_2)
	v_and_b32_e32 v118, 0x80000000, v118
	v_min_u32_e32 v129, 32, v129
	s_delay_alu instid0(VALU_DEP_1) | instskip(SKIP_1) | instid1(VALU_DEP_2)
	v_subrev_nc_u32_e32 v130, 28, v129
	v_sub_nc_u32_e32 v129, 29, v129
	v_lshlrev_b32_e32 v119, v130, v119
	s_delay_alu instid0(VALU_DEP_1) | instskip(NEXT) | instid1(VALU_DEP_1)
	v_dual_cndmask_b32 v66, v66, v129 :: v_dual_and_b32 v119, 7, v119
	v_lshl_add_u32 v66, v66, 23, 0x3b800000
	s_delay_alu instid0(VALU_DEP_2) | instskip(NEXT) | instid1(VALU_DEP_1)
	v_cndmask_b32_e32 v119, v128, v119, vcc_lo
	v_lshlrev_b32_e32 v119, 20, v119
	s_delay_alu instid0(VALU_DEP_1)
	v_or3_b32 v118, v118, v66, v119
.LBB6_7859:                             ;   in Loop: Header=BB6_7478 Depth=2
	s_or_b32 exec_lo, exec_lo, s25
	v_lshrrev_b32_e32 v66, 24, v12
	s_mov_b32 s10, 0
	s_mov_b32 s26, exec_lo
                                        ; implicit-def: $sgpr25
	s_delay_alu instid0(VALU_DEP_1)
	v_cmpx_lt_i16_e32 0x7f, v66
	s_xor_b32 s26, exec_lo, s26
	s_cbranch_execnz .LBB6_8089
; %bb.7860:                             ;   in Loop: Header=BB6_7478 Depth=2
	s_or_saveexec_b32 s26, s26
	v_mov_b32_e32 v119, s25
	s_xor_b32 exec_lo, exec_lo, s26
	s_cbranch_execnz .LBB6_8092
.LBB6_7861:                             ;   in Loop: Header=BB6_7478 Depth=2
	s_or_b32 exec_lo, exec_lo, s26
	s_and_saveexec_b32 s25, s10
	s_cbranch_execz .LBB6_7863
.LBB6_7862:                             ;   in Loop: Header=BB6_7478 Depth=2
	v_bfe_u32 v119, v12, 24, 3
	s_delay_alu instid0(VALU_DEP_1) | instskip(NEXT) | instid1(VALU_DEP_1)
	v_clz_i32_u32_e32 v128, v119
	v_min_u32_e32 v128, 32, v128
	s_delay_alu instid0(VALU_DEP_1) | instskip(SKIP_1) | instid1(VALU_DEP_2)
	v_subrev_nc_u32_e32 v129, 28, v128
	v_sub_nc_u32_e32 v128, 29, v128
	v_lshlrev_b32_e32 v66, v129, v66
	v_bfe_u32 v129, v12, 27, 4
	v_and_b32_e32 v12, 0x80000000, v12
	s_delay_alu instid0(VALU_DEP_3) | instskip(NEXT) | instid1(VALU_DEP_3)
	v_and_b32_e32 v66, 7, v66
	v_cmp_eq_u32_e32 vcc_lo, 0, v129
	v_cndmask_b32_e32 v128, v129, v128, vcc_lo
	s_delay_alu instid0(VALU_DEP_3) | instskip(NEXT) | instid1(VALU_DEP_2)
	v_cndmask_b32_e32 v66, v119, v66, vcc_lo
	v_lshl_add_u32 v119, v128, 23, 0x3b800000
	s_delay_alu instid0(VALU_DEP_2) | instskip(NEXT) | instid1(VALU_DEP_1)
	v_lshlrev_b32_e32 v66, 20, v66
	v_or3_b32 v119, v12, v119, v66
.LBB6_7863:                             ;   in Loop: Header=BB6_7478 Depth=2
	s_or_b32 exec_lo, exec_lo, s25
	s_delay_alu instid0(VALU_DEP_1) | instskip(NEXT) | instid1(VALU_DEP_1)
	v_add_f32_e32 v66, v118, v119
	v_and_b32_e32 v12, 0x7f800000, v66
	s_delay_alu instid0(VALU_DEP_1)
	v_cmp_ne_u32_e32 vcc_lo, 0x7f800000, v12
	v_mov_b32_e32 v12, 0x80
	s_and_saveexec_b32 s25, vcc_lo
	s_cbranch_execz .LBB6_7871
; %bb.7864:                             ;   in Loop: Header=BB6_7478 Depth=2
	v_mov_b32_e32 v12, 0
	s_mov_b32 s26, exec_lo
	v_cmpx_ne_u32_e32 0, v66
	s_cbranch_execz .LBB6_7870
; %bb.7865:                             ;   in Loop: Header=BB6_7478 Depth=2
	v_bfe_u32 v12, v66, 23, 8
	s_delay_alu instid0(VALU_DEP_1) | instskip(SKIP_1) | instid1(VALU_DEP_2)
	v_sub_nc_u32_e32 v119, 0x78, v12
	v_cmp_gt_u32_e32 vcc_lo, 0x79, v12
	v_dual_cndmask_b32 v119, 0, v119 :: v_dual_and_b32 v118, 0x7fffff, v66
	s_delay_alu instid0(VALU_DEP_1) | instskip(SKIP_2) | instid1(VALU_DEP_4)
	v_or_b32_e32 v128, 0x800000, v118
	v_cmp_eq_u32_e32 vcc_lo, 0, v12
	v_add_nc_u32_e32 v12, 0xffffff89, v12
	v_cndmask_b32_e64 v119, v119, 0x77, vcc_lo
	s_delay_alu instid0(VALU_DEP_2) | instskip(SKIP_1) | instid1(VALU_DEP_3)
	v_cndmask_b32_e64 v12, v12, 0xffffff8a, vcc_lo
	v_cndmask_b32_e32 v118, v128, v118, vcc_lo
	v_lshl_add_u32 v128, 0x100000, v119, -1
	v_lshlrev_b32_e64 v131, v119, 0x80000
	s_delay_alu instid0(VALU_DEP_3) | instskip(SKIP_1) | instid1(VALU_DEP_4)
	v_lshrrev_b32_e32 v129, v119, v118
	v_add_nc_u32_e32 v119, v119, v12
	v_and_b32_e32 v118, v128, v118
	s_delay_alu instid0(VALU_DEP_3) | instskip(NEXT) | instid1(VALU_DEP_2)
	v_bfe_u32 v130, v129, 20, 1
	v_cmp_eq_u32_e64 s10, v118, v131
	s_delay_alu instid0(VALU_DEP_2) | instskip(NEXT) | instid1(VALU_DEP_1)
	v_add_nc_u32_e32 v128, -1, v130
	v_cndmask_b32_e64 v118, 0, v128, s10
	v_lshrrev_b32_e32 v128, 23, v129
	s_mov_b32 s10, exec_lo
	s_delay_alu instid0(VALU_DEP_2) | instskip(NEXT) | instid1(VALU_DEP_2)
	v_add_nc_u32_e32 v118, v118, v129
	v_xor_b32_e32 v128, 1, v128
	s_delay_alu instid0(VALU_DEP_2) | instskip(NEXT) | instid1(VALU_DEP_1)
	v_and_b32_e32 v12, 0xfffff, v118
	v_add_nc_u32_e32 v118, v12, v129
                                        ; implicit-def: $vgpr12
	s_delay_alu instid0(VALU_DEP_3)
	v_cmpx_ne_u32_e64 v119, v128
	s_xor_b32 s10, exec_lo, s10
; %bb.7866:                             ;   in Loop: Header=BB6_7478 Depth=2
	s_delay_alu instid0(VALU_DEP_2) | instskip(SKIP_2) | instid1(VALU_DEP_2)
	v_cmp_lt_u32_e32 vcc_lo, 0xffffff, v118
	v_sub_nc_u32_e32 v12, v119, v128
	v_cndmask_b32_e64 v119, 0, 1, vcc_lo
	v_add_co_ci_u32_e32 v12, vcc_lo, 0, v12, vcc_lo
	s_delay_alu instid0(VALU_DEP_2)
	v_lshrrev_b32_e32 v118, v119, v118
; %bb.7867:                             ;   in Loop: Header=BB6_7478 Depth=2
	s_and_not1_saveexec_b32 s10, s10
; %bb.7868:                             ;   in Loop: Header=BB6_7478 Depth=2
	s_delay_alu instid0(VALU_DEP_1)
	v_bfe_u32 v12, v118, 23, 1
; %bb.7869:                             ;   in Loop: Header=BB6_7478 Depth=2
	s_or_b32 exec_lo, exec_lo, s10
	v_lshrrev_b32_e32 v118, 20, v118
	s_delay_alu instid0(VALU_DEP_2) | instskip(SKIP_2) | instid1(VALU_DEP_4)
	v_cmp_gt_i32_e32 vcc_lo, 16, v12
	v_lshrrev_b32_e32 v66, 24, v66
	v_min_i32_e32 v119, 15, v12
	v_cndmask_b32_e32 v118, 7, v118, vcc_lo
	s_delay_alu instid0(VALU_DEP_3) | instskip(NEXT) | instid1(VALU_DEP_3)
	v_and_b32_e32 v66, 0x80, v66
	v_lshlrev_b32_e32 v119, 3, v119
	s_delay_alu instid0(VALU_DEP_3) | instskip(SKIP_1) | instid1(VALU_DEP_2)
	v_and_b32_e32 v128, 7, v118
	v_or_b32_e32 v12, v12, v118
	v_or3_b32 v66, v119, v66, v128
	s_delay_alu instid0(VALU_DEP_2) | instskip(NEXT) | instid1(VALU_DEP_2)
	v_cmp_ne_u32_e32 vcc_lo, 0, v12
	v_cndmask_b32_e32 v12, 0, v66, vcc_lo
.LBB6_7870:                             ;   in Loop: Header=BB6_7478 Depth=2
	s_or_b32 exec_lo, exec_lo, s26
.LBB6_7871:                             ;   in Loop: Header=BB6_7478 Depth=2
	s_delay_alu instid0(SALU_CYCLE_1) | instskip(SKIP_3) | instid1(VALU_DEP_1)
	s_or_b32 exec_lo, exec_lo, s25
	v_or_b32_e32 v66, v112, v65
	s_mov_b32 s10, 0
	s_mov_b32 s26, exec_lo
                                        ; implicit-def: $sgpr25
	v_and_b32_e32 v112, 0xff, v66
	s_delay_alu instid0(VALU_DEP_1)
	v_cmpx_lt_i16_e32 0x7f, v112
	s_xor_b32 s26, exec_lo, s26
	s_cbranch_execnz .LBB6_8093
; %bb.7872:                             ;   in Loop: Header=BB6_7478 Depth=2
	s_or_saveexec_b32 s26, s26
	v_mov_b32_e32 v65, s25
	s_xor_b32 exec_lo, exec_lo, s26
	s_cbranch_execnz .LBB6_8096
.LBB6_7873:                             ;   in Loop: Header=BB6_7478 Depth=2
	s_or_b32 exec_lo, exec_lo, s26
	s_and_saveexec_b32 s25, s10
	s_cbranch_execz .LBB6_7875
.LBB6_7874:                             ;   in Loop: Header=BB6_7478 Depth=2
	v_bfe_u32 v119, v66, 3, 4
	v_lshlrev_b32_e32 v128, 24, v66
	s_delay_alu instid0(VALU_DEP_2) | instskip(SKIP_1) | instid1(VALU_DEP_1)
	v_cmp_eq_u32_e32 vcc_lo, 0, v119
	v_and_b32_e32 v65, 7, v66
	v_clz_i32_u32_e32 v112, v65
	s_delay_alu instid0(VALU_DEP_1) | instskip(NEXT) | instid1(VALU_DEP_1)
	v_min_u32_e32 v112, 32, v112
	v_subrev_nc_u32_e32 v118, 28, v112
	v_sub_nc_u32_e32 v112, 29, v112
	s_delay_alu instid0(VALU_DEP_2) | instskip(NEXT) | instid1(VALU_DEP_2)
	v_lshlrev_b32_e32 v118, v118, v66
	v_cndmask_b32_e32 v112, v119, v112, vcc_lo
	s_delay_alu instid0(VALU_DEP_2) | instskip(NEXT) | instid1(VALU_DEP_2)
	v_and_b32_e32 v118, 7, v118
	v_lshl_add_u32 v112, v112, 23, 0x3b800000
	s_delay_alu instid0(VALU_DEP_2) | instskip(NEXT) | instid1(VALU_DEP_1)
	v_dual_cndmask_b32 v65, v65, v118 :: v_dual_and_b32 v118, 0x80000000, v128
	v_lshlrev_b32_e32 v65, 20, v65
	s_delay_alu instid0(VALU_DEP_1)
	v_or3_b32 v65, v118, v112, v65
.LBB6_7875:                             ;   in Loop: Header=BB6_7478 Depth=2
	s_or_b32 exec_lo, exec_lo, s25
	v_and_b32_e32 v118, 0xff, v13
	s_mov_b32 s10, 0
	s_mov_b32 s26, exec_lo
                                        ; implicit-def: $sgpr25
	s_delay_alu instid0(VALU_DEP_1)
	v_cmpx_lt_i16_e32 0x7f, v118
	s_xor_b32 s26, exec_lo, s26
	s_cbranch_execnz .LBB6_8097
; %bb.7876:                             ;   in Loop: Header=BB6_7478 Depth=2
	s_or_saveexec_b32 s26, s26
	v_mov_b32_e32 v112, s25
	s_xor_b32 exec_lo, exec_lo, s26
	s_cbranch_execnz .LBB6_8100
.LBB6_7877:                             ;   in Loop: Header=BB6_7478 Depth=2
	s_or_b32 exec_lo, exec_lo, s26
	s_and_saveexec_b32 s25, s10
	s_cbranch_execz .LBB6_7879
.LBB6_7878:                             ;   in Loop: Header=BB6_7478 Depth=2
	v_and_b32_e32 v112, 7, v13
	v_bfe_u32 v128, v13, 3, 4
	s_delay_alu instid0(VALU_DEP_2) | instskip(NEXT) | instid1(VALU_DEP_2)
	v_clz_i32_u32_e32 v118, v112
	v_cmp_eq_u32_e32 vcc_lo, 0, v128
	s_delay_alu instid0(VALU_DEP_2) | instskip(NEXT) | instid1(VALU_DEP_1)
	v_min_u32_e32 v118, 32, v118
	v_subrev_nc_u32_e32 v119, 28, v118
	v_sub_nc_u32_e32 v118, 29, v118
	s_delay_alu instid0(VALU_DEP_1) | instskip(NEXT) | instid1(VALU_DEP_1)
	v_dual_cndmask_b32 v118, v128, v118 :: v_dual_lshlrev_b32 v119, v119, v13
	v_and_b32_e32 v119, 7, v119
	v_lshlrev_b32_e32 v129, 24, v13
	s_delay_alu instid0(VALU_DEP_3) | instskip(NEXT) | instid1(VALU_DEP_2)
	v_lshl_add_u32 v118, v118, 23, 0x3b800000
	v_dual_cndmask_b32 v112, v112, v119 :: v_dual_and_b32 v119, 0x80000000, v129
	s_delay_alu instid0(VALU_DEP_1) | instskip(NEXT) | instid1(VALU_DEP_1)
	v_lshlrev_b32_e32 v112, 20, v112
	v_or3_b32 v112, v119, v118, v112
.LBB6_7879:                             ;   in Loop: Header=BB6_7478 Depth=2
	s_or_b32 exec_lo, exec_lo, s25
	s_delay_alu instid0(VALU_DEP_1) | instskip(NEXT) | instid1(VALU_DEP_1)
	v_add_f32_e32 v112, v65, v112
	v_and_b32_e32 v65, 0x7f800000, v112
	s_delay_alu instid0(VALU_DEP_1)
	v_cmp_ne_u32_e32 vcc_lo, 0x7f800000, v65
	v_mov_b32_e32 v65, 0x80
	s_and_saveexec_b32 s25, vcc_lo
	s_cbranch_execz .LBB6_7887
; %bb.7880:                             ;   in Loop: Header=BB6_7478 Depth=2
	v_mov_b32_e32 v65, 0
	s_mov_b32 s26, exec_lo
	v_cmpx_ne_u32_e32 0, v112
	s_cbranch_execz .LBB6_7886
; %bb.7881:                             ;   in Loop: Header=BB6_7478 Depth=2
	v_bfe_u32 v65, v112, 23, 8
	s_delay_alu instid0(VALU_DEP_1) | instskip(SKIP_1) | instid1(VALU_DEP_2)
	v_sub_nc_u32_e32 v119, 0x78, v65
	v_cmp_gt_u32_e32 vcc_lo, 0x79, v65
	v_dual_cndmask_b32 v119, 0, v119 :: v_dual_and_b32 v118, 0x7fffff, v112
	s_delay_alu instid0(VALU_DEP_1) | instskip(SKIP_2) | instid1(VALU_DEP_4)
	v_or_b32_e32 v128, 0x800000, v118
	v_cmp_eq_u32_e32 vcc_lo, 0, v65
	v_add_nc_u32_e32 v65, 0xffffff89, v65
	v_cndmask_b32_e64 v119, v119, 0x77, vcc_lo
	s_delay_alu instid0(VALU_DEP_4) | instskip(NEXT) | instid1(VALU_DEP_3)
	v_cndmask_b32_e32 v118, v128, v118, vcc_lo
	v_cndmask_b32_e64 v65, v65, 0xffffff8a, vcc_lo
	s_delay_alu instid0(VALU_DEP_3) | instskip(NEXT) | instid1(VALU_DEP_3)
	v_lshl_add_u32 v128, 0x100000, v119, -1
	v_lshrrev_b32_e32 v129, v119, v118
	v_lshlrev_b32_e64 v131, v119, 0x80000
	s_delay_alu instid0(VALU_DEP_4) | instskip(NEXT) | instid1(VALU_DEP_4)
	v_add_nc_u32_e32 v119, v119, v65
	v_and_b32_e32 v118, v128, v118
	s_delay_alu instid0(VALU_DEP_4) | instskip(NEXT) | instid1(VALU_DEP_2)
	v_bfe_u32 v130, v129, 20, 1
	v_cmp_eq_u32_e64 s10, v118, v131
	s_delay_alu instid0(VALU_DEP_2) | instskip(NEXT) | instid1(VALU_DEP_1)
	v_add_nc_u32_e32 v128, -1, v130
	v_cndmask_b32_e64 v118, 0, v128, s10
	v_lshrrev_b32_e32 v128, 23, v129
	s_mov_b32 s10, exec_lo
	s_delay_alu instid0(VALU_DEP_2) | instskip(NEXT) | instid1(VALU_DEP_2)
	v_add_nc_u32_e32 v118, v118, v129
	v_xor_b32_e32 v128, 1, v128
	s_delay_alu instid0(VALU_DEP_2) | instskip(NEXT) | instid1(VALU_DEP_1)
	v_and_b32_e32 v65, 0xfffff, v118
	v_add_nc_u32_e32 v118, v65, v129
                                        ; implicit-def: $vgpr65
	s_delay_alu instid0(VALU_DEP_3)
	v_cmpx_ne_u32_e64 v119, v128
	s_xor_b32 s10, exec_lo, s10
; %bb.7882:                             ;   in Loop: Header=BB6_7478 Depth=2
	s_delay_alu instid0(VALU_DEP_2) | instskip(SKIP_2) | instid1(VALU_DEP_2)
	v_cmp_lt_u32_e32 vcc_lo, 0xffffff, v118
	v_sub_nc_u32_e32 v65, v119, v128
	v_cndmask_b32_e64 v119, 0, 1, vcc_lo
	v_add_co_ci_u32_e32 v65, vcc_lo, 0, v65, vcc_lo
	s_delay_alu instid0(VALU_DEP_2)
	v_lshrrev_b32_e32 v118, v119, v118
; %bb.7883:                             ;   in Loop: Header=BB6_7478 Depth=2
	s_and_not1_saveexec_b32 s10, s10
; %bb.7884:                             ;   in Loop: Header=BB6_7478 Depth=2
	s_delay_alu instid0(VALU_DEP_1)
	v_bfe_u32 v65, v118, 23, 1
; %bb.7885:                             ;   in Loop: Header=BB6_7478 Depth=2
	s_or_b32 exec_lo, exec_lo, s10
	v_lshrrev_b32_e32 v118, 20, v118
	s_delay_alu instid0(VALU_DEP_2) | instskip(SKIP_2) | instid1(VALU_DEP_2)
	v_cmp_gt_i32_e32 vcc_lo, 16, v65
	v_min_i32_e32 v119, 15, v65
	v_lshrrev_b32_e32 v112, 24, v112
	v_dual_cndmask_b32 v118, 7, v118 :: v_dual_lshlrev_b32 v119, 3, v119
	s_delay_alu instid0(VALU_DEP_2) | instskip(NEXT) | instid1(VALU_DEP_2)
	v_and_b32_e32 v112, 0x80, v112
	v_or_b32_e32 v65, v65, v118
	s_delay_alu instid0(VALU_DEP_1) | instskip(SKIP_1) | instid1(VALU_DEP_1)
	v_cmp_ne_u32_e32 vcc_lo, 0, v65
	v_and_b32_e32 v128, 7, v118
	v_or3_b32 v112, v119, v112, v128
	s_delay_alu instid0(VALU_DEP_1)
	v_cndmask_b32_e32 v65, 0, v112, vcc_lo
.LBB6_7886:                             ;   in Loop: Header=BB6_7478 Depth=2
	s_or_b32 exec_lo, exec_lo, s26
.LBB6_7887:                             ;   in Loop: Header=BB6_7478 Depth=2
	s_delay_alu instid0(SALU_CYCLE_1) | instskip(SKIP_3) | instid1(VALU_DEP_1)
	s_or_b32 exec_lo, exec_lo, s25
	v_lshrrev_b16 v118, 8, v66
	s_mov_b32 s10, 0
	s_mov_b32 s26, exec_lo
                                        ; implicit-def: $sgpr25
	v_cmpx_lt_i16_e32 0x7f, v118
	s_xor_b32 s26, exec_lo, s26
	s_cbranch_execnz .LBB6_8101
; %bb.7888:                             ;   in Loop: Header=BB6_7478 Depth=2
	s_or_saveexec_b32 s26, s26
	v_mov_b32_e32 v112, s25
	s_xor_b32 exec_lo, exec_lo, s26
	s_cbranch_execnz .LBB6_8104
.LBB6_7889:                             ;   in Loop: Header=BB6_7478 Depth=2
	s_or_b32 exec_lo, exec_lo, s26
	s_and_saveexec_b32 s25, s10
	s_cbranch_execz .LBB6_7891
.LBB6_7890:                             ;   in Loop: Header=BB6_7478 Depth=2
	v_and_b32_e32 v112, 0xffff, v118
	v_lshlrev_b32_e32 v118, 24, v118
	s_delay_alu instid0(VALU_DEP_2) | instskip(NEXT) | instid1(VALU_DEP_2)
	v_and_b32_e32 v119, 7, v112
	v_and_b32_e32 v118, 0x80000000, v118
	s_delay_alu instid0(VALU_DEP_2) | instskip(NEXT) | instid1(VALU_DEP_1)
	v_clz_i32_u32_e32 v128, v119
	v_min_u32_e32 v128, 32, v128
	s_delay_alu instid0(VALU_DEP_1) | instskip(SKIP_1) | instid1(VALU_DEP_2)
	v_subrev_nc_u32_e32 v129, 28, v128
	v_sub_nc_u32_e32 v128, 29, v128
	v_lshlrev_b32_e32 v129, v129, v112
	v_bfe_u32 v112, v112, 3, 4
	s_delay_alu instid0(VALU_DEP_1) | instskip(NEXT) | instid1(VALU_DEP_3)
	v_cmp_eq_u32_e32 vcc_lo, 0, v112
	v_dual_cndmask_b32 v112, v112, v128 :: v_dual_and_b32 v129, 7, v129
	s_delay_alu instid0(VALU_DEP_1) | instskip(NEXT) | instid1(VALU_DEP_2)
	v_cndmask_b32_e32 v119, v119, v129, vcc_lo
	v_lshl_add_u32 v112, v112, 23, 0x3b800000
	s_delay_alu instid0(VALU_DEP_2) | instskip(NEXT) | instid1(VALU_DEP_1)
	v_lshlrev_b32_e32 v119, 20, v119
	v_or3_b32 v112, v118, v112, v119
.LBB6_7891:                             ;   in Loop: Header=BB6_7478 Depth=2
	s_or_b32 exec_lo, exec_lo, s25
	v_lshrrev_b16 v118, 8, v13
	s_mov_b32 s10, 0
	s_mov_b32 s26, exec_lo
                                        ; implicit-def: $sgpr25
	s_delay_alu instid0(VALU_DEP_1)
	v_cmpx_lt_i16_e32 0x7f, v118
	s_xor_b32 s26, exec_lo, s26
	s_cbranch_execnz .LBB6_8105
; %bb.7892:                             ;   in Loop: Header=BB6_7478 Depth=2
	s_or_saveexec_b32 s26, s26
	v_mov_b32_e32 v119, s25
	s_xor_b32 exec_lo, exec_lo, s26
	s_cbranch_execnz .LBB6_8108
.LBB6_7893:                             ;   in Loop: Header=BB6_7478 Depth=2
	s_or_b32 exec_lo, exec_lo, s26
	s_and_saveexec_b32 s25, s10
	s_cbranch_execz .LBB6_7895
.LBB6_7894:                             ;   in Loop: Header=BB6_7478 Depth=2
	v_and_b32_e32 v119, 0xffff, v118
	v_lshlrev_b32_e32 v118, 24, v118
	s_delay_alu instid0(VALU_DEP_2) | instskip(NEXT) | instid1(VALU_DEP_2)
	v_and_b32_e32 v128, 7, v119
	v_and_b32_e32 v118, 0x80000000, v118
	s_delay_alu instid0(VALU_DEP_2) | instskip(NEXT) | instid1(VALU_DEP_1)
	v_clz_i32_u32_e32 v129, v128
	v_min_u32_e32 v129, 32, v129
	s_delay_alu instid0(VALU_DEP_1) | instskip(SKIP_1) | instid1(VALU_DEP_2)
	v_subrev_nc_u32_e32 v130, 28, v129
	v_sub_nc_u32_e32 v129, 29, v129
	v_lshlrev_b32_e32 v130, v130, v119
	v_bfe_u32 v119, v119, 3, 4
	s_delay_alu instid0(VALU_DEP_2) | instskip(NEXT) | instid1(VALU_DEP_2)
	v_and_b32_e32 v130, 7, v130
	v_cmp_eq_u32_e32 vcc_lo, 0, v119
	s_delay_alu instid0(VALU_DEP_2) | instskip(NEXT) | instid1(VALU_DEP_1)
	v_dual_cndmask_b32 v119, v119, v129 :: v_dual_cndmask_b32 v128, v128, v130
	v_lshl_add_u32 v119, v119, 23, 0x3b800000
	s_delay_alu instid0(VALU_DEP_2) | instskip(NEXT) | instid1(VALU_DEP_1)
	v_lshlrev_b32_e32 v128, 20, v128
	v_or3_b32 v119, v118, v119, v128
.LBB6_7895:                             ;   in Loop: Header=BB6_7478 Depth=2
	s_or_b32 exec_lo, exec_lo, s25
	s_delay_alu instid0(VALU_DEP_1) | instskip(NEXT) | instid1(VALU_DEP_1)
	v_add_f32_e32 v118, v112, v119
	v_and_b32_e32 v112, 0x7f800000, v118
	s_delay_alu instid0(VALU_DEP_1)
	v_cmp_ne_u32_e32 vcc_lo, 0x7f800000, v112
	v_mov_b32_e32 v112, 0x8000
	s_and_saveexec_b32 s25, vcc_lo
	s_cbranch_execz .LBB6_7903
; %bb.7896:                             ;   in Loop: Header=BB6_7478 Depth=2
	v_mov_b32_e32 v112, 0
	s_mov_b32 s26, exec_lo
	v_cmpx_ne_u32_e32 0, v118
	s_cbranch_execz .LBB6_7902
; %bb.7897:                             ;   in Loop: Header=BB6_7478 Depth=2
	v_bfe_u32 v112, v118, 23, 8
	s_delay_alu instid0(VALU_DEP_1) | instskip(SKIP_1) | instid1(VALU_DEP_2)
	v_sub_nc_u32_e32 v128, 0x78, v112
	v_cmp_gt_u32_e32 vcc_lo, 0x79, v112
	v_dual_cndmask_b32 v128, 0, v128 :: v_dual_and_b32 v119, 0x7fffff, v118
	s_delay_alu instid0(VALU_DEP_1) | instskip(SKIP_2) | instid1(VALU_DEP_4)
	v_or_b32_e32 v129, 0x800000, v119
	v_cmp_eq_u32_e32 vcc_lo, 0, v112
	v_add_nc_u32_e32 v112, 0xffffff89, v112
	v_cndmask_b32_e64 v128, v128, 0x77, vcc_lo
	s_delay_alu instid0(VALU_DEP_4) | instskip(NEXT) | instid1(VALU_DEP_3)
	v_cndmask_b32_e32 v119, v129, v119, vcc_lo
	v_cndmask_b32_e64 v112, v112, 0xffffff8a, vcc_lo
	s_delay_alu instid0(VALU_DEP_3) | instskip(NEXT) | instid1(VALU_DEP_3)
	v_lshl_add_u32 v129, 0x100000, v128, -1
	v_lshrrev_b32_e32 v130, v128, v119
	v_lshlrev_b32_e64 v132, v128, 0x80000
	s_delay_alu instid0(VALU_DEP_4) | instskip(NEXT) | instid1(VALU_DEP_4)
	v_add_nc_u32_e32 v128, v128, v112
	v_and_b32_e32 v119, v129, v119
	s_delay_alu instid0(VALU_DEP_4) | instskip(NEXT) | instid1(VALU_DEP_2)
	v_bfe_u32 v131, v130, 20, 1
	v_cmp_eq_u32_e64 s10, v119, v132
	s_delay_alu instid0(VALU_DEP_2) | instskip(NEXT) | instid1(VALU_DEP_1)
	v_add_nc_u32_e32 v129, -1, v131
	v_cndmask_b32_e64 v119, 0, v129, s10
	v_lshrrev_b32_e32 v129, 23, v130
	s_mov_b32 s10, exec_lo
	s_delay_alu instid0(VALU_DEP_2) | instskip(NEXT) | instid1(VALU_DEP_2)
	v_add_nc_u32_e32 v119, v119, v130
	v_xor_b32_e32 v129, 1, v129
	s_delay_alu instid0(VALU_DEP_2) | instskip(NEXT) | instid1(VALU_DEP_1)
	v_and_b32_e32 v112, 0xfffff, v119
	v_add_nc_u32_e32 v119, v112, v130
                                        ; implicit-def: $vgpr112
	s_delay_alu instid0(VALU_DEP_3)
	v_cmpx_ne_u32_e64 v128, v129
	s_xor_b32 s10, exec_lo, s10
; %bb.7898:                             ;   in Loop: Header=BB6_7478 Depth=2
	s_delay_alu instid0(VALU_DEP_2) | instskip(SKIP_2) | instid1(VALU_DEP_2)
	v_cmp_lt_u32_e32 vcc_lo, 0xffffff, v119
	v_sub_nc_u32_e32 v112, v128, v129
	v_cndmask_b32_e64 v128, 0, 1, vcc_lo
	v_add_co_ci_u32_e32 v112, vcc_lo, 0, v112, vcc_lo
	s_delay_alu instid0(VALU_DEP_2)
	v_lshrrev_b32_e32 v119, v128, v119
; %bb.7899:                             ;   in Loop: Header=BB6_7478 Depth=2
	s_and_not1_saveexec_b32 s10, s10
; %bb.7900:                             ;   in Loop: Header=BB6_7478 Depth=2
	s_delay_alu instid0(VALU_DEP_1)
	v_bfe_u32 v112, v119, 23, 1
; %bb.7901:                             ;   in Loop: Header=BB6_7478 Depth=2
	s_or_b32 exec_lo, exec_lo, s10
	v_lshrrev_b32_e32 v119, 20, v119
	s_delay_alu instid0(VALU_DEP_2) | instskip(SKIP_2) | instid1(VALU_DEP_2)
	v_cmp_gt_i32_e32 vcc_lo, 16, v112
	v_min_i32_e32 v128, 15, v112
	v_lshrrev_b32_e32 v118, 24, v118
	v_dual_cndmask_b32 v119, 7, v119 :: v_dual_lshlrev_b32 v128, 3, v128
	s_delay_alu instid0(VALU_DEP_2) | instskip(NEXT) | instid1(VALU_DEP_2)
	v_and_b32_e32 v118, 0x80, v118
	v_or_b32_e32 v112, v112, v119
	s_delay_alu instid0(VALU_DEP_3) | instskip(NEXT) | instid1(VALU_DEP_2)
	v_and_b32_e32 v128, 0xf8, v128
	v_cmp_ne_u32_e32 vcc_lo, 0, v112
	v_and_b32_e32 v129, 7, v119
	s_delay_alu instid0(VALU_DEP_1) | instskip(NEXT) | instid1(VALU_DEP_1)
	v_or3_b32 v118, v118, v128, v129
	v_lshlrev_b32_e32 v118, 8, v118
	s_delay_alu instid0(VALU_DEP_1)
	v_cndmask_b32_e32 v112, 0, v118, vcc_lo
.LBB6_7902:                             ;   in Loop: Header=BB6_7478 Depth=2
	s_or_b32 exec_lo, exec_lo, s26
.LBB6_7903:                             ;   in Loop: Header=BB6_7478 Depth=2
	s_delay_alu instid0(SALU_CYCLE_1) | instskip(SKIP_3) | instid1(VALU_DEP_1)
	s_or_b32 exec_lo, exec_lo, s25
	v_or_b32_e32 v68, v68, v64
	s_mov_b32 s10, 0
	s_mov_b32 s26, exec_lo
                                        ; implicit-def: $sgpr25
	v_and_b32_e32 v118, 0xff, v68
	s_delay_alu instid0(VALU_DEP_1)
	v_cmpx_lt_i16_e32 0x7f, v118
	s_xor_b32 s26, exec_lo, s26
	s_cbranch_execnz .LBB6_8109
; %bb.7904:                             ;   in Loop: Header=BB6_7478 Depth=2
	s_or_saveexec_b32 s26, s26
	v_mov_b32_e32 v64, s25
	s_xor_b32 exec_lo, exec_lo, s26
	s_cbranch_execnz .LBB6_8112
.LBB6_7905:                             ;   in Loop: Header=BB6_7478 Depth=2
	s_or_b32 exec_lo, exec_lo, s26
	v_lshl_or_b32 v66, v68, 16, v66
	s_and_saveexec_b32 s25, s10
	s_cbranch_execz .LBB6_7907
.LBB6_7906:                             ;   in Loop: Header=BB6_7478 Depth=2
	s_delay_alu instid0(VALU_DEP_1) | instskip(SKIP_2) | instid1(VALU_DEP_3)
	v_bfe_u32 v64, v66, 16, 3
	v_lshrrev_b32_e32 v118, 16, v66
	v_lshlrev_b32_e32 v128, 8, v66
	v_clz_i32_u32_e32 v68, v64
	s_delay_alu instid0(VALU_DEP_1) | instskip(NEXT) | instid1(VALU_DEP_1)
	v_min_u32_e32 v68, 32, v68
	v_subrev_nc_u32_e32 v119, 28, v68
	v_sub_nc_u32_e32 v68, 29, v68
	s_delay_alu instid0(VALU_DEP_2) | instskip(SKIP_1) | instid1(VALU_DEP_2)
	v_lshlrev_b32_e32 v118, v119, v118
	v_bfe_u32 v119, v66, 19, 4
	v_and_b32_e32 v118, 7, v118
	s_delay_alu instid0(VALU_DEP_2) | instskip(SKIP_1) | instid1(VALU_DEP_3)
	v_cmp_eq_u32_e32 vcc_lo, 0, v119
	v_cndmask_b32_e32 v68, v119, v68, vcc_lo
	v_cndmask_b32_e32 v64, v64, v118, vcc_lo
	v_and_b32_e32 v118, 0x80000000, v128
	s_delay_alu instid0(VALU_DEP_3) | instskip(NEXT) | instid1(VALU_DEP_3)
	v_lshl_add_u32 v68, v68, 23, 0x3b800000
	v_lshlrev_b32_e32 v64, 20, v64
	s_delay_alu instid0(VALU_DEP_1)
	v_or3_b32 v64, v118, v68, v64
.LBB6_7907:                             ;   in Loop: Header=BB6_7478 Depth=2
	s_or_b32 exec_lo, exec_lo, s25
	v_lshrrev_b32_e32 v68, 16, v13
	s_mov_b32 s10, 0
	s_mov_b32 s26, exec_lo
                                        ; implicit-def: $sgpr25
	s_delay_alu instid0(VALU_DEP_1) | instskip(NEXT) | instid1(VALU_DEP_1)
	v_and_b32_e32 v119, 0xff, v68
	v_cmpx_lt_i16_e32 0x7f, v119
	s_xor_b32 s26, exec_lo, s26
	s_cbranch_execnz .LBB6_8113
; %bb.7908:                             ;   in Loop: Header=BB6_7478 Depth=2
	s_or_saveexec_b32 s26, s26
	v_mov_b32_e32 v118, s25
	s_xor_b32 exec_lo, exec_lo, s26
	s_cbranch_execnz .LBB6_8116
.LBB6_7909:                             ;   in Loop: Header=BB6_7478 Depth=2
	s_or_b32 exec_lo, exec_lo, s26
	s_and_saveexec_b32 s25, s10
	s_cbranch_execz .LBB6_7911
.LBB6_7910:                             ;   in Loop: Header=BB6_7478 Depth=2
	v_bfe_u32 v118, v13, 16, 3
	s_delay_alu instid0(VALU_DEP_1) | instskip(NEXT) | instid1(VALU_DEP_1)
	v_clz_i32_u32_e32 v119, v118
	v_min_u32_e32 v119, 32, v119
	s_delay_alu instid0(VALU_DEP_1) | instskip(SKIP_1) | instid1(VALU_DEP_2)
	v_subrev_nc_u32_e32 v128, 28, v119
	v_sub_nc_u32_e32 v119, 29, v119
	v_lshlrev_b32_e32 v68, v128, v68
	v_bfe_u32 v128, v13, 19, 4
	s_delay_alu instid0(VALU_DEP_1) | instskip(NEXT) | instid1(VALU_DEP_3)
	v_cmp_eq_u32_e32 vcc_lo, 0, v128
	v_dual_cndmask_b32 v119, v128, v119 :: v_dual_and_b32 v68, 7, v68
	s_delay_alu instid0(VALU_DEP_1) | instskip(NEXT) | instid1(VALU_DEP_2)
	v_dual_cndmask_b32 v68, v118, v68 :: v_dual_lshlrev_b32 v129, 8, v13
	v_lshl_add_u32 v119, v119, 23, 0x3b800000
	s_delay_alu instid0(VALU_DEP_2) | instskip(NEXT) | instid1(VALU_DEP_3)
	v_and_b32_e32 v118, 0x80000000, v129
	v_lshlrev_b32_e32 v68, 20, v68
	s_delay_alu instid0(VALU_DEP_1)
	v_or3_b32 v118, v118, v119, v68
.LBB6_7911:                             ;   in Loop: Header=BB6_7478 Depth=2
	s_or_b32 exec_lo, exec_lo, s25
	s_delay_alu instid0(VALU_DEP_1) | instskip(NEXT) | instid1(VALU_DEP_1)
	v_add_f32_e32 v68, v64, v118
	v_and_b32_e32 v64, 0x7f800000, v68
	s_delay_alu instid0(VALU_DEP_1)
	v_cmp_ne_u32_e32 vcc_lo, 0x7f800000, v64
	v_mov_b32_e32 v64, 0x80
	s_and_saveexec_b32 s25, vcc_lo
	s_cbranch_execz .LBB6_7919
; %bb.7912:                             ;   in Loop: Header=BB6_7478 Depth=2
	v_mov_b32_e32 v64, 0
	s_mov_b32 s26, exec_lo
	v_cmpx_ne_u32_e32 0, v68
	s_cbranch_execz .LBB6_7918
; %bb.7913:                             ;   in Loop: Header=BB6_7478 Depth=2
	v_bfe_u32 v64, v68, 23, 8
	s_delay_alu instid0(VALU_DEP_1) | instskip(SKIP_1) | instid1(VALU_DEP_2)
	v_sub_nc_u32_e32 v119, 0x78, v64
	v_cmp_gt_u32_e32 vcc_lo, 0x79, v64
	v_dual_cndmask_b32 v119, 0, v119 :: v_dual_and_b32 v118, 0x7fffff, v68
	s_delay_alu instid0(VALU_DEP_1) | instskip(SKIP_2) | instid1(VALU_DEP_4)
	v_or_b32_e32 v128, 0x800000, v118
	v_cmp_eq_u32_e32 vcc_lo, 0, v64
	v_add_nc_u32_e32 v64, 0xffffff89, v64
	v_cndmask_b32_e64 v119, v119, 0x77, vcc_lo
	s_delay_alu instid0(VALU_DEP_2) | instskip(SKIP_1) | instid1(VALU_DEP_3)
	v_cndmask_b32_e64 v64, v64, 0xffffff8a, vcc_lo
	v_cndmask_b32_e32 v118, v128, v118, vcc_lo
	v_lshl_add_u32 v128, 0x100000, v119, -1
	v_lshlrev_b32_e64 v131, v119, 0x80000
	s_delay_alu instid0(VALU_DEP_3) | instskip(SKIP_1) | instid1(VALU_DEP_4)
	v_lshrrev_b32_e32 v129, v119, v118
	v_add_nc_u32_e32 v119, v119, v64
	v_and_b32_e32 v118, v128, v118
	s_delay_alu instid0(VALU_DEP_3) | instskip(NEXT) | instid1(VALU_DEP_2)
	v_bfe_u32 v130, v129, 20, 1
	v_cmp_eq_u32_e64 s10, v118, v131
	s_delay_alu instid0(VALU_DEP_2) | instskip(NEXT) | instid1(VALU_DEP_1)
	v_add_nc_u32_e32 v128, -1, v130
	v_cndmask_b32_e64 v118, 0, v128, s10
	v_lshrrev_b32_e32 v128, 23, v129
	s_mov_b32 s10, exec_lo
	s_delay_alu instid0(VALU_DEP_2) | instskip(NEXT) | instid1(VALU_DEP_2)
	v_add_nc_u32_e32 v118, v118, v129
	v_xor_b32_e32 v128, 1, v128
	s_delay_alu instid0(VALU_DEP_2) | instskip(NEXT) | instid1(VALU_DEP_1)
	v_and_b32_e32 v64, 0xfffff, v118
	v_add_nc_u32_e32 v118, v64, v129
                                        ; implicit-def: $vgpr64
	s_delay_alu instid0(VALU_DEP_3)
	v_cmpx_ne_u32_e64 v119, v128
	s_xor_b32 s10, exec_lo, s10
; %bb.7914:                             ;   in Loop: Header=BB6_7478 Depth=2
	s_delay_alu instid0(VALU_DEP_2) | instskip(SKIP_2) | instid1(VALU_DEP_2)
	v_cmp_lt_u32_e32 vcc_lo, 0xffffff, v118
	v_sub_nc_u32_e32 v64, v119, v128
	v_cndmask_b32_e64 v119, 0, 1, vcc_lo
	v_add_co_ci_u32_e32 v64, vcc_lo, 0, v64, vcc_lo
	s_delay_alu instid0(VALU_DEP_2)
	v_lshrrev_b32_e32 v118, v119, v118
; %bb.7915:                             ;   in Loop: Header=BB6_7478 Depth=2
	s_and_not1_saveexec_b32 s10, s10
; %bb.7916:                             ;   in Loop: Header=BB6_7478 Depth=2
	s_delay_alu instid0(VALU_DEP_1)
	v_bfe_u32 v64, v118, 23, 1
; %bb.7917:                             ;   in Loop: Header=BB6_7478 Depth=2
	s_or_b32 exec_lo, exec_lo, s10
	v_lshrrev_b32_e32 v118, 20, v118
	s_delay_alu instid0(VALU_DEP_2) | instskip(SKIP_2) | instid1(VALU_DEP_2)
	v_cmp_gt_i32_e32 vcc_lo, 16, v64
	v_min_i32_e32 v119, 15, v64
	v_lshrrev_b32_e32 v68, 24, v68
	v_dual_cndmask_b32 v118, 7, v118 :: v_dual_lshlrev_b32 v119, 3, v119
	s_delay_alu instid0(VALU_DEP_2) | instskip(NEXT) | instid1(VALU_DEP_2)
	v_and_b32_e32 v68, 0x80, v68
	v_or_b32_e32 v64, v64, v118
	v_and_b32_e32 v128, 7, v118
	s_delay_alu instid0(VALU_DEP_2) | instskip(SKIP_1) | instid1(VALU_DEP_1)
	v_cmp_ne_u32_e32 vcc_lo, 0, v64
	v_and_b32_e32 v119, 0xf8, v119
	v_or3_b32 v68, v119, v68, v128
	s_delay_alu instid0(VALU_DEP_1)
	v_cndmask_b32_e32 v64, 0, v68, vcc_lo
.LBB6_7918:                             ;   in Loop: Header=BB6_7478 Depth=2
	s_or_b32 exec_lo, exec_lo, s26
.LBB6_7919:                             ;   in Loop: Header=BB6_7478 Depth=2
	s_delay_alu instid0(SALU_CYCLE_1) | instskip(SKIP_3) | instid1(VALU_DEP_1)
	s_or_b32 exec_lo, exec_lo, s25
	v_lshrrev_b32_e32 v118, 24, v66
	s_mov_b32 s10, 0
	s_mov_b32 s26, exec_lo
                                        ; implicit-def: $sgpr25
	v_cmpx_lt_i16_e32 0x7f, v118
	s_xor_b32 s26, exec_lo, s26
	s_cbranch_execnz .LBB6_8117
; %bb.7920:                             ;   in Loop: Header=BB6_7478 Depth=2
	s_or_saveexec_b32 s26, s26
	v_mov_b32_e32 v68, s25
	s_xor_b32 exec_lo, exec_lo, s26
	s_cbranch_execnz .LBB6_8120
.LBB6_7921:                             ;   in Loop: Header=BB6_7478 Depth=2
	s_or_b32 exec_lo, exec_lo, s26
	s_and_saveexec_b32 s25, s10
	s_cbranch_execz .LBB6_7923
.LBB6_7922:                             ;   in Loop: Header=BB6_7478 Depth=2
	v_bfe_u32 v68, v66, 24, 3
	s_delay_alu instid0(VALU_DEP_1) | instskip(NEXT) | instid1(VALU_DEP_1)
	v_clz_i32_u32_e32 v119, v68
	v_min_u32_e32 v119, 32, v119
	s_delay_alu instid0(VALU_DEP_1) | instskip(SKIP_1) | instid1(VALU_DEP_2)
	v_subrev_nc_u32_e32 v128, 28, v119
	v_sub_nc_u32_e32 v119, 29, v119
	v_lshlrev_b32_e32 v118, v128, v118
	v_bfe_u32 v128, v66, 27, 4
	v_and_b32_e32 v66, 0x80000000, v66
	s_delay_alu instid0(VALU_DEP_2) | instskip(NEXT) | instid1(VALU_DEP_4)
	v_cmp_eq_u32_e32 vcc_lo, 0, v128
	v_dual_cndmask_b32 v119, v128, v119 :: v_dual_and_b32 v118, 7, v118
	s_delay_alu instid0(VALU_DEP_1) | instskip(NEXT) | instid1(VALU_DEP_2)
	v_cndmask_b32_e32 v68, v68, v118, vcc_lo
	v_lshl_add_u32 v118, v119, 23, 0x3b800000
	s_delay_alu instid0(VALU_DEP_2) | instskip(NEXT) | instid1(VALU_DEP_1)
	v_lshlrev_b32_e32 v68, 20, v68
	v_or3_b32 v68, v66, v118, v68
.LBB6_7923:                             ;   in Loop: Header=BB6_7478 Depth=2
	s_or_b32 exec_lo, exec_lo, s25
	v_lshrrev_b32_e32 v66, 24, v13
	s_mov_b32 s10, 0
	s_mov_b32 s26, exec_lo
                                        ; implicit-def: $sgpr25
	s_delay_alu instid0(VALU_DEP_1)
	v_cmpx_lt_i16_e32 0x7f, v66
	s_xor_b32 s26, exec_lo, s26
	s_cbranch_execnz .LBB6_8121
; %bb.7924:                             ;   in Loop: Header=BB6_7478 Depth=2
	s_or_saveexec_b32 s26, s26
	v_mov_b32_e32 v118, s25
	s_xor_b32 exec_lo, exec_lo, s26
	s_cbranch_execnz .LBB6_8124
.LBB6_7925:                             ;   in Loop: Header=BB6_7478 Depth=2
	s_or_b32 exec_lo, exec_lo, s26
	s_and_saveexec_b32 s25, s10
	s_cbranch_execz .LBB6_7927
.LBB6_7926:                             ;   in Loop: Header=BB6_7478 Depth=2
	v_bfe_u32 v118, v13, 24, 3
	s_delay_alu instid0(VALU_DEP_1) | instskip(NEXT) | instid1(VALU_DEP_1)
	v_clz_i32_u32_e32 v119, v118
	v_min_u32_e32 v119, 32, v119
	s_delay_alu instid0(VALU_DEP_1) | instskip(SKIP_1) | instid1(VALU_DEP_2)
	v_subrev_nc_u32_e32 v128, 28, v119
	v_sub_nc_u32_e32 v119, 29, v119
	v_lshlrev_b32_e32 v66, v128, v66
	v_bfe_u32 v128, v13, 27, 4
	v_and_b32_e32 v13, 0x80000000, v13
	s_delay_alu instid0(VALU_DEP_2) | instskip(NEXT) | instid1(VALU_DEP_4)
	v_cmp_eq_u32_e32 vcc_lo, 0, v128
	v_dual_cndmask_b32 v119, v128, v119 :: v_dual_and_b32 v66, 7, v66
	s_delay_alu instid0(VALU_DEP_1) | instskip(NEXT) | instid1(VALU_DEP_2)
	v_cndmask_b32_e32 v66, v118, v66, vcc_lo
	v_lshl_add_u32 v118, v119, 23, 0x3b800000
	s_delay_alu instid0(VALU_DEP_2) | instskip(NEXT) | instid1(VALU_DEP_1)
	v_lshlrev_b32_e32 v66, 20, v66
	v_or3_b32 v118, v13, v118, v66
.LBB6_7927:                             ;   in Loop: Header=BB6_7478 Depth=2
	s_or_b32 exec_lo, exec_lo, s25
	s_delay_alu instid0(VALU_DEP_1) | instskip(NEXT) | instid1(VALU_DEP_1)
	v_add_f32_e32 v13, v68, v118
	v_and_b32_e32 v66, 0x7f800000, v13
	s_delay_alu instid0(VALU_DEP_1)
	v_cmp_ne_u32_e32 vcc_lo, 0x7f800000, v66
	v_mov_b32_e32 v66, 0x8000
	s_and_saveexec_b32 s25, vcc_lo
	s_cbranch_execz .LBB6_7477
; %bb.7928:                             ;   in Loop: Header=BB6_7478 Depth=2
	v_mov_b32_e32 v66, 0
	s_mov_b32 s26, exec_lo
	v_cmpx_ne_u32_e32 0, v13
	s_cbranch_execz .LBB6_7476
; %bb.7929:                             ;   in Loop: Header=BB6_7478 Depth=2
	v_bfe_u32 v66, v13, 23, 8
	v_and_b32_e32 v68, 0x7fffff, v13
	s_delay_alu instid0(VALU_DEP_2) | instskip(SKIP_1) | instid1(VALU_DEP_3)
	v_sub_nc_u32_e32 v118, 0x78, v66
	v_cmp_gt_u32_e32 vcc_lo, 0x79, v66
	v_or_b32_e32 v119, 0x800000, v68
	s_delay_alu instid0(VALU_DEP_3) | instskip(SKIP_2) | instid1(VALU_DEP_3)
	v_cndmask_b32_e32 v118, 0, v118, vcc_lo
	v_cmp_eq_u32_e32 vcc_lo, 0, v66
	v_add_nc_u32_e32 v66, 0xffffff89, v66
	v_cndmask_b32_e64 v118, v118, 0x77, vcc_lo
	v_cndmask_b32_e32 v68, v119, v68, vcc_lo
	s_delay_alu instid0(VALU_DEP_3) | instskip(NEXT) | instid1(VALU_DEP_3)
	v_cndmask_b32_e64 v66, v66, 0xffffff8a, vcc_lo
	v_lshl_add_u32 v119, 0x100000, v118, -1
	s_delay_alu instid0(VALU_DEP_3) | instskip(SKIP_1) | instid1(VALU_DEP_4)
	v_lshrrev_b32_e32 v128, v118, v68
	v_lshlrev_b32_e64 v130, v118, 0x80000
	v_add_nc_u32_e32 v118, v118, v66
	s_delay_alu instid0(VALU_DEP_4) | instskip(NEXT) | instid1(VALU_DEP_4)
	v_and_b32_e32 v68, v119, v68
	v_bfe_u32 v129, v128, 20, 1
	s_delay_alu instid0(VALU_DEP_2) | instskip(NEXT) | instid1(VALU_DEP_2)
	v_cmp_eq_u32_e64 s10, v68, v130
	v_add_nc_u32_e32 v119, -1, v129
	s_delay_alu instid0(VALU_DEP_1) | instskip(SKIP_2) | instid1(VALU_DEP_2)
	v_cndmask_b32_e64 v68, 0, v119, s10
	v_lshrrev_b32_e32 v119, 23, v128
	s_mov_b32 s10, exec_lo
	v_add_nc_u32_e32 v68, v68, v128
	s_delay_alu instid0(VALU_DEP_2) | instskip(NEXT) | instid1(VALU_DEP_2)
	v_xor_b32_e32 v119, 1, v119
	v_and_b32_e32 v66, 0xfffff, v68
	s_delay_alu instid0(VALU_DEP_1) | instskip(NEXT) | instid1(VALU_DEP_3)
	v_add_nc_u32_e32 v68, v66, v128
                                        ; implicit-def: $vgpr66
	v_cmpx_ne_u32_e64 v118, v119
	s_xor_b32 s10, exec_lo, s10
; %bb.7930:                             ;   in Loop: Header=BB6_7478 Depth=2
	s_delay_alu instid0(VALU_DEP_2) | instskip(SKIP_2) | instid1(VALU_DEP_2)
	v_cmp_lt_u32_e32 vcc_lo, 0xffffff, v68
	v_sub_nc_u32_e32 v66, v118, v119
	v_cndmask_b32_e64 v118, 0, 1, vcc_lo
	v_add_co_ci_u32_e32 v66, vcc_lo, 0, v66, vcc_lo
	s_delay_alu instid0(VALU_DEP_2)
	v_lshrrev_b32_e32 v68, v118, v68
; %bb.7931:                             ;   in Loop: Header=BB6_7478 Depth=2
	s_and_not1_saveexec_b32 s10, s10
	s_cbranch_execz .LBB6_7475
; %bb.7932:                             ;   in Loop: Header=BB6_7478 Depth=2
	s_delay_alu instid0(VALU_DEP_1)
	v_bfe_u32 v66, v68, 23, 1
	s_branch .LBB6_7475
.LBB6_7933:                             ;   in Loop: Header=BB6_7478 Depth=2
	s_mov_b32 s10, -1
	s_mov_b32 s28, exec_lo
                                        ; implicit-def: $sgpr26
	v_cmpx_eq_u16_e32 0x80, v64
; %bb.7934:                             ;   in Loop: Header=BB6_7478 Depth=2
	s_mov_b32 s26, 0x7f800001
	s_xor_b32 s10, exec_lo, -1
; %bb.7935:                             ;   in Loop: Header=BB6_7478 Depth=2
	s_or_b32 exec_lo, exec_lo, s28
	s_delay_alu instid0(SALU_CYCLE_1)
	s_and_b32 s10, s10, exec_lo
                                        ; implicit-def: $vgpr64
	s_or_saveexec_b32 s27, s27
	v_mov_b32_e32 v25, s26
	s_xor_b32 exec_lo, exec_lo, s27
	s_cbranch_execz .LBB6_7489
.LBB6_7936:                             ;   in Loop: Header=BB6_7478 Depth=2
	v_cmp_ne_u16_e32 vcc_lo, 0, v64
	v_mov_b32_e32 v25, 0
	s_and_not1_b32 s10, s10, exec_lo
	s_and_b32 s26, vcc_lo, exec_lo
	s_delay_alu instid0(SALU_CYCLE_1)
	s_or_b32 s10, s10, s26
	s_or_b32 exec_lo, exec_lo, s27
	s_and_saveexec_b32 s26, s10
	s_cbranch_execnz .LBB6_7490
	s_branch .LBB6_7491
.LBB6_7937:                             ;   in Loop: Header=BB6_7478 Depth=2
	s_mov_b32 s10, -1
	s_mov_b32 s28, exec_lo
                                        ; implicit-def: $sgpr26
	v_cmpx_eq_u16_e32 0x80, v64
; %bb.7938:                             ;   in Loop: Header=BB6_7478 Depth=2
	s_mov_b32 s26, 0x7f800001
	s_xor_b32 s10, exec_lo, -1
; %bb.7939:                             ;   in Loop: Header=BB6_7478 Depth=2
	s_or_b32 exec_lo, exec_lo, s28
	s_delay_alu instid0(SALU_CYCLE_1)
	s_and_b32 s10, s10, exec_lo
	s_or_saveexec_b32 s27, s27
	v_mov_b32_e32 v65, s26
	s_xor_b32 exec_lo, exec_lo, s27
	s_cbranch_execz .LBB6_7501
.LBB6_7940:                             ;   in Loop: Header=BB6_7478 Depth=2
	v_cmp_ne_u16_e32 vcc_lo, 0, v64
	v_mov_b32_e32 v65, 0
	s_and_not1_b32 s10, s10, exec_lo
	s_and_b32 s26, vcc_lo, exec_lo
	s_delay_alu instid0(SALU_CYCLE_1)
	s_or_b32 s10, s10, s26
	s_or_b32 exec_lo, exec_lo, s27
	s_and_saveexec_b32 s26, s10
	s_cbranch_execnz .LBB6_7502
	s_branch .LBB6_7503
.LBB6_7941:                             ;   in Loop: Header=BB6_7478 Depth=2
	s_mov_b32 s10, -1
	s_mov_b32 s28, exec_lo
                                        ; implicit-def: $sgpr26
	v_cmpx_eq_u16_e32 0x80, v66
; %bb.7942:                             ;   in Loop: Header=BB6_7478 Depth=2
	s_mov_b32 s26, 0x7f800001
	s_xor_b32 s10, exec_lo, -1
; %bb.7943:                             ;   in Loop: Header=BB6_7478 Depth=2
	s_or_b32 exec_lo, exec_lo, s28
	s_delay_alu instid0(SALU_CYCLE_1)
	s_and_b32 s10, s10, exec_lo
                                        ; implicit-def: $vgpr66
	s_or_saveexec_b32 s27, s27
	v_mov_b32_e32 v65, s26
	s_xor_b32 exec_lo, exec_lo, s27
	s_cbranch_execz .LBB6_7513
.LBB6_7944:                             ;   in Loop: Header=BB6_7478 Depth=2
	v_cmp_ne_u16_e32 vcc_lo, 0, v66
	v_mov_b32_e32 v65, 0
	s_and_not1_b32 s10, s10, exec_lo
	s_and_b32 s26, vcc_lo, exec_lo
	s_delay_alu instid0(SALU_CYCLE_1)
	s_or_b32 s10, s10, s26
	s_or_b32 exec_lo, exec_lo, s27
	s_and_saveexec_b32 s26, s10
	s_cbranch_execnz .LBB6_7514
	s_branch .LBB6_7515
.LBB6_7945:                             ;   in Loop: Header=BB6_7478 Depth=2
	s_mov_b32 s10, -1
	s_mov_b32 s28, exec_lo
                                        ; implicit-def: $sgpr26
	v_cmpx_eq_u16_e32 0x80, v64
; %bb.7946:                             ;   in Loop: Header=BB6_7478 Depth=2
	s_mov_b32 s26, 0x7f800001
	s_xor_b32 s10, exec_lo, -1
; %bb.7947:                             ;   in Loop: Header=BB6_7478 Depth=2
	s_or_b32 exec_lo, exec_lo, s28
	s_delay_alu instid0(SALU_CYCLE_1)
	s_and_b32 s10, s10, exec_lo
	s_or_saveexec_b32 s27, s27
	v_mov_b32_e32 v65, s26
	s_xor_b32 exec_lo, exec_lo, s27
	s_cbranch_execz .LBB6_7525
.LBB6_7948:                             ;   in Loop: Header=BB6_7478 Depth=2
	v_cmp_ne_u16_e32 vcc_lo, 0, v64
	v_mov_b32_e32 v65, 0
	s_and_not1_b32 s10, s10, exec_lo
	s_and_b32 s26, vcc_lo, exec_lo
	s_delay_alu instid0(SALU_CYCLE_1)
	s_or_b32 s10, s10, s26
	s_or_b32 exec_lo, exec_lo, s27
	s_and_saveexec_b32 s26, s10
	s_cbranch_execnz .LBB6_7526
	s_branch .LBB6_7527
.LBB6_7949:                             ;   in Loop: Header=BB6_7478 Depth=2
	s_mov_b32 s10, -1
	s_mov_b32 s28, exec_lo
                                        ; implicit-def: $sgpr26
	v_cmpx_eq_u16_e32 0x80, v64
; %bb.7950:                             ;   in Loop: Header=BB6_7478 Depth=2
	s_mov_b32 s26, 0x7f800001
	s_xor_b32 s10, exec_lo, -1
; %bb.7951:                             ;   in Loop: Header=BB6_7478 Depth=2
	s_or_b32 exec_lo, exec_lo, s28
	s_delay_alu instid0(SALU_CYCLE_1)
	s_and_b32 s10, s10, exec_lo
                                        ; implicit-def: $vgpr64
	s_or_saveexec_b32 s27, s27
	v_mov_b32_e32 v10, s26
	s_xor_b32 exec_lo, exec_lo, s27
	s_cbranch_execz .LBB6_7537
.LBB6_7952:                             ;   in Loop: Header=BB6_7478 Depth=2
	v_cmp_ne_u16_e32 vcc_lo, 0, v64
	v_mov_b32_e32 v10, 0
	s_and_not1_b32 s10, s10, exec_lo
	s_and_b32 s26, vcc_lo, exec_lo
	s_delay_alu instid0(SALU_CYCLE_1)
	s_or_b32 s10, s10, s26
	s_or_b32 exec_lo, exec_lo, s27
	s_and_saveexec_b32 s26, s10
	s_cbranch_execnz .LBB6_7538
	s_branch .LBB6_7539
.LBB6_7953:                             ;   in Loop: Header=BB6_7478 Depth=2
	s_mov_b32 s10, -1
	s_mov_b32 s28, exec_lo
                                        ; implicit-def: $sgpr26
	v_cmpx_eq_u16_e32 0x80, v10
; %bb.7954:                             ;   in Loop: Header=BB6_7478 Depth=2
	s_mov_b32 s26, 0x7f800001
	s_xor_b32 s10, exec_lo, -1
; %bb.7955:                             ;   in Loop: Header=BB6_7478 Depth=2
	s_or_b32 exec_lo, exec_lo, s28
	s_delay_alu instid0(SALU_CYCLE_1)
	s_and_b32 s10, s10, exec_lo
	s_or_saveexec_b32 s27, s27
	v_mov_b32_e32 v64, s26
	s_xor_b32 exec_lo, exec_lo, s27
	s_cbranch_execz .LBB6_7549
.LBB6_7956:                             ;   in Loop: Header=BB6_7478 Depth=2
	v_cmp_ne_u16_e32 vcc_lo, 0, v10
	v_mov_b32_e32 v64, 0
	s_and_not1_b32 s10, s10, exec_lo
	s_and_b32 s26, vcc_lo, exec_lo
	s_delay_alu instid0(SALU_CYCLE_1)
	s_or_b32 s10, s10, s26
	s_or_b32 exec_lo, exec_lo, s27
	s_and_saveexec_b32 s26, s10
	s_cbranch_execnz .LBB6_7550
	s_branch .LBB6_7551
.LBB6_7957:                             ;   in Loop: Header=BB6_7478 Depth=2
	s_mov_b32 s10, -1
	s_mov_b32 s28, exec_lo
                                        ; implicit-def: $sgpr26
	v_cmpx_eq_u16_e32 0x80, v65
; %bb.7958:                             ;   in Loop: Header=BB6_7478 Depth=2
	s_mov_b32 s26, 0x7f800001
	s_xor_b32 s10, exec_lo, -1
; %bb.7959:                             ;   in Loop: Header=BB6_7478 Depth=2
	s_or_b32 exec_lo, exec_lo, s28
	s_delay_alu instid0(SALU_CYCLE_1)
	s_and_b32 s10, s10, exec_lo
                                        ; implicit-def: $vgpr65
	s_or_saveexec_b32 s27, s27
	v_mov_b32_e32 v64, s26
	s_xor_b32 exec_lo, exec_lo, s27
	s_cbranch_execz .LBB6_7561
.LBB6_7960:                             ;   in Loop: Header=BB6_7478 Depth=2
	v_cmp_ne_u16_e32 vcc_lo, 0, v65
	v_mov_b32_e32 v64, 0
	s_and_not1_b32 s10, s10, exec_lo
	s_and_b32 s26, vcc_lo, exec_lo
	s_delay_alu instid0(SALU_CYCLE_1)
	s_or_b32 s10, s10, s26
	s_or_b32 exec_lo, exec_lo, s27
	s_and_saveexec_b32 s26, s10
	s_cbranch_execnz .LBB6_7562
	s_branch .LBB6_7563
.LBB6_7961:                             ;   in Loop: Header=BB6_7478 Depth=2
	s_mov_b32 s10, -1
	s_mov_b32 s28, exec_lo
                                        ; implicit-def: $sgpr26
	v_cmpx_eq_u16_e32 0x80, v10
; %bb.7962:                             ;   in Loop: Header=BB6_7478 Depth=2
	s_mov_b32 s26, 0x7f800001
	s_xor_b32 s10, exec_lo, -1
; %bb.7963:                             ;   in Loop: Header=BB6_7478 Depth=2
	s_or_b32 exec_lo, exec_lo, s28
	s_delay_alu instid0(SALU_CYCLE_1)
	s_and_b32 s10, s10, exec_lo
	s_or_saveexec_b32 s27, s27
	v_mov_b32_e32 v64, s26
	s_xor_b32 exec_lo, exec_lo, s27
	s_cbranch_execz .LBB6_7573
.LBB6_7964:                             ;   in Loop: Header=BB6_7478 Depth=2
	v_cmp_ne_u16_e32 vcc_lo, 0, v10
	v_mov_b32_e32 v64, 0
	s_and_not1_b32 s10, s10, exec_lo
	s_and_b32 s26, vcc_lo, exec_lo
	s_delay_alu instid0(SALU_CYCLE_1)
	s_or_b32 s10, s10, s26
	s_or_b32 exec_lo, exec_lo, s27
	s_and_saveexec_b32 s26, s10
	s_cbranch_execnz .LBB6_7574
	s_branch .LBB6_7575
.LBB6_7965:                             ;   in Loop: Header=BB6_7478 Depth=2
	s_mov_b32 s10, -1
	s_mov_b32 s28, exec_lo
                                        ; implicit-def: $sgpr26
	v_cmpx_eq_u16_e32 0x80, v11
; %bb.7966:                             ;   in Loop: Header=BB6_7478 Depth=2
	s_mov_b32 s26, 0x7f800001
	s_xor_b32 s10, exec_lo, -1
; %bb.7967:                             ;   in Loop: Header=BB6_7478 Depth=2
	s_or_b32 exec_lo, exec_lo, s28
	s_delay_alu instid0(SALU_CYCLE_1)
	s_and_b32 s10, s10, exec_lo
                                        ; implicit-def: $vgpr11
	s_or_saveexec_b32 s27, s27
	v_mov_b32_e32 v10, s26
	s_xor_b32 exec_lo, exec_lo, s27
	s_cbranch_execz .LBB6_7585
.LBB6_7968:                             ;   in Loop: Header=BB6_7478 Depth=2
	v_cmp_ne_u16_e32 vcc_lo, 0, v11
	v_mov_b32_e32 v10, 0
	s_and_not1_b32 s10, s10, exec_lo
	s_and_b32 s26, vcc_lo, exec_lo
	s_delay_alu instid0(SALU_CYCLE_1)
	s_or_b32 s10, s10, s26
	s_or_b32 exec_lo, exec_lo, s27
	s_and_saveexec_b32 s26, s10
	s_cbranch_execnz .LBB6_7586
	s_branch .LBB6_7587
.LBB6_7969:                             ;   in Loop: Header=BB6_7478 Depth=2
	s_mov_b32 s10, -1
	s_mov_b32 s28, exec_lo
                                        ; implicit-def: $sgpr26
	v_cmpx_eq_u16_e32 0x80, v10
; %bb.7970:                             ;   in Loop: Header=BB6_7478 Depth=2
	s_mov_b32 s26, 0x7f800001
	s_xor_b32 s10, exec_lo, -1
; %bb.7971:                             ;   in Loop: Header=BB6_7478 Depth=2
	s_or_b32 exec_lo, exec_lo, s28
	s_delay_alu instid0(SALU_CYCLE_1)
	s_and_b32 s10, s10, exec_lo
	s_or_saveexec_b32 s27, s27
	v_mov_b32_e32 v11, s26
	s_xor_b32 exec_lo, exec_lo, s27
	s_cbranch_execz .LBB6_7597
.LBB6_7972:                             ;   in Loop: Header=BB6_7478 Depth=2
	v_cmp_ne_u16_e32 vcc_lo, 0, v10
	v_mov_b32_e32 v11, 0
	s_and_not1_b32 s10, s10, exec_lo
	s_and_b32 s26, vcc_lo, exec_lo
	s_delay_alu instid0(SALU_CYCLE_1)
	s_or_b32 s10, s10, s26
	s_or_b32 exec_lo, exec_lo, s27
	s_and_saveexec_b32 s26, s10
	s_cbranch_execnz .LBB6_7598
	s_branch .LBB6_7599
.LBB6_7973:                             ;   in Loop: Header=BB6_7478 Depth=2
	s_mov_b32 s10, -1
	s_mov_b32 s28, exec_lo
                                        ; implicit-def: $sgpr26
	v_cmpx_eq_u16_e32 0x80, v64
; %bb.7974:                             ;   in Loop: Header=BB6_7478 Depth=2
	s_mov_b32 s26, 0x7f800001
	s_xor_b32 s10, exec_lo, -1
; %bb.7975:                             ;   in Loop: Header=BB6_7478 Depth=2
	s_or_b32 exec_lo, exec_lo, s28
	s_delay_alu instid0(SALU_CYCLE_1)
	s_and_b32 s10, s10, exec_lo
                                        ; implicit-def: $vgpr64
	s_or_saveexec_b32 s27, s27
	v_mov_b32_e32 v11, s26
	s_xor_b32 exec_lo, exec_lo, s27
	s_cbranch_execz .LBB6_7609
.LBB6_7976:                             ;   in Loop: Header=BB6_7478 Depth=2
	v_cmp_ne_u16_e32 vcc_lo, 0, v64
	v_mov_b32_e32 v11, 0
	s_and_not1_b32 s10, s10, exec_lo
	s_and_b32 s26, vcc_lo, exec_lo
	s_delay_alu instid0(SALU_CYCLE_1)
	s_or_b32 s10, s10, s26
	s_or_b32 exec_lo, exec_lo, s27
	s_and_saveexec_b32 s26, s10
	s_cbranch_execnz .LBB6_7610
	s_branch .LBB6_7611
.LBB6_7977:                             ;   in Loop: Header=BB6_7478 Depth=2
	s_mov_b32 s10, -1
	s_mov_b32 s28, exec_lo
                                        ; implicit-def: $sgpr26
	v_cmpx_eq_u16_e32 0x80, v10
; %bb.7978:                             ;   in Loop: Header=BB6_7478 Depth=2
	s_mov_b32 s26, 0x7f800001
	s_xor_b32 s10, exec_lo, -1
; %bb.7979:                             ;   in Loop: Header=BB6_7478 Depth=2
	s_or_b32 exec_lo, exec_lo, s28
	s_delay_alu instid0(SALU_CYCLE_1)
	s_and_b32 s10, s10, exec_lo
	s_or_saveexec_b32 s27, s27
	v_mov_b32_e32 v11, s26
	s_xor_b32 exec_lo, exec_lo, s27
	s_cbranch_execz .LBB6_7621
.LBB6_7980:                             ;   in Loop: Header=BB6_7478 Depth=2
	v_cmp_ne_u16_e32 vcc_lo, 0, v10
	v_mov_b32_e32 v11, 0
	s_and_not1_b32 s10, s10, exec_lo
	s_and_b32 s26, vcc_lo, exec_lo
	s_delay_alu instid0(SALU_CYCLE_1)
	s_or_b32 s10, s10, s26
	s_or_b32 exec_lo, exec_lo, s27
	s_and_saveexec_b32 s26, s10
	s_cbranch_execnz .LBB6_7622
	s_branch .LBB6_7623
.LBB6_7981:                             ;   in Loop: Header=BB6_7478 Depth=2
	s_mov_b32 s10, -1
	s_mov_b32 s28, exec_lo
                                        ; implicit-def: $sgpr26
	v_cmpx_eq_u16_e32 0x80, v11
; %bb.7982:                             ;   in Loop: Header=BB6_7478 Depth=2
	s_mov_b32 s26, 0x7f800001
	s_xor_b32 s10, exec_lo, -1
; %bb.7983:                             ;   in Loop: Header=BB6_7478 Depth=2
	s_or_b32 exec_lo, exec_lo, s28
	s_delay_alu instid0(SALU_CYCLE_1)
	s_and_b32 s10, s10, exec_lo
                                        ; implicit-def: $vgpr11
	s_or_saveexec_b32 s27, s27
	v_mov_b32_e32 v10, s26
	s_xor_b32 exec_lo, exec_lo, s27
	s_cbranch_execz .LBB6_7633
.LBB6_7984:                             ;   in Loop: Header=BB6_7478 Depth=2
	v_cmp_ne_u16_e32 vcc_lo, 0, v11
	v_mov_b32_e32 v10, 0
	s_and_not1_b32 s10, s10, exec_lo
	s_and_b32 s26, vcc_lo, exec_lo
	s_delay_alu instid0(SALU_CYCLE_1)
	s_or_b32 s10, s10, s26
	s_or_b32 exec_lo, exec_lo, s27
	s_and_saveexec_b32 s26, s10
	s_cbranch_execnz .LBB6_7634
	s_branch .LBB6_7635
.LBB6_7985:                             ;   in Loop: Header=BB6_7478 Depth=2
	s_mov_b32 s10, -1
	s_mov_b32 s28, exec_lo
                                        ; implicit-def: $sgpr26
	v_cmpx_eq_u16_e32 0x80, v10
; %bb.7986:                             ;   in Loop: Header=BB6_7478 Depth=2
	s_mov_b32 s26, 0x7f800001
	s_xor_b32 s10, exec_lo, -1
; %bb.7987:                             ;   in Loop: Header=BB6_7478 Depth=2
	s_or_b32 exec_lo, exec_lo, s28
	s_delay_alu instid0(SALU_CYCLE_1)
	s_and_b32 s10, s10, exec_lo
	s_or_saveexec_b32 s27, s27
	v_mov_b32_e32 v11, s26
	s_xor_b32 exec_lo, exec_lo, s27
	s_cbranch_execz .LBB6_7645
.LBB6_7988:                             ;   in Loop: Header=BB6_7478 Depth=2
	v_cmp_ne_u16_e32 vcc_lo, 0, v10
	v_mov_b32_e32 v11, 0
	s_and_not1_b32 s10, s10, exec_lo
	s_and_b32 s26, vcc_lo, exec_lo
	s_delay_alu instid0(SALU_CYCLE_1)
	s_or_b32 s10, s10, s26
	s_or_b32 exec_lo, exec_lo, s27
	s_and_saveexec_b32 s26, s10
	s_cbranch_execnz .LBB6_7646
	s_branch .LBB6_7647
.LBB6_7989:                             ;   in Loop: Header=BB6_7478 Depth=2
	s_mov_b32 s10, -1
	s_mov_b32 s28, exec_lo
                                        ; implicit-def: $sgpr26
	v_cmpx_eq_u16_e32 0x80, v12
; %bb.7990:                             ;   in Loop: Header=BB6_7478 Depth=2
	s_mov_b32 s26, 0x7f800001
	s_xor_b32 s10, exec_lo, -1
; %bb.7991:                             ;   in Loop: Header=BB6_7478 Depth=2
	s_or_b32 exec_lo, exec_lo, s28
	s_delay_alu instid0(SALU_CYCLE_1)
	s_and_b32 s10, s10, exec_lo
                                        ; implicit-def: $vgpr12
	s_or_saveexec_b32 s27, s27
	v_mov_b32_e32 v11, s26
	s_xor_b32 exec_lo, exec_lo, s27
	s_cbranch_execz .LBB6_7657
.LBB6_7992:                             ;   in Loop: Header=BB6_7478 Depth=2
	v_cmp_ne_u16_e32 vcc_lo, 0, v12
	v_mov_b32_e32 v11, 0
	s_and_not1_b32 s10, s10, exec_lo
	s_and_b32 s26, vcc_lo, exec_lo
	s_delay_alu instid0(SALU_CYCLE_1)
	s_or_b32 s10, s10, s26
	s_or_b32 exec_lo, exec_lo, s27
	s_and_saveexec_b32 s26, s10
	s_cbranch_execnz .LBB6_7658
	s_branch .LBB6_7659
.LBB6_7993:                             ;   in Loop: Header=BB6_7478 Depth=2
	s_mov_b32 s10, -1
	s_mov_b32 s28, exec_lo
                                        ; implicit-def: $sgpr26
	v_cmpx_eq_u16_e32 0x80, v10
; %bb.7994:                             ;   in Loop: Header=BB6_7478 Depth=2
	s_mov_b32 s26, 0x7f800001
	s_xor_b32 s10, exec_lo, -1
; %bb.7995:                             ;   in Loop: Header=BB6_7478 Depth=2
	s_or_b32 exec_lo, exec_lo, s28
	s_delay_alu instid0(SALU_CYCLE_1)
	s_and_b32 s10, s10, exec_lo
	s_or_saveexec_b32 s27, s27
	v_mov_b32_e32 v11, s26
	s_xor_b32 exec_lo, exec_lo, s27
	s_cbranch_execz .LBB6_7669
.LBB6_7996:                             ;   in Loop: Header=BB6_7478 Depth=2
	v_cmp_ne_u16_e32 vcc_lo, 0, v10
	v_mov_b32_e32 v11, 0
	s_and_not1_b32 s10, s10, exec_lo
	s_and_b32 s26, vcc_lo, exec_lo
	s_delay_alu instid0(SALU_CYCLE_1)
	s_or_b32 s10, s10, s26
	s_or_b32 exec_lo, exec_lo, s27
	s_and_saveexec_b32 s26, s10
	s_cbranch_execnz .LBB6_7670
	s_branch .LBB6_7671
.LBB6_7997:                             ;   in Loop: Header=BB6_7478 Depth=2
	s_mov_b32 s10, -1
	s_mov_b32 s27, exec_lo
                                        ; implicit-def: $sgpr25
	v_cmpx_eq_u16_e64 0x80, v129
; %bb.7998:                             ;   in Loop: Header=BB6_7478 Depth=2
	s_mov_b32 s25, 0x7f800001
	s_xor_b32 s10, exec_lo, -1
; %bb.7999:                             ;   in Loop: Header=BB6_7478 Depth=2
	s_or_b32 exec_lo, exec_lo, s27
	s_delay_alu instid0(SALU_CYCLE_1)
	s_and_b32 s10, s10, exec_lo
                                        ; implicit-def: $vgpr129
	s_or_saveexec_b32 s26, s26
	v_mov_b32_e32 v128, s25
	s_xor_b32 exec_lo, exec_lo, s26
	s_cbranch_execz .LBB6_7681
.LBB6_8000:                             ;   in Loop: Header=BB6_7478 Depth=2
	v_cmp_ne_u16_e64 vcc_lo, 0, v129
	v_mov_b32_e32 v128, 0
	s_and_not1_b32 s10, s10, exec_lo
	s_delay_alu instid0(VALU_DEP_2) | instskip(NEXT) | instid1(SALU_CYCLE_1)
	s_and_b32 s25, vcc_lo, exec_lo
	s_or_b32 s10, s10, s25
	s_or_b32 exec_lo, exec_lo, s26
	s_and_saveexec_b32 s25, s10
	s_cbranch_execnz .LBB6_7682
	s_branch .LBB6_7683
.LBB6_8001:                             ;   in Loop: Header=BB6_7478 Depth=2
	s_mov_b32 s10, -1
	s_mov_b32 s27, exec_lo
                                        ; implicit-def: $sgpr25
	v_cmpx_eq_u16_e64 0x80, v129
; %bb.8002:                             ;   in Loop: Header=BB6_7478 Depth=2
	s_mov_b32 s25, 0x7f800001
	s_xor_b32 s10, exec_lo, -1
; %bb.8003:                             ;   in Loop: Header=BB6_7478 Depth=2
	s_or_b32 exec_lo, exec_lo, s27
	s_delay_alu instid0(SALU_CYCLE_1)
	s_and_b32 s10, s10, exec_lo
                                        ; implicit-def: $vgpr129
	s_or_saveexec_b32 s26, s26
	v_mov_b32_e32 v25, s25
	s_xor_b32 exec_lo, exec_lo, s26
	s_cbranch_execz .LBB6_7685
.LBB6_8004:                             ;   in Loop: Header=BB6_7478 Depth=2
	v_cmp_ne_u16_e64 vcc_lo, 0, v129
	v_mov_b32_e32 v25, 0
	s_and_not1_b32 s10, s10, exec_lo
	s_delay_alu instid0(VALU_DEP_2) | instskip(NEXT) | instid1(SALU_CYCLE_1)
	s_and_b32 s25, vcc_lo, exec_lo
	s_or_b32 s10, s10, s25
	s_or_b32 exec_lo, exec_lo, s26
	s_and_saveexec_b32 s25, s10
	s_cbranch_execnz .LBB6_7686
	s_branch .LBB6_7687
.LBB6_8005:                             ;   in Loop: Header=BB6_7478 Depth=2
	s_mov_b32 s10, -1
	s_mov_b32 s27, exec_lo
                                        ; implicit-def: $sgpr25
	v_cmpx_eq_u16_e64 0x80, v129
; %bb.8006:                             ;   in Loop: Header=BB6_7478 Depth=2
	s_mov_b32 s25, 0x7f800001
	s_xor_b32 s10, exec_lo, -1
; %bb.8007:                             ;   in Loop: Header=BB6_7478 Depth=2
	s_or_b32 exec_lo, exec_lo, s27
	s_delay_alu instid0(SALU_CYCLE_1)
	s_and_b32 s10, s10, exec_lo
                                        ; implicit-def: $vgpr129
	s_or_saveexec_b32 s26, s26
	v_mov_b32_e32 v128, s25
	s_xor_b32 exec_lo, exec_lo, s26
	s_cbranch_execz .LBB6_7697
.LBB6_8008:                             ;   in Loop: Header=BB6_7478 Depth=2
	v_cmp_ne_u16_e64 vcc_lo, 0, v129
	v_mov_b32_e32 v128, 0
	s_and_not1_b32 s10, s10, exec_lo
	s_delay_alu instid0(VALU_DEP_2) | instskip(NEXT) | instid1(SALU_CYCLE_1)
	s_and_b32 s25, vcc_lo, exec_lo
	s_or_b32 s10, s10, s25
	s_or_b32 exec_lo, exec_lo, s26
	s_and_saveexec_b32 s25, s10
	s_cbranch_execnz .LBB6_7698
	s_branch .LBB6_7699
.LBB6_8009:                             ;   in Loop: Header=BB6_7478 Depth=2
	s_mov_b32 s10, -1
	s_mov_b32 s27, exec_lo
                                        ; implicit-def: $sgpr25
	v_cmpx_eq_u16_e32 0x80, v67
; %bb.8010:                             ;   in Loop: Header=BB6_7478 Depth=2
	s_mov_b32 s25, 0x7f800001
	s_xor_b32 s10, exec_lo, -1
; %bb.8011:                             ;   in Loop: Header=BB6_7478 Depth=2
	s_or_b32 exec_lo, exec_lo, s27
	s_delay_alu instid0(SALU_CYCLE_1)
	s_and_b32 s10, s10, exec_lo
	s_or_saveexec_b32 s26, s26
	v_mov_b32_e32 v129, s25
	s_xor_b32 exec_lo, exec_lo, s26
	s_cbranch_execz .LBB6_7701
.LBB6_8012:                             ;   in Loop: Header=BB6_7478 Depth=2
	v_cmp_ne_u16_e32 vcc_lo, 0, v67
	v_mov_b32_e32 v129, 0
	s_and_not1_b32 s10, s10, exec_lo
	s_and_b32 s25, vcc_lo, exec_lo
	s_delay_alu instid0(SALU_CYCLE_1)
	s_or_b32 s10, s10, s25
	s_or_b32 exec_lo, exec_lo, s26
	s_and_saveexec_b32 s25, s10
	s_cbranch_execnz .LBB6_7702
	s_branch .LBB6_7703
.LBB6_8013:                             ;   in Loop: Header=BB6_7478 Depth=2
	s_mov_b32 s10, -1
	s_mov_b32 s27, exec_lo
                                        ; implicit-def: $sgpr25
	v_cmpx_eq_u16_e64 0x80, v129
; %bb.8014:                             ;   in Loop: Header=BB6_7478 Depth=2
	s_mov_b32 s25, 0x7f800001
	s_xor_b32 s10, exec_lo, -1
; %bb.8015:                             ;   in Loop: Header=BB6_7478 Depth=2
	s_or_b32 exec_lo, exec_lo, s27
	s_delay_alu instid0(SALU_CYCLE_1)
	s_and_b32 s10, s10, exec_lo
                                        ; implicit-def: $vgpr129
	s_or_saveexec_b32 s26, s26
	v_mov_b32_e32 v128, s25
	s_xor_b32 exec_lo, exec_lo, s26
	s_cbranch_execz .LBB6_7713
.LBB6_8016:                             ;   in Loop: Header=BB6_7478 Depth=2
	v_cmp_ne_u16_e64 vcc_lo, 0, v129
	v_mov_b32_e32 v128, 0
	s_and_not1_b32 s10, s10, exec_lo
	s_delay_alu instid0(VALU_DEP_2) | instskip(NEXT) | instid1(SALU_CYCLE_1)
	s_and_b32 s25, vcc_lo, exec_lo
	s_or_b32 s10, s10, s25
	s_or_b32 exec_lo, exec_lo, s26
	s_and_saveexec_b32 s25, s10
	s_cbranch_execnz .LBB6_7714
	s_branch .LBB6_7715
.LBB6_8017:                             ;   in Loop: Header=BB6_7478 Depth=2
	s_mov_b32 s10, -1
	s_mov_b32 s27, exec_lo
                                        ; implicit-def: $sgpr25
	v_cmpx_eq_u16_e64 0x80, v130
; %bb.8018:                             ;   in Loop: Header=BB6_7478 Depth=2
	s_mov_b32 s25, 0x7f800001
	s_xor_b32 s10, exec_lo, -1
; %bb.8019:                             ;   in Loop: Header=BB6_7478 Depth=2
	s_or_b32 exec_lo, exec_lo, s27
	s_delay_alu instid0(SALU_CYCLE_1)
	s_and_b32 s10, s10, exec_lo
                                        ; implicit-def: $vgpr130
	s_or_saveexec_b32 s26, s26
	v_mov_b32_e32 v129, s25
	s_xor_b32 exec_lo, exec_lo, s26
	s_cbranch_execz .LBB6_7717
.LBB6_8020:                             ;   in Loop: Header=BB6_7478 Depth=2
	v_cmp_ne_u16_e64 vcc_lo, 0, v130
	v_mov_b32_e32 v129, 0
	s_and_not1_b32 s10, s10, exec_lo
	s_delay_alu instid0(VALU_DEP_2) | instskip(NEXT) | instid1(SALU_CYCLE_1)
	s_and_b32 s25, vcc_lo, exec_lo
	s_or_b32 s10, s10, s25
	s_or_b32 exec_lo, exec_lo, s26
	s_and_saveexec_b32 s25, s10
	s_cbranch_execnz .LBB6_7718
	s_branch .LBB6_7719
.LBB6_8021:                             ;   in Loop: Header=BB6_7478 Depth=2
	s_mov_b32 s10, -1
	s_mov_b32 s27, exec_lo
                                        ; implicit-def: $sgpr25
	v_cmpx_eq_u16_e64 0x80, v129
; %bb.8022:                             ;   in Loop: Header=BB6_7478 Depth=2
	s_mov_b32 s25, 0x7f800001
	s_xor_b32 s10, exec_lo, -1
; %bb.8023:                             ;   in Loop: Header=BB6_7478 Depth=2
	s_or_b32 exec_lo, exec_lo, s27
	s_delay_alu instid0(SALU_CYCLE_1)
	s_and_b32 s10, s10, exec_lo
	s_or_saveexec_b32 s26, s26
	v_mov_b32_e32 v128, s25
	s_xor_b32 exec_lo, exec_lo, s26
	s_cbranch_execz .LBB6_7729
.LBB6_8024:                             ;   in Loop: Header=BB6_7478 Depth=2
	v_cmp_ne_u16_e64 vcc_lo, 0, v129
	v_mov_b32_e32 v128, 0
	s_and_not1_b32 s10, s10, exec_lo
	s_delay_alu instid0(VALU_DEP_2) | instskip(NEXT) | instid1(SALU_CYCLE_1)
	s_and_b32 s25, vcc_lo, exec_lo
	s_or_b32 s10, s10, s25
	s_or_b32 exec_lo, exec_lo, s26
	s_and_saveexec_b32 s25, s10
	s_cbranch_execnz .LBB6_7730
	s_branch .LBB6_7731
.LBB6_8025:                             ;   in Loop: Header=BB6_7478 Depth=2
	s_mov_b32 s10, -1
	s_mov_b32 s27, exec_lo
                                        ; implicit-def: $sgpr25
	v_cmpx_eq_u16_e32 0x80, v117
; %bb.8026:                             ;   in Loop: Header=BB6_7478 Depth=2
	s_mov_b32 s25, 0x7f800001
	s_xor_b32 s10, exec_lo, -1
; %bb.8027:                             ;   in Loop: Header=BB6_7478 Depth=2
	s_or_b32 exec_lo, exec_lo, s27
	s_delay_alu instid0(SALU_CYCLE_1)
	s_and_b32 s10, s10, exec_lo
	s_or_saveexec_b32 s26, s26
	v_mov_b32_e32 v129, s25
	s_xor_b32 exec_lo, exec_lo, s26
	s_cbranch_execz .LBB6_7733
.LBB6_8028:                             ;   in Loop: Header=BB6_7478 Depth=2
	v_cmp_ne_u16_e32 vcc_lo, 0, v117
	v_mov_b32_e32 v129, 0
	s_and_not1_b32 s10, s10, exec_lo
	s_and_b32 s25, vcc_lo, exec_lo
	s_delay_alu instid0(SALU_CYCLE_1)
	s_or_b32 s10, s10, s25
	s_or_b32 exec_lo, exec_lo, s26
	s_and_saveexec_b32 s25, s10
	s_cbranch_execnz .LBB6_7734
	s_branch .LBB6_7735
.LBB6_8029:                             ;   in Loop: Header=BB6_7478 Depth=2
	s_mov_b32 s10, -1
	s_mov_b32 s27, exec_lo
                                        ; implicit-def: $sgpr25
	v_cmpx_eq_u16_e32 0x80, v117
; %bb.8030:                             ;   in Loop: Header=BB6_7478 Depth=2
	s_mov_b32 s25, 0x7f800001
	s_xor_b32 s10, exec_lo, -1
; %bb.8031:                             ;   in Loop: Header=BB6_7478 Depth=2
	s_or_b32 exec_lo, exec_lo, s27
	s_delay_alu instid0(SALU_CYCLE_1)
	s_and_b32 s10, s10, exec_lo
                                        ; implicit-def: $vgpr117
	s_or_saveexec_b32 s26, s26
	v_mov_b32_e32 v116, s25
	s_xor_b32 exec_lo, exec_lo, s26
	s_cbranch_execz .LBB6_7745
.LBB6_8032:                             ;   in Loop: Header=BB6_7478 Depth=2
	v_cmp_ne_u16_e32 vcc_lo, 0, v117
	v_mov_b32_e32 v116, 0
	s_and_not1_b32 s10, s10, exec_lo
	s_and_b32 s25, vcc_lo, exec_lo
	s_delay_alu instid0(SALU_CYCLE_1)
	s_or_b32 s10, s10, s25
	s_or_b32 exec_lo, exec_lo, s26
	s_and_saveexec_b32 s25, s10
	s_cbranch_execnz .LBB6_7746
	s_branch .LBB6_7747
.LBB6_8033:                             ;   in Loop: Header=BB6_7478 Depth=2
	s_mov_b32 s10, -1
	s_mov_b32 s27, exec_lo
                                        ; implicit-def: $sgpr25
	v_cmpx_eq_u16_e64 0x80, v128
; %bb.8034:                             ;   in Loop: Header=BB6_7478 Depth=2
	s_mov_b32 s25, 0x7f800001
	s_xor_b32 s10, exec_lo, -1
; %bb.8035:                             ;   in Loop: Header=BB6_7478 Depth=2
	s_or_b32 exec_lo, exec_lo, s27
	s_delay_alu instid0(SALU_CYCLE_1)
	s_and_b32 s10, s10, exec_lo
                                        ; implicit-def: $vgpr128
	s_or_saveexec_b32 s26, s26
	v_mov_b32_e32 v117, s25
	s_xor_b32 exec_lo, exec_lo, s26
	s_cbranch_execz .LBB6_7749
.LBB6_8036:                             ;   in Loop: Header=BB6_7478 Depth=2
	v_cmp_ne_u16_e64 vcc_lo, 0, v128
	v_mov_b32_e32 v117, 0
	s_and_not1_b32 s10, s10, exec_lo
	s_delay_alu instid0(VALU_DEP_2) | instskip(NEXT) | instid1(SALU_CYCLE_1)
	s_and_b32 s25, vcc_lo, exec_lo
	s_or_b32 s10, s10, s25
	s_or_b32 exec_lo, exec_lo, s26
	s_and_saveexec_b32 s25, s10
	s_cbranch_execnz .LBB6_7750
	s_branch .LBB6_7751
.LBB6_8037:                             ;   in Loop: Header=BB6_7478 Depth=2
	s_mov_b32 s10, -1
	s_mov_b32 s27, exec_lo
                                        ; implicit-def: $sgpr25
	v_cmpx_eq_u16_e64 0x80, v128
; %bb.8038:                             ;   in Loop: Header=BB6_7478 Depth=2
	s_mov_b32 s25, 0x7f800001
	s_xor_b32 s10, exec_lo, -1
; %bb.8039:                             ;   in Loop: Header=BB6_7478 Depth=2
	s_or_b32 exec_lo, exec_lo, s27
	s_delay_alu instid0(SALU_CYCLE_1)
	s_and_b32 s10, s10, exec_lo
	s_or_saveexec_b32 s26, s26
	v_mov_b32_e32 v117, s25
	s_xor_b32 exec_lo, exec_lo, s26
	s_cbranch_execz .LBB6_7761
.LBB6_8040:                             ;   in Loop: Header=BB6_7478 Depth=2
	v_cmp_ne_u16_e64 vcc_lo, 0, v128
	v_mov_b32_e32 v117, 0
	s_and_not1_b32 s10, s10, exec_lo
	s_delay_alu instid0(VALU_DEP_2) | instskip(NEXT) | instid1(SALU_CYCLE_1)
	s_and_b32 s25, vcc_lo, exec_lo
	s_or_b32 s10, s10, s25
	s_or_b32 exec_lo, exec_lo, s26
	s_and_saveexec_b32 s25, s10
	s_cbranch_execnz .LBB6_7762
	s_branch .LBB6_7763
.LBB6_8041:                             ;   in Loop: Header=BB6_7478 Depth=2
	s_mov_b32 s10, -1
	s_mov_b32 s27, exec_lo
                                        ; implicit-def: $sgpr25
	v_cmpx_eq_u16_e64 0x80, v128
; %bb.8042:                             ;   in Loop: Header=BB6_7478 Depth=2
	s_mov_b32 s25, 0x7f800001
	s_xor_b32 s10, exec_lo, -1
; %bb.8043:                             ;   in Loop: Header=BB6_7478 Depth=2
	s_or_b32 exec_lo, exec_lo, s27
	s_delay_alu instid0(SALU_CYCLE_1)
	s_and_b32 s10, s10, exec_lo
	s_or_saveexec_b32 s26, s26
	v_mov_b32_e32 v129, s25
	s_xor_b32 exec_lo, exec_lo, s26
	s_cbranch_execz .LBB6_7765
.LBB6_8044:                             ;   in Loop: Header=BB6_7478 Depth=2
	v_cmp_ne_u16_e64 vcc_lo, 0, v128
	v_mov_b32_e32 v129, 0
	s_and_not1_b32 s10, s10, exec_lo
	s_delay_alu instid0(VALU_DEP_2) | instskip(NEXT) | instid1(SALU_CYCLE_1)
	s_and_b32 s25, vcc_lo, exec_lo
	s_or_b32 s10, s10, s25
	s_or_b32 exec_lo, exec_lo, s26
	s_and_saveexec_b32 s25, s10
	s_cbranch_execnz .LBB6_7766
	s_branch .LBB6_7767
.LBB6_8045:                             ;   in Loop: Header=BB6_7478 Depth=2
	s_mov_b32 s10, -1
	s_mov_b32 s27, exec_lo
                                        ; implicit-def: $sgpr25
	v_cmpx_eq_u16_e64 0x80, v128
; %bb.8046:                             ;   in Loop: Header=BB6_7478 Depth=2
	s_mov_b32 s25, 0x7f800001
	s_xor_b32 s10, exec_lo, -1
; %bb.8047:                             ;   in Loop: Header=BB6_7478 Depth=2
	s_or_b32 exec_lo, exec_lo, s27
	s_delay_alu instid0(SALU_CYCLE_1)
	s_and_b32 s10, s10, exec_lo
                                        ; implicit-def: $vgpr128
	s_or_saveexec_b32 s26, s26
	v_mov_b32_e32 v115, s25
	s_xor_b32 exec_lo, exec_lo, s26
	s_cbranch_execz .LBB6_7777
.LBB6_8048:                             ;   in Loop: Header=BB6_7478 Depth=2
	v_cmp_ne_u16_e64 vcc_lo, 0, v128
	v_mov_b32_e32 v115, 0
	s_and_not1_b32 s10, s10, exec_lo
	s_delay_alu instid0(VALU_DEP_2) | instskip(NEXT) | instid1(SALU_CYCLE_1)
	s_and_b32 s25, vcc_lo, exec_lo
	s_or_b32 s10, s10, s25
	s_or_b32 exec_lo, exec_lo, s26
	v_lshl_or_b32 v118, v118, 16, v119
	s_and_saveexec_b32 s25, s10
	s_cbranch_execnz .LBB6_7778
	s_branch .LBB6_7779
.LBB6_8049:                             ;   in Loop: Header=BB6_7478 Depth=2
	s_mov_b32 s10, -1
	s_mov_b32 s27, exec_lo
                                        ; implicit-def: $sgpr25
	v_cmpx_eq_u16_e64 0x80, v129
; %bb.8050:                             ;   in Loop: Header=BB6_7478 Depth=2
	s_mov_b32 s25, 0x7f800001
	s_xor_b32 s10, exec_lo, -1
; %bb.8051:                             ;   in Loop: Header=BB6_7478 Depth=2
	s_or_b32 exec_lo, exec_lo, s27
	s_delay_alu instid0(SALU_CYCLE_1)
	s_and_b32 s10, s10, exec_lo
                                        ; implicit-def: $vgpr129
	s_or_saveexec_b32 s26, s26
	v_mov_b32_e32 v128, s25
	s_xor_b32 exec_lo, exec_lo, s26
	s_cbranch_execz .LBB6_7781
.LBB6_8052:                             ;   in Loop: Header=BB6_7478 Depth=2
	v_cmp_ne_u16_e64 vcc_lo, 0, v129
	v_mov_b32_e32 v128, 0
	s_and_not1_b32 s10, s10, exec_lo
	s_delay_alu instid0(VALU_DEP_2) | instskip(NEXT) | instid1(SALU_CYCLE_1)
	s_and_b32 s25, vcc_lo, exec_lo
	s_or_b32 s10, s10, s25
	s_or_b32 exec_lo, exec_lo, s26
	s_and_saveexec_b32 s25, s10
	s_cbranch_execnz .LBB6_7782
	s_branch .LBB6_7783
.LBB6_8053:                             ;   in Loop: Header=BB6_7478 Depth=2
	s_mov_b32 s10, -1
	s_mov_b32 s27, exec_lo
                                        ; implicit-def: $sgpr25
	v_cmpx_eq_u16_e64 0x80, v128
; %bb.8054:                             ;   in Loop: Header=BB6_7478 Depth=2
	s_mov_b32 s25, 0x7f800001
	s_xor_b32 s10, exec_lo, -1
; %bb.8055:                             ;   in Loop: Header=BB6_7478 Depth=2
	s_or_b32 exec_lo, exec_lo, s27
	s_delay_alu instid0(SALU_CYCLE_1)
	s_and_b32 s10, s10, exec_lo
	s_or_saveexec_b32 s26, s26
	v_mov_b32_e32 v119, s25
	s_xor_b32 exec_lo, exec_lo, s26
	s_cbranch_execz .LBB6_7793
.LBB6_8056:                             ;   in Loop: Header=BB6_7478 Depth=2
	v_cmp_ne_u16_e64 vcc_lo, 0, v128
	v_mov_b32_e32 v119, 0
	s_and_not1_b32 s10, s10, exec_lo
	s_delay_alu instid0(VALU_DEP_2) | instskip(NEXT) | instid1(SALU_CYCLE_1)
	s_and_b32 s25, vcc_lo, exec_lo
	s_or_b32 s10, s10, s25
	s_or_b32 exec_lo, exec_lo, s26
	s_and_saveexec_b32 s25, s10
	s_cbranch_execnz .LBB6_7794
	s_branch .LBB6_7795
.LBB6_8057:                             ;   in Loop: Header=BB6_7478 Depth=2
	s_mov_b32 s10, -1
	s_mov_b32 s27, exec_lo
                                        ; implicit-def: $sgpr25
	v_cmpx_eq_u16_e32 0x80, v118
; %bb.8058:                             ;   in Loop: Header=BB6_7478 Depth=2
	s_mov_b32 s25, 0x7f800001
	s_xor_b32 s10, exec_lo, -1
; %bb.8059:                             ;   in Loop: Header=BB6_7478 Depth=2
	s_or_b32 exec_lo, exec_lo, s27
	s_delay_alu instid0(SALU_CYCLE_1)
	s_and_b32 s10, s10, exec_lo
	s_or_saveexec_b32 s26, s26
	v_mov_b32_e32 v128, s25
	s_xor_b32 exec_lo, exec_lo, s26
	s_cbranch_execz .LBB6_7797
.LBB6_8060:                             ;   in Loop: Header=BB6_7478 Depth=2
	v_cmp_ne_u16_e32 vcc_lo, 0, v118
	v_mov_b32_e32 v128, 0
	s_and_not1_b32 s10, s10, exec_lo
	s_and_b32 s25, vcc_lo, exec_lo
	s_delay_alu instid0(SALU_CYCLE_1)
	s_or_b32 s10, s10, s25
	s_or_b32 exec_lo, exec_lo, s26
	s_and_saveexec_b32 s25, s10
	s_cbranch_execnz .LBB6_7798
	s_branch .LBB6_7799
.LBB6_8061:                             ;   in Loop: Header=BB6_7478 Depth=2
	s_mov_b32 s10, -1
	s_mov_b32 s27, exec_lo
                                        ; implicit-def: $sgpr25
	v_cmpx_eq_u16_e32 0x80, v119
; %bb.8062:                             ;   in Loop: Header=BB6_7478 Depth=2
	s_mov_b32 s25, 0x7f800001
	s_xor_b32 s10, exec_lo, -1
; %bb.8063:                             ;   in Loop: Header=BB6_7478 Depth=2
	s_or_b32 exec_lo, exec_lo, s27
	s_delay_alu instid0(SALU_CYCLE_1)
	s_and_b32 s10, s10, exec_lo
                                        ; implicit-def: $vgpr119
	s_or_saveexec_b32 s26, s26
	v_mov_b32_e32 v118, s25
	s_xor_b32 exec_lo, exec_lo, s26
	s_cbranch_execz .LBB6_7809
.LBB6_8064:                             ;   in Loop: Header=BB6_7478 Depth=2
	v_cmp_ne_u16_e32 vcc_lo, 0, v119
	v_mov_b32_e32 v118, 0
	s_and_not1_b32 s10, s10, exec_lo
	s_and_b32 s25, vcc_lo, exec_lo
	s_delay_alu instid0(SALU_CYCLE_1)
	s_or_b32 s10, s10, s25
	s_or_b32 exec_lo, exec_lo, s26
	s_and_saveexec_b32 s25, s10
	s_cbranch_execnz .LBB6_7810
	s_branch .LBB6_7811
.LBB6_8065:                             ;   in Loop: Header=BB6_7478 Depth=2
	s_mov_b32 s10, -1
	s_mov_b32 s27, exec_lo
                                        ; implicit-def: $sgpr25
	v_cmpx_eq_u16_e32 0x80, v119
; %bb.8066:                             ;   in Loop: Header=BB6_7478 Depth=2
	s_mov_b32 s25, 0x7f800001
	s_xor_b32 s10, exec_lo, -1
; %bb.8067:                             ;   in Loop: Header=BB6_7478 Depth=2
	s_or_b32 exec_lo, exec_lo, s27
	s_delay_alu instid0(SALU_CYCLE_1)
	s_and_b32 s10, s10, exec_lo
                                        ; implicit-def: $vgpr119
	s_or_saveexec_b32 s26, s26
	v_mov_b32_e32 v113, s25
	s_xor_b32 exec_lo, exec_lo, s26
	s_cbranch_execz .LBB6_7813
.LBB6_8068:                             ;   in Loop: Header=BB6_7478 Depth=2
	v_cmp_ne_u16_e32 vcc_lo, 0, v119
	v_mov_b32_e32 v113, 0
	s_and_not1_b32 s10, s10, exec_lo
	s_and_b32 s25, vcc_lo, exec_lo
	s_delay_alu instid0(SALU_CYCLE_1)
	s_or_b32 s10, s10, s25
	s_or_b32 exec_lo, exec_lo, s26
	s_and_saveexec_b32 s25, s10
	s_cbranch_execnz .LBB6_7814
	s_branch .LBB6_7815
.LBB6_8069:                             ;   in Loop: Header=BB6_7478 Depth=2
	s_mov_b32 s10, -1
	s_mov_b32 s27, exec_lo
                                        ; implicit-def: $sgpr25
	v_cmpx_eq_u16_e32 0x80, v119
; %bb.8070:                             ;   in Loop: Header=BB6_7478 Depth=2
	s_mov_b32 s25, 0x7f800001
	s_xor_b32 s10, exec_lo, -1
; %bb.8071:                             ;   in Loop: Header=BB6_7478 Depth=2
	s_or_b32 exec_lo, exec_lo, s27
	s_delay_alu instid0(SALU_CYCLE_1)
	s_and_b32 s10, s10, exec_lo
                                        ; implicit-def: $vgpr119
	s_or_saveexec_b32 s26, s26
	v_mov_b32_e32 v118, s25
	s_xor_b32 exec_lo, exec_lo, s26
	s_cbranch_execz .LBB6_7825
.LBB6_8072:                             ;   in Loop: Header=BB6_7478 Depth=2
	v_cmp_ne_u16_e32 vcc_lo, 0, v119
	v_mov_b32_e32 v118, 0
	s_and_not1_b32 s10, s10, exec_lo
	s_and_b32 s25, vcc_lo, exec_lo
	s_delay_alu instid0(SALU_CYCLE_1)
	s_or_b32 s10, s10, s25
	s_or_b32 exec_lo, exec_lo, s26
	s_and_saveexec_b32 s25, s10
	s_cbranch_execnz .LBB6_7826
	s_branch .LBB6_7827
.LBB6_8073:                             ;   in Loop: Header=BB6_7478 Depth=2
	s_mov_b32 s10, -1
	s_mov_b32 s27, exec_lo
                                        ; implicit-def: $sgpr25
	v_cmpx_eq_u16_e32 0x80, v103
; %bb.8074:                             ;   in Loop: Header=BB6_7478 Depth=2
	s_mov_b32 s25, 0x7f800001
	s_xor_b32 s10, exec_lo, -1
; %bb.8075:                             ;   in Loop: Header=BB6_7478 Depth=2
	s_or_b32 exec_lo, exec_lo, s27
	s_delay_alu instid0(SALU_CYCLE_1)
	s_and_b32 s10, s10, exec_lo
	s_or_saveexec_b32 s26, s26
	v_mov_b32_e32 v119, s25
	s_xor_b32 exec_lo, exec_lo, s26
	s_cbranch_execz .LBB6_7829
.LBB6_8076:                             ;   in Loop: Header=BB6_7478 Depth=2
	v_cmp_ne_u16_e32 vcc_lo, 0, v103
	v_mov_b32_e32 v119, 0
	s_and_not1_b32 s10, s10, exec_lo
	s_and_b32 s25, vcc_lo, exec_lo
	s_delay_alu instid0(SALU_CYCLE_1)
	s_or_b32 s10, s10, s25
	s_or_b32 exec_lo, exec_lo, s26
	s_and_saveexec_b32 s25, s10
	s_cbranch_execnz .LBB6_7830
	s_branch .LBB6_7831
.LBB6_8077:                             ;   in Loop: Header=BB6_7478 Depth=2
	s_mov_b32 s10, -1
	s_mov_b32 s27, exec_lo
                                        ; implicit-def: $sgpr25
	v_cmpx_eq_u16_e32 0x80, v119
; %bb.8078:                             ;   in Loop: Header=BB6_7478 Depth=2
	s_mov_b32 s25, 0x7f800001
	s_xor_b32 s10, exec_lo, -1
; %bb.8079:                             ;   in Loop: Header=BB6_7478 Depth=2
	s_or_b32 exec_lo, exec_lo, s27
	s_delay_alu instid0(SALU_CYCLE_1)
	s_and_b32 s10, s10, exec_lo
                                        ; implicit-def: $vgpr119
	s_or_saveexec_b32 s26, s26
	v_mov_b32_e32 v118, s25
	s_xor_b32 exec_lo, exec_lo, s26
	s_cbranch_execz .LBB6_7841
.LBB6_8080:                             ;   in Loop: Header=BB6_7478 Depth=2
	v_cmp_ne_u16_e32 vcc_lo, 0, v119
	v_mov_b32_e32 v118, 0
	s_and_not1_b32 s10, s10, exec_lo
	s_and_b32 s25, vcc_lo, exec_lo
	s_delay_alu instid0(SALU_CYCLE_1)
	s_or_b32 s10, s10, s25
	s_or_b32 exec_lo, exec_lo, s26
	s_and_saveexec_b32 s25, s10
	s_cbranch_execnz .LBB6_7842
	s_branch .LBB6_7843
.LBB6_8081:                             ;   in Loop: Header=BB6_7478 Depth=2
	s_mov_b32 s10, -1
	s_mov_b32 s27, exec_lo
                                        ; implicit-def: $sgpr25
	v_cmpx_eq_u16_e64 0x80, v128
; %bb.8082:                             ;   in Loop: Header=BB6_7478 Depth=2
	s_mov_b32 s25, 0x7f800001
	s_xor_b32 s10, exec_lo, -1
; %bb.8083:                             ;   in Loop: Header=BB6_7478 Depth=2
	s_or_b32 exec_lo, exec_lo, s27
	s_delay_alu instid0(SALU_CYCLE_1)
	s_and_b32 s10, s10, exec_lo
                                        ; implicit-def: $vgpr128
	s_or_saveexec_b32 s26, s26
	v_mov_b32_e32 v119, s25
	s_xor_b32 exec_lo, exec_lo, s26
	s_cbranch_execz .LBB6_7845
.LBB6_8084:                             ;   in Loop: Header=BB6_7478 Depth=2
	v_cmp_ne_u16_e64 vcc_lo, 0, v128
	v_mov_b32_e32 v119, 0
	s_and_not1_b32 s10, s10, exec_lo
	s_delay_alu instid0(VALU_DEP_2) | instskip(NEXT) | instid1(SALU_CYCLE_1)
	s_and_b32 s25, vcc_lo, exec_lo
	s_or_b32 s10, s10, s25
	s_or_b32 exec_lo, exec_lo, s26
	s_and_saveexec_b32 s25, s10
	s_cbranch_execnz .LBB6_7846
	s_branch .LBB6_7847
.LBB6_8085:                             ;   in Loop: Header=BB6_7478 Depth=2
	s_mov_b32 s10, -1
	s_mov_b32 s27, exec_lo
                                        ; implicit-def: $sgpr25
	v_cmpx_eq_u16_e32 0x80, v119
; %bb.8086:                             ;   in Loop: Header=BB6_7478 Depth=2
	s_mov_b32 s25, 0x7f800001
	s_xor_b32 s10, exec_lo, -1
; %bb.8087:                             ;   in Loop: Header=BB6_7478 Depth=2
	s_or_b32 exec_lo, exec_lo, s27
	s_delay_alu instid0(SALU_CYCLE_1)
	s_and_b32 s10, s10, exec_lo
	s_or_saveexec_b32 s26, s26
	v_mov_b32_e32 v118, s25
	s_xor_b32 exec_lo, exec_lo, s26
	s_cbranch_execz .LBB6_7857
.LBB6_8088:                             ;   in Loop: Header=BB6_7478 Depth=2
	v_cmp_ne_u16_e32 vcc_lo, 0, v119
	v_mov_b32_e32 v118, 0
	s_and_not1_b32 s10, s10, exec_lo
	s_and_b32 s25, vcc_lo, exec_lo
	s_delay_alu instid0(SALU_CYCLE_1)
	s_or_b32 s10, s10, s25
	s_or_b32 exec_lo, exec_lo, s26
	s_and_saveexec_b32 s25, s10
	s_cbranch_execnz .LBB6_7858
	s_branch .LBB6_7859
.LBB6_8089:                             ;   in Loop: Header=BB6_7478 Depth=2
	s_mov_b32 s10, -1
	s_mov_b32 s27, exec_lo
                                        ; implicit-def: $sgpr25
	v_cmpx_eq_u16_e32 0x80, v66
; %bb.8090:                             ;   in Loop: Header=BB6_7478 Depth=2
	s_mov_b32 s25, 0x7f800001
	s_xor_b32 s10, exec_lo, -1
; %bb.8091:                             ;   in Loop: Header=BB6_7478 Depth=2
	s_or_b32 exec_lo, exec_lo, s27
	s_delay_alu instid0(SALU_CYCLE_1)
	s_and_b32 s10, s10, exec_lo
	s_or_saveexec_b32 s26, s26
	v_mov_b32_e32 v119, s25
	s_xor_b32 exec_lo, exec_lo, s26
	s_cbranch_execz .LBB6_7861
.LBB6_8092:                             ;   in Loop: Header=BB6_7478 Depth=2
	v_cmp_ne_u16_e32 vcc_lo, 0, v66
	v_mov_b32_e32 v119, 0
	s_and_not1_b32 s10, s10, exec_lo
	s_and_b32 s25, vcc_lo, exec_lo
	s_delay_alu instid0(SALU_CYCLE_1)
	s_or_b32 s10, s10, s25
	s_or_b32 exec_lo, exec_lo, s26
	s_and_saveexec_b32 s25, s10
	s_cbranch_execnz .LBB6_7862
	s_branch .LBB6_7863
.LBB6_8093:                             ;   in Loop: Header=BB6_7478 Depth=2
	s_mov_b32 s10, -1
	s_mov_b32 s27, exec_lo
                                        ; implicit-def: $sgpr25
	v_cmpx_eq_u16_e32 0x80, v112
; %bb.8094:                             ;   in Loop: Header=BB6_7478 Depth=2
	s_mov_b32 s25, 0x7f800001
	s_xor_b32 s10, exec_lo, -1
; %bb.8095:                             ;   in Loop: Header=BB6_7478 Depth=2
	s_or_b32 exec_lo, exec_lo, s27
	s_delay_alu instid0(SALU_CYCLE_1)
	s_and_b32 s10, s10, exec_lo
                                        ; implicit-def: $vgpr112
	s_or_saveexec_b32 s26, s26
	v_mov_b32_e32 v65, s25
	s_xor_b32 exec_lo, exec_lo, s26
	s_cbranch_execz .LBB6_7873
.LBB6_8096:                             ;   in Loop: Header=BB6_7478 Depth=2
	v_cmp_ne_u16_e32 vcc_lo, 0, v112
	v_mov_b32_e32 v65, 0
	s_and_not1_b32 s10, s10, exec_lo
	s_and_b32 s25, vcc_lo, exec_lo
	s_delay_alu instid0(SALU_CYCLE_1)
	s_or_b32 s10, s10, s25
	s_or_b32 exec_lo, exec_lo, s26
	s_and_saveexec_b32 s25, s10
	s_cbranch_execnz .LBB6_7874
	s_branch .LBB6_7875
.LBB6_8097:                             ;   in Loop: Header=BB6_7478 Depth=2
	s_mov_b32 s10, -1
	s_mov_b32 s27, exec_lo
                                        ; implicit-def: $sgpr25
	v_cmpx_eq_u16_e32 0x80, v118
; %bb.8098:                             ;   in Loop: Header=BB6_7478 Depth=2
	s_mov_b32 s25, 0x7f800001
	s_xor_b32 s10, exec_lo, -1
; %bb.8099:                             ;   in Loop: Header=BB6_7478 Depth=2
	s_or_b32 exec_lo, exec_lo, s27
	s_delay_alu instid0(SALU_CYCLE_1)
	s_and_b32 s10, s10, exec_lo
                                        ; implicit-def: $vgpr118
	s_or_saveexec_b32 s26, s26
	v_mov_b32_e32 v112, s25
	s_xor_b32 exec_lo, exec_lo, s26
	s_cbranch_execz .LBB6_7877
.LBB6_8100:                             ;   in Loop: Header=BB6_7478 Depth=2
	v_cmp_ne_u16_e32 vcc_lo, 0, v118
	v_mov_b32_e32 v112, 0
	s_and_not1_b32 s10, s10, exec_lo
	s_and_b32 s25, vcc_lo, exec_lo
	s_delay_alu instid0(SALU_CYCLE_1)
	s_or_b32 s10, s10, s25
	s_or_b32 exec_lo, exec_lo, s26
	s_and_saveexec_b32 s25, s10
	s_cbranch_execnz .LBB6_7878
	s_branch .LBB6_7879
.LBB6_8101:                             ;   in Loop: Header=BB6_7478 Depth=2
	s_mov_b32 s10, -1
	s_mov_b32 s27, exec_lo
                                        ; implicit-def: $sgpr25
	v_cmpx_eq_u16_e32 0x80, v118
; %bb.8102:                             ;   in Loop: Header=BB6_7478 Depth=2
	s_mov_b32 s25, 0x7f800001
	s_xor_b32 s10, exec_lo, -1
; %bb.8103:                             ;   in Loop: Header=BB6_7478 Depth=2
	s_or_b32 exec_lo, exec_lo, s27
	s_delay_alu instid0(SALU_CYCLE_1)
	s_and_b32 s10, s10, exec_lo
	s_or_saveexec_b32 s26, s26
	v_mov_b32_e32 v112, s25
	s_xor_b32 exec_lo, exec_lo, s26
	s_cbranch_execz .LBB6_7889
.LBB6_8104:                             ;   in Loop: Header=BB6_7478 Depth=2
	v_cmp_ne_u16_e32 vcc_lo, 0, v118
	v_mov_b32_e32 v112, 0
	s_and_not1_b32 s10, s10, exec_lo
	s_and_b32 s25, vcc_lo, exec_lo
	s_delay_alu instid0(SALU_CYCLE_1)
	s_or_b32 s10, s10, s25
	s_or_b32 exec_lo, exec_lo, s26
	s_and_saveexec_b32 s25, s10
	s_cbranch_execnz .LBB6_7890
	s_branch .LBB6_7891
.LBB6_8105:                             ;   in Loop: Header=BB6_7478 Depth=2
	s_mov_b32 s10, -1
	s_mov_b32 s27, exec_lo
                                        ; implicit-def: $sgpr25
	v_cmpx_eq_u16_e32 0x80, v118
; %bb.8106:                             ;   in Loop: Header=BB6_7478 Depth=2
	s_mov_b32 s25, 0x7f800001
	s_xor_b32 s10, exec_lo, -1
; %bb.8107:                             ;   in Loop: Header=BB6_7478 Depth=2
	s_or_b32 exec_lo, exec_lo, s27
	s_delay_alu instid0(SALU_CYCLE_1)
	s_and_b32 s10, s10, exec_lo
	s_or_saveexec_b32 s26, s26
	v_mov_b32_e32 v119, s25
	s_xor_b32 exec_lo, exec_lo, s26
	s_cbranch_execz .LBB6_7893
.LBB6_8108:                             ;   in Loop: Header=BB6_7478 Depth=2
	v_cmp_ne_u16_e32 vcc_lo, 0, v118
	v_mov_b32_e32 v119, 0
	s_and_not1_b32 s10, s10, exec_lo
	s_and_b32 s25, vcc_lo, exec_lo
	s_delay_alu instid0(SALU_CYCLE_1)
	s_or_b32 s10, s10, s25
	s_or_b32 exec_lo, exec_lo, s26
	s_and_saveexec_b32 s25, s10
	s_cbranch_execnz .LBB6_7894
	s_branch .LBB6_7895
.LBB6_8109:                             ;   in Loop: Header=BB6_7478 Depth=2
	s_mov_b32 s10, -1
	s_mov_b32 s27, exec_lo
                                        ; implicit-def: $sgpr25
	v_cmpx_eq_u16_e32 0x80, v118
; %bb.8110:                             ;   in Loop: Header=BB6_7478 Depth=2
	s_mov_b32 s25, 0x7f800001
	s_xor_b32 s10, exec_lo, -1
; %bb.8111:                             ;   in Loop: Header=BB6_7478 Depth=2
	s_or_b32 exec_lo, exec_lo, s27
	s_delay_alu instid0(SALU_CYCLE_1)
	s_and_b32 s10, s10, exec_lo
                                        ; implicit-def: $vgpr118
	s_or_saveexec_b32 s26, s26
	v_mov_b32_e32 v64, s25
	s_xor_b32 exec_lo, exec_lo, s26
	s_cbranch_execz .LBB6_7905
.LBB6_8112:                             ;   in Loop: Header=BB6_7478 Depth=2
	v_cmp_ne_u16_e32 vcc_lo, 0, v118
	v_mov_b32_e32 v64, 0
	s_and_not1_b32 s10, s10, exec_lo
	s_and_b32 s25, vcc_lo, exec_lo
	s_delay_alu instid0(SALU_CYCLE_1)
	s_or_b32 s10, s10, s25
	s_or_b32 exec_lo, exec_lo, s26
	v_lshl_or_b32 v66, v68, 16, v66
	s_and_saveexec_b32 s25, s10
	s_cbranch_execnz .LBB6_7906
	s_branch .LBB6_7907
.LBB6_8113:                             ;   in Loop: Header=BB6_7478 Depth=2
	s_mov_b32 s10, -1
	s_mov_b32 s27, exec_lo
                                        ; implicit-def: $sgpr25
	v_cmpx_eq_u16_e32 0x80, v119
; %bb.8114:                             ;   in Loop: Header=BB6_7478 Depth=2
	s_mov_b32 s25, 0x7f800001
	s_xor_b32 s10, exec_lo, -1
; %bb.8115:                             ;   in Loop: Header=BB6_7478 Depth=2
	s_or_b32 exec_lo, exec_lo, s27
	s_delay_alu instid0(SALU_CYCLE_1)
	s_and_b32 s10, s10, exec_lo
                                        ; implicit-def: $vgpr119
	s_or_saveexec_b32 s26, s26
	v_mov_b32_e32 v118, s25
	s_xor_b32 exec_lo, exec_lo, s26
	s_cbranch_execz .LBB6_7909
.LBB6_8116:                             ;   in Loop: Header=BB6_7478 Depth=2
	v_cmp_ne_u16_e32 vcc_lo, 0, v119
	v_mov_b32_e32 v118, 0
	s_and_not1_b32 s10, s10, exec_lo
	s_and_b32 s25, vcc_lo, exec_lo
	s_delay_alu instid0(SALU_CYCLE_1)
	s_or_b32 s10, s10, s25
	s_or_b32 exec_lo, exec_lo, s26
	s_and_saveexec_b32 s25, s10
	s_cbranch_execnz .LBB6_7910
	s_branch .LBB6_7911
.LBB6_8117:                             ;   in Loop: Header=BB6_7478 Depth=2
	s_mov_b32 s10, -1
	s_mov_b32 s27, exec_lo
                                        ; implicit-def: $sgpr25
	v_cmpx_eq_u16_e32 0x80, v118
; %bb.8118:                             ;   in Loop: Header=BB6_7478 Depth=2
	s_mov_b32 s25, 0x7f800001
	s_xor_b32 s10, exec_lo, -1
; %bb.8119:                             ;   in Loop: Header=BB6_7478 Depth=2
	s_or_b32 exec_lo, exec_lo, s27
	s_delay_alu instid0(SALU_CYCLE_1)
	s_and_b32 s10, s10, exec_lo
	s_or_saveexec_b32 s26, s26
	v_mov_b32_e32 v68, s25
	s_xor_b32 exec_lo, exec_lo, s26
	s_cbranch_execz .LBB6_7921
.LBB6_8120:                             ;   in Loop: Header=BB6_7478 Depth=2
	v_cmp_ne_u16_e32 vcc_lo, 0, v118
	v_mov_b32_e32 v68, 0
	s_and_not1_b32 s10, s10, exec_lo
	s_and_b32 s25, vcc_lo, exec_lo
	s_delay_alu instid0(SALU_CYCLE_1)
	s_or_b32 s10, s10, s25
	s_or_b32 exec_lo, exec_lo, s26
	s_and_saveexec_b32 s25, s10
	s_cbranch_execnz .LBB6_7922
	s_branch .LBB6_7923
.LBB6_8121:                             ;   in Loop: Header=BB6_7478 Depth=2
	s_mov_b32 s10, -1
	s_mov_b32 s27, exec_lo
                                        ; implicit-def: $sgpr25
	v_cmpx_eq_u16_e32 0x80, v66
; %bb.8122:                             ;   in Loop: Header=BB6_7478 Depth=2
	s_mov_b32 s25, 0x7f800001
	s_xor_b32 s10, exec_lo, -1
; %bb.8123:                             ;   in Loop: Header=BB6_7478 Depth=2
	s_or_b32 exec_lo, exec_lo, s27
	s_delay_alu instid0(SALU_CYCLE_1)
	s_and_b32 s10, s10, exec_lo
	s_or_saveexec_b32 s26, s26
	v_mov_b32_e32 v118, s25
	s_xor_b32 exec_lo, exec_lo, s26
	s_cbranch_execz .LBB6_7925
.LBB6_8124:                             ;   in Loop: Header=BB6_7478 Depth=2
	v_cmp_ne_u16_e32 vcc_lo, 0, v66
	v_mov_b32_e32 v118, 0
	s_and_not1_b32 s10, s10, exec_lo
	s_and_b32 s25, vcc_lo, exec_lo
	s_delay_alu instid0(SALU_CYCLE_1)
	s_or_b32 s10, s10, s25
	s_or_b32 exec_lo, exec_lo, s26
	s_and_saveexec_b32 s25, s10
	s_cbranch_execnz .LBB6_7926
	s_branch .LBB6_7927
.LBB6_8125:                             ;   in Loop: Header=BB6_4817 Depth=1
	s_or_b32 exec_lo, exec_lo, s23
.LBB6_8126:                             ;   in Loop: Header=BB6_4817 Depth=1
	s_delay_alu instid0(SALU_CYCLE_1) | instskip(SKIP_3) | instid1(VALU_DEP_1)
	s_or_b32 exec_lo, exec_lo, s22
	v_dual_mov_b32 v18, 0 :: v_dual_and_b32 v11, 15, v50
	s_mov_b32 s10, 0
	s_mov_b32 s22, exec_lo
                                        ; implicit-def: $vgpr20
                                        ; implicit-def: $vgpr10
	v_cndmask_b32_e64 v19, v22, v11, s7
	s_delay_alu instid0(VALU_DEP_1)
	v_cmpx_ne_u32_e32 0, v19
	s_cbranch_execz .LBB6_8128
; %bb.8127:                             ;   in Loop: Header=BB6_4817 Depth=1
	v_cmp_lt_i32_e32 vcc_lo, 0, v23
	v_sub_nc_u32_e32 v11, v22, v11
	v_and_b32_e32 v12, 0x3ffffe00, v50
	s_mov_b32 s10, exec_lo
	v_cndmask_b32_e32 v10, 0, v70, vcc_lo
	s_delay_alu instid0(VALU_DEP_3) | instskip(NEXT) | instid1(VALU_DEP_2)
	v_cndmask_b32_e64 v11, 0, v11, s7
	v_sub_nc_u32_e32 v10, v10, v23
	s_delay_alu instid0(VALU_DEP_2) | instskip(NEXT) | instid1(VALU_DEP_2)
	v_add_nc_u32_e32 v18, v11, v12
	v_lshl_add_u32 v20, v10, 5, v21
	s_delay_alu instid0(VALU_DEP_1) | instskip(NEXT) | instid1(VALU_DEP_1)
	v_ashrrev_i32_e32 v10, 31, v20
	v_lshrrev_b32_e32 v10, 27, v10
	s_delay_alu instid0(VALU_DEP_1) | instskip(NEXT) | instid1(VALU_DEP_1)
	v_add_nc_u32_e32 v10, v20, v10
	v_ashrrev_i32_e32 v10, 5, v10
.LBB6_8128:                             ;   in Loop: Header=BB6_4817 Depth=1
	s_or_b32 exec_lo, exec_lo, s22
	s_delay_alu instid0(SALU_CYCLE_1)
	s_and_b32 s7, s10, exec_lo
.LBB6_8129:                             ;   in Loop: Header=BB6_4817 Depth=1
	s_or_b32 exec_lo, exec_lo, s21
.LBB6_8130:                             ;   in Loop: Header=BB6_4817 Depth=1
	s_and_saveexec_b32 s10, s7
	s_cbranch_execz .LBB6_9481
; %bb.8131:                             ;   in Loop: Header=BB6_4817 Depth=1
	s_delay_alu instid0(VALU_DEP_1) | instskip(SKIP_1) | instid1(VALU_DEP_1)
	v_ashrrev_i32_e32 v11, 31, v19
	s_mov_b32 s21, exec_lo
	v_lshrrev_b32_e32 v11, 22, v11
	s_delay_alu instid0(VALU_DEP_1) | instskip(NEXT) | instid1(VALU_DEP_1)
	v_add_nc_u32_e32 v11, v19, v11
	v_ashrrev_i32_e32 v22, 10, v11
	s_delay_alu instid0(VALU_DEP_1) | instskip(NEXT) | instid1(VALU_DEP_1)
	v_sub_nc_u32_e32 v21, v22, v10
	v_cmpx_lt_i32_e32 0, v21
	s_cbranch_execz .LBB6_9426
; %bb.8132:                             ;   in Loop: Header=BB6_4817 Depth=1
	s_cbranch_execz .LBB6_8133
; %bb.13103:
	s_getpc_b64 s[34:35]
.Lpost_getpc201:
	s_add_u32 s34, s34, (.LBB6_12827-.Lpost_getpc201)&4294967295
	s_addc_u32 s35, s35, (.LBB6_12827-.Lpost_getpc201)>>32
	s_setpc_b64 s[34:35]
.LBB6_8133:                             ;   in Loop: Header=BB6_4817 Depth=1
	v_ashrrev_i32_e32 v11, 31, v20
	ds_load_b64 v[15:16], v0
	v_lshlrev_b32_e32 v10, 10, v10
	s_mov_b32 s22, 0
	v_lshrrev_b32_e32 v11, 27, v11
	s_delay_alu instid0(VALU_DEP_1) | instskip(NEXT) | instid1(VALU_DEP_1)
	v_add_nc_u32_e32 v11, v20, v11
	v_and_b32_e32 v17, 0xffffffe0, v11
	ds_load_b128 v[11:14], v0
	v_sub_nc_u32_e32 v17, v20, v17
	s_waitcnt lgkmcnt(1)
	v_add_co_u32 v15, vcc_lo, 0x3e0, v15
	v_add_co_ci_u32_e32 v16, vcc_lo, 0, v16, vcc_lo
	s_delay_alu instid0(VALU_DEP_3) | instskip(NEXT) | instid1(VALU_DEP_1)
	v_add3_u32 v17, v18, v17, v10
	v_ashrrev_i32_e32 v23, 31, v17
	s_waitcnt lgkmcnt(0)
	v_add_co_u32 v10, vcc_lo, v11, v17
	s_delay_alu instid0(VALU_DEP_2)
	v_add_co_ci_u32_e32 v11, vcc_lo, v12, v23, vcc_lo
	v_add_co_u32 v12, vcc_lo, v13, v17
	v_add_co_ci_u32_e32 v13, vcc_lo, v14, v23, vcc_lo
	v_add_co_u32 v14, vcc_lo, v15, v17
	v_add_co_ci_u32_e32 v15, vcc_lo, v16, v23, vcc_lo
.LBB6_8134:                             ;   Parent Loop BB6_4817 Depth=1
                                        ; =>  This Inner Loop Header: Depth=2
	s_cbranch_execz .LBB6_8135
; %bb.13105:
	s_getpc_b64 s[34:35]
.Lpost_getpc202:
	s_add_u32 s34, s34, (.LBB6_12829-.Lpost_getpc202)&4294967295
	s_addc_u32 s35, s35, (.LBB6_12829-.Lpost_getpc202)>>32
	s_setpc_b64 s[34:35]
.LBB6_8135:                             ;   in Loop: Header=BB6_8134 Depth=2
	ds_load_b64 v[16:17], v0
	s_waitcnt lgkmcnt(0)
	v_and_b32_e32 v17, 0xff, v16
	v_readfirstlane_b32 s7, v16
	s_delay_alu instid0(VALU_DEP_2)
	v_cmp_gt_i16_e32 vcc_lo, 0x80, v17
	s_cbranch_vccnz .LBB6_8139
; %bb.8136:                             ;   in Loop: Header=BB6_8134 Depth=2
	v_cmp_eq_u16_e32 vcc_lo, 0x80, v17
	s_mov_b32 s23, -1
                                        ; implicit-def: $sgpr24
	s_cbranch_vccz .LBB6_8138
; %bb.8137:                             ;   in Loop: Header=BB6_8134 Depth=2
	s_mov_b32 s23, 0
	s_mov_b32 s24, 0x7f800001
.LBB6_8138:                             ;   in Loop: Header=BB6_8134 Depth=2
	s_mov_b32 s25, 0
	s_branch .LBB6_8140
.LBB6_8139:                             ;   in Loop: Header=BB6_8134 Depth=2
	s_mov_b32 s25, -1
	s_mov_b32 s23, 0
                                        ; implicit-def: $sgpr24
.LBB6_8140:                             ;   in Loop: Header=BB6_8134 Depth=2
	s_and_b32 vcc_lo, exec_lo, s25
	s_cbranch_vccz .LBB6_8142
; %bb.8141:                             ;   in Loop: Header=BB6_8134 Depth=2
	v_cmp_ne_u16_e64 s23, 0, v17
	s_mov_b32 s24, 0
.LBB6_8142:                             ;   in Loop: Header=BB6_8134 Depth=2
	s_delay_alu instid0(SALU_CYCLE_1) | instskip(NEXT) | instid1(VALU_DEP_2)
	v_mov_b32_e32 v17, s24
	s_and_not1_b32 vcc_lo, exec_lo, s23
	s_cbranch_vccnz .LBB6_8144
; %bb.8143:                             ;   in Loop: Header=BB6_8134 Depth=2
	s_and_b32 s23, s7, 7
	s_bfe_u32 s25, s7, 0x40003
	s_clz_i32_u32 s24, s23
	v_lshlrev_b32_e32 v16, 24, v16
	s_min_u32 s24, s24, 32
	s_delay_alu instid0(SALU_CYCLE_1)
	s_sub_i32 s26, s24, 28
	s_sub_i32 s24, 29, s24
	s_lshl_b32 s7, s7, s26
	v_and_b32_e32 v16, 0x80000000, v16
	s_and_b32 s7, s7, 7
	s_cmp_eq_u32 s25, 0
	s_cselect_b32 s24, s24, s25
	s_cselect_b32 s7, s7, s23
	s_lshl_b32 s23, s24, 23
	s_lshl_b32 s7, s7, 20
	s_add_i32 s23, s23, 0x3b800000
	s_delay_alu instid0(SALU_CYCLE_1) | instskip(NEXT) | instid1(VALU_DEP_1)
	v_or_b32_e32 v16, s23, v16
	v_or_b32_e32 v17, s7, v16
.LBB6_8144:                             ;   in Loop: Header=BB6_8134 Depth=2
	flat_load_u8 v16, v[10:11] slc dlc
	s_mov_b32 s7, 0
	s_mov_b32 s24, exec_lo
                                        ; implicit-def: $sgpr23
	s_waitcnt vmcnt(0) lgkmcnt(0)
	v_cmpx_lt_i16_e32 0x7f, v16
	s_xor_b32 s24, exec_lo, s24
	s_cbranch_execnz .LBB6_9041
; %bb.8145:                             ;   in Loop: Header=BB6_8134 Depth=2
	s_or_saveexec_b32 s24, s24
	v_mov_b32_e32 v23, s23
	s_xor_b32 exec_lo, exec_lo, s24
	s_cbranch_execnz .LBB6_9044
.LBB6_8146:                             ;   in Loop: Header=BB6_8134 Depth=2
	s_or_b32 exec_lo, exec_lo, s24
	s_and_saveexec_b32 s23, s7
	s_cbranch_execz .LBB6_8148
.LBB6_8147:                             ;   in Loop: Header=BB6_8134 Depth=2
	v_and_b32_e32 v23, 0xffff, v16
	v_lshlrev_b32_e32 v16, 24, v16
	s_delay_alu instid0(VALU_DEP_2) | instskip(NEXT) | instid1(VALU_DEP_2)
	v_and_b32_e32 v24, 7, v23
	v_and_b32_e32 v16, 0x80000000, v16
	s_delay_alu instid0(VALU_DEP_2) | instskip(NEXT) | instid1(VALU_DEP_1)
	v_clz_i32_u32_e32 v25, v24
	v_min_u32_e32 v25, 32, v25
	s_delay_alu instid0(VALU_DEP_1) | instskip(SKIP_1) | instid1(VALU_DEP_2)
	v_subrev_nc_u32_e32 v64, 28, v25
	v_sub_nc_u32_e32 v25, 29, v25
	v_lshlrev_b32_e32 v64, v64, v23
	v_bfe_u32 v23, v23, 3, 4
	s_delay_alu instid0(VALU_DEP_2) | instskip(NEXT) | instid1(VALU_DEP_2)
	v_and_b32_e32 v64, 7, v64
	v_cmp_eq_u32_e32 vcc_lo, 0, v23
	s_delay_alu instid0(VALU_DEP_2) | instskip(NEXT) | instid1(VALU_DEP_1)
	v_dual_cndmask_b32 v23, v23, v25 :: v_dual_cndmask_b32 v24, v24, v64
	v_lshl_add_u32 v23, v23, 23, 0x3b800000
	s_delay_alu instid0(VALU_DEP_2) | instskip(NEXT) | instid1(VALU_DEP_1)
	v_lshlrev_b32_e32 v24, 20, v24
	v_or3_b32 v23, v16, v23, v24
.LBB6_8148:                             ;   in Loop: Header=BB6_8134 Depth=2
	s_or_b32 exec_lo, exec_lo, s23
	s_delay_alu instid0(VALU_DEP_1) | instskip(SKIP_2) | instid1(VALU_DEP_2)
	v_mul_f32_e32 v16, v17, v23
	v_mov_b32_e32 v24, 0x80
	s_mov_b32 s23, exec_lo
	v_and_b32_e32 v23, 0x7f800000, v16
	s_delay_alu instid0(VALU_DEP_1)
	v_cmpx_ne_u32_e32 0x7f800000, v23
	s_cbranch_execz .LBB6_8156
; %bb.8149:                             ;   in Loop: Header=BB6_8134 Depth=2
	v_mov_b32_e32 v24, 0
	s_mov_b32 s24, exec_lo
	v_cmpx_ne_u32_e32 0, v16
	s_cbranch_execz .LBB6_8155
; %bb.8150:                             ;   in Loop: Header=BB6_8134 Depth=2
	v_bfe_u32 v23, v16, 23, 8
	s_delay_alu instid0(VALU_DEP_1) | instskip(SKIP_1) | instid1(VALU_DEP_2)
	v_sub_nc_u32_e32 v25, 0x78, v23
	v_cmp_gt_u32_e32 vcc_lo, 0x79, v23
	v_dual_cndmask_b32 v25, 0, v25 :: v_dual_and_b32 v24, 0x7fffff, v16
	s_delay_alu instid0(VALU_DEP_1) | instskip(SKIP_2) | instid1(VALU_DEP_4)
	v_or_b32_e32 v64, 0x800000, v24
	v_cmp_eq_u32_e32 vcc_lo, 0, v23
	v_add_nc_u32_e32 v23, 0xffffff89, v23
	v_cndmask_b32_e64 v25, v25, 0x77, vcc_lo
	s_delay_alu instid0(VALU_DEP_4) | instskip(NEXT) | instid1(VALU_DEP_3)
	v_cndmask_b32_e32 v24, v64, v24, vcc_lo
	v_cndmask_b32_e64 v23, v23, 0xffffff8a, vcc_lo
	s_delay_alu instid0(VALU_DEP_3) | instskip(NEXT) | instid1(VALU_DEP_3)
	v_lshl_add_u32 v64, 0x100000, v25, -1
	v_lshrrev_b32_e32 v65, v25, v24
	v_lshlrev_b32_e64 v67, v25, 0x80000
	s_delay_alu instid0(VALU_DEP_4) | instskip(NEXT) | instid1(VALU_DEP_4)
	v_add_nc_u32_e32 v25, v25, v23
	v_and_b32_e32 v24, v64, v24
	s_delay_alu instid0(VALU_DEP_4) | instskip(NEXT) | instid1(VALU_DEP_2)
	v_bfe_u32 v66, v65, 20, 1
	v_cmp_eq_u32_e64 s7, v24, v67
	s_delay_alu instid0(VALU_DEP_2) | instskip(NEXT) | instid1(VALU_DEP_1)
	v_add_nc_u32_e32 v64, -1, v66
	v_cndmask_b32_e64 v24, 0, v64, s7
	v_lshrrev_b32_e32 v64, 23, v65
	s_mov_b32 s7, exec_lo
	s_delay_alu instid0(VALU_DEP_2) | instskip(NEXT) | instid1(VALU_DEP_2)
	v_add_nc_u32_e32 v24, v24, v65
	v_xor_b32_e32 v64, 1, v64
	s_delay_alu instid0(VALU_DEP_2) | instskip(NEXT) | instid1(VALU_DEP_1)
	v_and_b32_e32 v23, 0xfffff, v24
	v_add_nc_u32_e32 v24, v23, v65
                                        ; implicit-def: $vgpr23
	s_delay_alu instid0(VALU_DEP_3)
	v_cmpx_ne_u32_e64 v25, v64
	s_xor_b32 s7, exec_lo, s7
; %bb.8151:                             ;   in Loop: Header=BB6_8134 Depth=2
	s_delay_alu instid0(VALU_DEP_2) | instskip(SKIP_2) | instid1(VALU_DEP_2)
	v_cmp_lt_u32_e32 vcc_lo, 0xffffff, v24
	v_sub_nc_u32_e32 v23, v25, v64
	v_cndmask_b32_e64 v25, 0, 1, vcc_lo
	v_add_co_ci_u32_e32 v23, vcc_lo, 0, v23, vcc_lo
	s_delay_alu instid0(VALU_DEP_2)
	v_lshrrev_b32_e32 v24, v25, v24
; %bb.8152:                             ;   in Loop: Header=BB6_8134 Depth=2
	s_and_not1_saveexec_b32 s7, s7
; %bb.8153:                             ;   in Loop: Header=BB6_8134 Depth=2
	s_delay_alu instid0(VALU_DEP_1)
	v_bfe_u32 v23, v24, 23, 1
; %bb.8154:                             ;   in Loop: Header=BB6_8134 Depth=2
	s_or_b32 exec_lo, exec_lo, s7
	v_lshrrev_b32_e32 v24, 20, v24
	s_delay_alu instid0(VALU_DEP_2) | instskip(SKIP_2) | instid1(VALU_DEP_4)
	v_cmp_gt_i32_e32 vcc_lo, 16, v23
	v_lshrrev_b32_e32 v16, 24, v16
	v_min_i32_e32 v25, 15, v23
	v_cndmask_b32_e32 v24, 7, v24, vcc_lo
	s_delay_alu instid0(VALU_DEP_3) | instskip(NEXT) | instid1(VALU_DEP_3)
	v_and_b32_e32 v16, 0x80, v16
	v_lshlrev_b32_e32 v25, 3, v25
	s_delay_alu instid0(VALU_DEP_3) | instskip(SKIP_1) | instid1(VALU_DEP_2)
	v_and_b32_e32 v64, 7, v24
	v_or_b32_e32 v23, v23, v24
	v_or3_b32 v16, v25, v16, v64
	s_delay_alu instid0(VALU_DEP_2) | instskip(NEXT) | instid1(VALU_DEP_2)
	v_cmp_ne_u32_e32 vcc_lo, 0, v23
	v_cndmask_b32_e32 v24, 0, v16, vcc_lo
.LBB6_8155:                             ;   in Loop: Header=BB6_8134 Depth=2
	s_or_b32 exec_lo, exec_lo, s24
.LBB6_8156:                             ;   in Loop: Header=BB6_8134 Depth=2
	s_delay_alu instid0(SALU_CYCLE_1)
	s_or_b32 exec_lo, exec_lo, s23
	flat_load_u8 v16, v[10:11] offset:32 slc dlc
	s_mov_b32 s7, 0
	s_mov_b32 s24, exec_lo
                                        ; implicit-def: $sgpr23
	s_waitcnt vmcnt(0) lgkmcnt(0)
	v_cmpx_lt_i16_e32 0x7f, v16
	s_xor_b32 s24, exec_lo, s24
	s_cbranch_execnz .LBB6_9045
; %bb.8157:                             ;   in Loop: Header=BB6_8134 Depth=2
	s_or_saveexec_b32 s24, s24
	v_mov_b32_e32 v23, s23
	s_xor_b32 exec_lo, exec_lo, s24
	s_cbranch_execnz .LBB6_9048
.LBB6_8158:                             ;   in Loop: Header=BB6_8134 Depth=2
	s_or_b32 exec_lo, exec_lo, s24
	s_and_saveexec_b32 s23, s7
	s_cbranch_execz .LBB6_8160
.LBB6_8159:                             ;   in Loop: Header=BB6_8134 Depth=2
	v_and_b32_e32 v23, 0xffff, v16
	s_delay_alu instid0(VALU_DEP_1) | instskip(NEXT) | instid1(VALU_DEP_1)
	v_and_b32_e32 v25, 7, v23
	v_clz_i32_u32_e32 v64, v25
	s_delay_alu instid0(VALU_DEP_1) | instskip(NEXT) | instid1(VALU_DEP_1)
	v_min_u32_e32 v64, 32, v64
	v_subrev_nc_u32_e32 v65, 28, v64
	v_sub_nc_u32_e32 v64, 29, v64
	s_delay_alu instid0(VALU_DEP_2) | instskip(SKIP_1) | instid1(VALU_DEP_2)
	v_lshlrev_b32_e32 v65, v65, v23
	v_bfe_u32 v23, v23, 3, 4
	v_and_b32_e32 v65, 7, v65
	s_delay_alu instid0(VALU_DEP_2) | instskip(NEXT) | instid1(VALU_DEP_2)
	v_cmp_eq_u32_e32 vcc_lo, 0, v23
	v_dual_cndmask_b32 v25, v25, v65 :: v_dual_lshlrev_b32 v16, 24, v16
	v_cndmask_b32_e32 v23, v23, v64, vcc_lo
	s_delay_alu instid0(VALU_DEP_2) | instskip(NEXT) | instid1(VALU_DEP_3)
	v_and_b32_e32 v16, 0x80000000, v16
	v_lshlrev_b32_e32 v25, 20, v25
	s_delay_alu instid0(VALU_DEP_3) | instskip(NEXT) | instid1(VALU_DEP_1)
	v_lshl_add_u32 v23, v23, 23, 0x3b800000
	v_or3_b32 v23, v16, v23, v25
.LBB6_8160:                             ;   in Loop: Header=BB6_8134 Depth=2
	s_or_b32 exec_lo, exec_lo, s23
	s_delay_alu instid0(VALU_DEP_1) | instskip(SKIP_1) | instid1(VALU_DEP_1)
	v_dual_mul_f32 v16, v17, v23 :: v_dual_mov_b32 v67, 0x80
	s_mov_b32 s23, exec_lo
	v_and_b32_e32 v23, 0x7f800000, v16
	s_delay_alu instid0(VALU_DEP_1)
	v_cmpx_ne_u32_e32 0x7f800000, v23
	s_cbranch_execz .LBB6_8168
; %bb.8161:                             ;   in Loop: Header=BB6_8134 Depth=2
	v_mov_b32_e32 v67, 0
	s_mov_b32 s24, exec_lo
	v_cmpx_ne_u32_e32 0, v16
	s_cbranch_execz .LBB6_8167
; %bb.8162:                             ;   in Loop: Header=BB6_8134 Depth=2
	v_bfe_u32 v23, v16, 23, 8
	v_and_b32_e32 v25, 0x7fffff, v16
	s_delay_alu instid0(VALU_DEP_2) | instskip(SKIP_1) | instid1(VALU_DEP_3)
	v_sub_nc_u32_e32 v64, 0x78, v23
	v_cmp_gt_u32_e32 vcc_lo, 0x79, v23
	v_or_b32_e32 v65, 0x800000, v25
	s_delay_alu instid0(VALU_DEP_3) | instskip(SKIP_2) | instid1(VALU_DEP_4)
	v_cndmask_b32_e32 v64, 0, v64, vcc_lo
	v_cmp_eq_u32_e32 vcc_lo, 0, v23
	v_add_nc_u32_e32 v23, 0xffffff89, v23
	v_cndmask_b32_e32 v25, v65, v25, vcc_lo
	s_delay_alu instid0(VALU_DEP_4) | instskip(NEXT) | instid1(VALU_DEP_3)
	v_cndmask_b32_e64 v64, v64, 0x77, vcc_lo
	v_cndmask_b32_e64 v23, v23, 0xffffff8a, vcc_lo
	s_delay_alu instid0(VALU_DEP_2) | instskip(SKIP_2) | instid1(VALU_DEP_4)
	v_lshrrev_b32_e32 v66, v64, v25
	v_lshl_add_u32 v65, 0x100000, v64, -1
	v_lshlrev_b32_e64 v68, v64, 0x80000
	v_add_nc_u32_e32 v64, v64, v23
	s_delay_alu instid0(VALU_DEP_4) | instskip(NEXT) | instid1(VALU_DEP_4)
	v_bfe_u32 v67, v66, 20, 1
	v_and_b32_e32 v25, v65, v25
	s_delay_alu instid0(VALU_DEP_2) | instskip(NEXT) | instid1(VALU_DEP_2)
	v_add_nc_u32_e32 v65, -1, v67
	v_cmp_eq_u32_e64 s7, v25, v68
	s_delay_alu instid0(VALU_DEP_1) | instskip(SKIP_2) | instid1(VALU_DEP_2)
	v_cndmask_b32_e64 v25, 0, v65, s7
	v_lshrrev_b32_e32 v65, 23, v66
	s_mov_b32 s7, exec_lo
	v_add_nc_u32_e32 v25, v25, v66
	s_delay_alu instid0(VALU_DEP_2) | instskip(NEXT) | instid1(VALU_DEP_2)
	v_xor_b32_e32 v65, 1, v65
	v_and_b32_e32 v23, 0xfffff, v25
	s_delay_alu instid0(VALU_DEP_1) | instskip(NEXT) | instid1(VALU_DEP_3)
	v_add_nc_u32_e32 v25, v23, v66
                                        ; implicit-def: $vgpr23
	v_cmpx_ne_u32_e64 v64, v65
	s_xor_b32 s7, exec_lo, s7
; %bb.8163:                             ;   in Loop: Header=BB6_8134 Depth=2
	s_delay_alu instid0(VALU_DEP_2) | instskip(SKIP_2) | instid1(VALU_DEP_2)
	v_cmp_lt_u32_e32 vcc_lo, 0xffffff, v25
	v_sub_nc_u32_e32 v23, v64, v65
	v_cndmask_b32_e64 v64, 0, 1, vcc_lo
	v_add_co_ci_u32_e32 v23, vcc_lo, 0, v23, vcc_lo
	s_delay_alu instid0(VALU_DEP_2)
	v_lshrrev_b32_e32 v25, v64, v25
; %bb.8164:                             ;   in Loop: Header=BB6_8134 Depth=2
	s_and_not1_saveexec_b32 s7, s7
; %bb.8165:                             ;   in Loop: Header=BB6_8134 Depth=2
	s_delay_alu instid0(VALU_DEP_1)
	v_bfe_u32 v23, v25, 23, 1
; %bb.8166:                             ;   in Loop: Header=BB6_8134 Depth=2
	s_or_b32 exec_lo, exec_lo, s7
	v_lshrrev_b32_e32 v25, 20, v25
	s_delay_alu instid0(VALU_DEP_2) | instskip(SKIP_2) | instid1(VALU_DEP_2)
	v_cmp_gt_i32_e32 vcc_lo, 16, v23
	v_lshrrev_b32_e32 v16, 24, v16
	v_min_i32_e32 v64, 15, v23
	v_dual_cndmask_b32 v25, 7, v25 :: v_dual_and_b32 v16, 0x80, v16
	s_delay_alu instid0(VALU_DEP_2) | instskip(NEXT) | instid1(VALU_DEP_2)
	v_lshlrev_b32_e32 v64, 3, v64
	v_and_b32_e32 v65, 7, v25
	v_or_b32_e32 v23, v23, v25
	s_delay_alu instid0(VALU_DEP_2) | instskip(NEXT) | instid1(VALU_DEP_2)
	v_or3_b32 v16, v64, v16, v65
	v_cmp_ne_u32_e32 vcc_lo, 0, v23
	s_delay_alu instid0(VALU_DEP_2)
	v_cndmask_b32_e32 v67, 0, v16, vcc_lo
.LBB6_8167:                             ;   in Loop: Header=BB6_8134 Depth=2
	s_or_b32 exec_lo, exec_lo, s24
.LBB6_8168:                             ;   in Loop: Header=BB6_8134 Depth=2
	s_delay_alu instid0(SALU_CYCLE_1)
	s_or_b32 exec_lo, exec_lo, s23
	flat_load_u8 v16, v[10:11] offset:64 slc dlc
	s_mov_b32 s7, 0
	s_mov_b32 s24, exec_lo
                                        ; implicit-def: $sgpr23
	s_waitcnt vmcnt(0) lgkmcnt(0)
	v_cmpx_lt_i16_e32 0x7f, v16
	s_xor_b32 s24, exec_lo, s24
	s_cbranch_execnz .LBB6_9049
; %bb.8169:                             ;   in Loop: Header=BB6_8134 Depth=2
	s_or_saveexec_b32 s24, s24
	v_mov_b32_e32 v23, s23
	s_xor_b32 exec_lo, exec_lo, s24
	s_cbranch_execnz .LBB6_9052
.LBB6_8170:                             ;   in Loop: Header=BB6_8134 Depth=2
	s_or_b32 exec_lo, exec_lo, s24
	s_and_saveexec_b32 s23, s7
	s_cbranch_execz .LBB6_8172
.LBB6_8171:                             ;   in Loop: Header=BB6_8134 Depth=2
	v_and_b32_e32 v23, 0xffff, v16
	s_delay_alu instid0(VALU_DEP_1) | instskip(NEXT) | instid1(VALU_DEP_1)
	v_and_b32_e32 v25, 7, v23
	v_clz_i32_u32_e32 v64, v25
	s_delay_alu instid0(VALU_DEP_1) | instskip(NEXT) | instid1(VALU_DEP_1)
	v_min_u32_e32 v64, 32, v64
	v_subrev_nc_u32_e32 v65, 28, v64
	v_sub_nc_u32_e32 v64, 29, v64
	s_delay_alu instid0(VALU_DEP_2) | instskip(SKIP_1) | instid1(VALU_DEP_2)
	v_lshlrev_b32_e32 v65, v65, v23
	v_bfe_u32 v23, v23, 3, 4
	v_and_b32_e32 v65, 7, v65
	s_delay_alu instid0(VALU_DEP_2) | instskip(NEXT) | instid1(VALU_DEP_2)
	v_cmp_eq_u32_e32 vcc_lo, 0, v23
	v_dual_cndmask_b32 v25, v25, v65 :: v_dual_lshlrev_b32 v16, 24, v16
	v_cndmask_b32_e32 v23, v23, v64, vcc_lo
	s_delay_alu instid0(VALU_DEP_2) | instskip(NEXT) | instid1(VALU_DEP_3)
	v_and_b32_e32 v16, 0x80000000, v16
	v_lshlrev_b32_e32 v25, 20, v25
	s_delay_alu instid0(VALU_DEP_3) | instskip(NEXT) | instid1(VALU_DEP_1)
	v_lshl_add_u32 v23, v23, 23, 0x3b800000
	v_or3_b32 v23, v16, v23, v25
.LBB6_8172:                             ;   in Loop: Header=BB6_8134 Depth=2
	s_or_b32 exec_lo, exec_lo, s23
	s_delay_alu instid0(VALU_DEP_1) | instskip(SKIP_1) | instid1(VALU_DEP_1)
	v_dual_mul_f32 v16, v17, v23 :: v_dual_mov_b32 v113, 0x80
	s_mov_b32 s23, exec_lo
	v_and_b32_e32 v23, 0x7f800000, v16
	s_delay_alu instid0(VALU_DEP_1)
	v_cmpx_ne_u32_e32 0x7f800000, v23
	s_cbranch_execz .LBB6_8180
; %bb.8173:                             ;   in Loop: Header=BB6_8134 Depth=2
	v_mov_b32_e32 v113, 0
	s_mov_b32 s24, exec_lo
	v_cmpx_ne_u32_e32 0, v16
	s_cbranch_execz .LBB6_8179
; %bb.8174:                             ;   in Loop: Header=BB6_8134 Depth=2
	v_bfe_u32 v23, v16, 23, 8
	v_and_b32_e32 v25, 0x7fffff, v16
	s_delay_alu instid0(VALU_DEP_2) | instskip(SKIP_1) | instid1(VALU_DEP_3)
	v_sub_nc_u32_e32 v64, 0x78, v23
	v_cmp_gt_u32_e32 vcc_lo, 0x79, v23
	v_or_b32_e32 v65, 0x800000, v25
	s_delay_alu instid0(VALU_DEP_3) | instskip(SKIP_2) | instid1(VALU_DEP_4)
	v_cndmask_b32_e32 v64, 0, v64, vcc_lo
	v_cmp_eq_u32_e32 vcc_lo, 0, v23
	v_add_nc_u32_e32 v23, 0xffffff89, v23
	v_cndmask_b32_e32 v25, v65, v25, vcc_lo
	s_delay_alu instid0(VALU_DEP_4) | instskip(NEXT) | instid1(VALU_DEP_3)
	v_cndmask_b32_e64 v64, v64, 0x77, vcc_lo
	v_cndmask_b32_e64 v23, v23, 0xffffff8a, vcc_lo
	s_delay_alu instid0(VALU_DEP_2) | instskip(SKIP_2) | instid1(VALU_DEP_4)
	v_lshrrev_b32_e32 v66, v64, v25
	v_lshl_add_u32 v65, 0x100000, v64, -1
	v_lshlrev_b32_e64 v69, v64, 0x80000
	v_add_nc_u32_e32 v64, v64, v23
	s_delay_alu instid0(VALU_DEP_4) | instskip(NEXT) | instid1(VALU_DEP_4)
	v_bfe_u32 v68, v66, 20, 1
	v_and_b32_e32 v25, v65, v25
	s_delay_alu instid0(VALU_DEP_2) | instskip(NEXT) | instid1(VALU_DEP_2)
	v_add_nc_u32_e32 v65, -1, v68
	v_cmp_eq_u32_e64 s7, v25, v69
	s_delay_alu instid0(VALU_DEP_1) | instskip(SKIP_2) | instid1(VALU_DEP_2)
	v_cndmask_b32_e64 v25, 0, v65, s7
	v_lshrrev_b32_e32 v65, 23, v66
	s_mov_b32 s7, exec_lo
	v_add_nc_u32_e32 v25, v25, v66
	s_delay_alu instid0(VALU_DEP_2) | instskip(NEXT) | instid1(VALU_DEP_2)
	v_xor_b32_e32 v65, 1, v65
	v_and_b32_e32 v23, 0xfffff, v25
	s_delay_alu instid0(VALU_DEP_1) | instskip(NEXT) | instid1(VALU_DEP_3)
	v_add_nc_u32_e32 v25, v23, v66
                                        ; implicit-def: $vgpr23
	v_cmpx_ne_u32_e64 v64, v65
	s_xor_b32 s7, exec_lo, s7
; %bb.8175:                             ;   in Loop: Header=BB6_8134 Depth=2
	s_delay_alu instid0(VALU_DEP_2) | instskip(SKIP_2) | instid1(VALU_DEP_2)
	v_cmp_lt_u32_e32 vcc_lo, 0xffffff, v25
	v_sub_nc_u32_e32 v23, v64, v65
	v_cndmask_b32_e64 v64, 0, 1, vcc_lo
	v_add_co_ci_u32_e32 v23, vcc_lo, 0, v23, vcc_lo
	s_delay_alu instid0(VALU_DEP_2)
	v_lshrrev_b32_e32 v25, v64, v25
; %bb.8176:                             ;   in Loop: Header=BB6_8134 Depth=2
	s_and_not1_saveexec_b32 s7, s7
; %bb.8177:                             ;   in Loop: Header=BB6_8134 Depth=2
	s_delay_alu instid0(VALU_DEP_1)
	v_bfe_u32 v23, v25, 23, 1
; %bb.8178:                             ;   in Loop: Header=BB6_8134 Depth=2
	s_or_b32 exec_lo, exec_lo, s7
	v_lshrrev_b32_e32 v25, 20, v25
	s_delay_alu instid0(VALU_DEP_2) | instskip(SKIP_2) | instid1(VALU_DEP_2)
	v_cmp_gt_i32_e32 vcc_lo, 16, v23
	v_lshrrev_b32_e32 v16, 24, v16
	v_min_i32_e32 v64, 15, v23
	v_dual_cndmask_b32 v25, 7, v25 :: v_dual_and_b32 v16, 0x80, v16
	s_delay_alu instid0(VALU_DEP_2) | instskip(NEXT) | instid1(VALU_DEP_2)
	v_lshlrev_b32_e32 v64, 3, v64
	v_and_b32_e32 v65, 7, v25
	v_or_b32_e32 v23, v23, v25
	s_delay_alu instid0(VALU_DEP_2) | instskip(NEXT) | instid1(VALU_DEP_2)
	v_or3_b32 v16, v64, v16, v65
	v_cmp_ne_u32_e32 vcc_lo, 0, v23
	s_delay_alu instid0(VALU_DEP_2)
	v_cndmask_b32_e32 v113, 0, v16, vcc_lo
.LBB6_8179:                             ;   in Loop: Header=BB6_8134 Depth=2
	s_or_b32 exec_lo, exec_lo, s24
.LBB6_8180:                             ;   in Loop: Header=BB6_8134 Depth=2
	s_delay_alu instid0(SALU_CYCLE_1)
	s_or_b32 exec_lo, exec_lo, s23
	flat_load_u8 v16, v[10:11] offset:96 slc dlc
	s_mov_b32 s7, 0
	s_mov_b32 s24, exec_lo
                                        ; implicit-def: $sgpr23
	s_waitcnt vmcnt(0) lgkmcnt(0)
	v_cmpx_lt_i16_e32 0x7f, v16
	s_xor_b32 s24, exec_lo, s24
	s_cbranch_execnz .LBB6_9053
; %bb.8181:                             ;   in Loop: Header=BB6_8134 Depth=2
	s_or_saveexec_b32 s24, s24
	v_mov_b32_e32 v23, s23
	s_xor_b32 exec_lo, exec_lo, s24
	s_cbranch_execnz .LBB6_9056
.LBB6_8182:                             ;   in Loop: Header=BB6_8134 Depth=2
	s_or_b32 exec_lo, exec_lo, s24
	s_and_saveexec_b32 s23, s7
	s_cbranch_execz .LBB6_8184
.LBB6_8183:                             ;   in Loop: Header=BB6_8134 Depth=2
	v_and_b32_e32 v23, 0xffff, v16
	s_delay_alu instid0(VALU_DEP_1) | instskip(NEXT) | instid1(VALU_DEP_1)
	v_and_b32_e32 v25, 7, v23
	v_clz_i32_u32_e32 v64, v25
	s_delay_alu instid0(VALU_DEP_1) | instskip(NEXT) | instid1(VALU_DEP_1)
	v_min_u32_e32 v64, 32, v64
	v_subrev_nc_u32_e32 v65, 28, v64
	v_sub_nc_u32_e32 v64, 29, v64
	s_delay_alu instid0(VALU_DEP_2) | instskip(SKIP_1) | instid1(VALU_DEP_2)
	v_lshlrev_b32_e32 v65, v65, v23
	v_bfe_u32 v23, v23, 3, 4
	v_and_b32_e32 v65, 7, v65
	s_delay_alu instid0(VALU_DEP_2) | instskip(NEXT) | instid1(VALU_DEP_2)
	v_cmp_eq_u32_e32 vcc_lo, 0, v23
	v_dual_cndmask_b32 v25, v25, v65 :: v_dual_lshlrev_b32 v16, 24, v16
	v_cndmask_b32_e32 v23, v23, v64, vcc_lo
	s_delay_alu instid0(VALU_DEP_2) | instskip(NEXT) | instid1(VALU_DEP_3)
	v_and_b32_e32 v16, 0x80000000, v16
	v_lshlrev_b32_e32 v25, 20, v25
	s_delay_alu instid0(VALU_DEP_3) | instskip(NEXT) | instid1(VALU_DEP_1)
	v_lshl_add_u32 v23, v23, 23, 0x3b800000
	v_or3_b32 v23, v16, v23, v25
.LBB6_8184:                             ;   in Loop: Header=BB6_8134 Depth=2
	s_or_b32 exec_lo, exec_lo, s23
	s_delay_alu instid0(VALU_DEP_1) | instskip(SKIP_2) | instid1(VALU_DEP_2)
	v_mul_f32_e32 v16, v17, v23
	v_mov_b32_e32 v118, 0x80
	s_mov_b32 s23, exec_lo
	v_and_b32_e32 v23, 0x7f800000, v16
	s_delay_alu instid0(VALU_DEP_1)
	v_cmpx_ne_u32_e32 0x7f800000, v23
	s_cbranch_execz .LBB6_8192
; %bb.8185:                             ;   in Loop: Header=BB6_8134 Depth=2
	v_mov_b32_e32 v118, 0
	s_mov_b32 s24, exec_lo
	v_cmpx_ne_u32_e32 0, v16
	s_cbranch_execz .LBB6_8191
; %bb.8186:                             ;   in Loop: Header=BB6_8134 Depth=2
	v_bfe_u32 v23, v16, 23, 8
	v_and_b32_e32 v25, 0x7fffff, v16
	s_delay_alu instid0(VALU_DEP_2) | instskip(SKIP_1) | instid1(VALU_DEP_3)
	v_sub_nc_u32_e32 v64, 0x78, v23
	v_cmp_gt_u32_e32 vcc_lo, 0x79, v23
	v_or_b32_e32 v65, 0x800000, v25
	s_delay_alu instid0(VALU_DEP_3) | instskip(SKIP_2) | instid1(VALU_DEP_4)
	v_cndmask_b32_e32 v64, 0, v64, vcc_lo
	v_cmp_eq_u32_e32 vcc_lo, 0, v23
	v_add_nc_u32_e32 v23, 0xffffff89, v23
	v_cndmask_b32_e32 v25, v65, v25, vcc_lo
	s_delay_alu instid0(VALU_DEP_4) | instskip(NEXT) | instid1(VALU_DEP_3)
	v_cndmask_b32_e64 v64, v64, 0x77, vcc_lo
	v_cndmask_b32_e64 v23, v23, 0xffffff8a, vcc_lo
	s_delay_alu instid0(VALU_DEP_2) | instskip(SKIP_2) | instid1(VALU_DEP_4)
	v_lshrrev_b32_e32 v66, v64, v25
	v_lshl_add_u32 v65, 0x100000, v64, -1
	v_lshlrev_b32_e64 v69, v64, 0x80000
	v_add_nc_u32_e32 v64, v64, v23
	s_delay_alu instid0(VALU_DEP_4) | instskip(NEXT) | instid1(VALU_DEP_4)
	v_bfe_u32 v68, v66, 20, 1
	v_and_b32_e32 v25, v65, v25
	s_delay_alu instid0(VALU_DEP_2) | instskip(NEXT) | instid1(VALU_DEP_2)
	v_add_nc_u32_e32 v65, -1, v68
	v_cmp_eq_u32_e64 s7, v25, v69
	s_delay_alu instid0(VALU_DEP_1) | instskip(SKIP_2) | instid1(VALU_DEP_2)
	v_cndmask_b32_e64 v25, 0, v65, s7
	v_lshrrev_b32_e32 v65, 23, v66
	s_mov_b32 s7, exec_lo
	v_add_nc_u32_e32 v25, v25, v66
	s_delay_alu instid0(VALU_DEP_2) | instskip(NEXT) | instid1(VALU_DEP_2)
	v_xor_b32_e32 v65, 1, v65
	v_and_b32_e32 v23, 0xfffff, v25
	s_delay_alu instid0(VALU_DEP_1) | instskip(NEXT) | instid1(VALU_DEP_3)
	v_add_nc_u32_e32 v25, v23, v66
                                        ; implicit-def: $vgpr23
	v_cmpx_ne_u32_e64 v64, v65
	s_xor_b32 s7, exec_lo, s7
; %bb.8187:                             ;   in Loop: Header=BB6_8134 Depth=2
	s_delay_alu instid0(VALU_DEP_2) | instskip(SKIP_2) | instid1(VALU_DEP_2)
	v_cmp_lt_u32_e32 vcc_lo, 0xffffff, v25
	v_sub_nc_u32_e32 v23, v64, v65
	v_cndmask_b32_e64 v64, 0, 1, vcc_lo
	v_add_co_ci_u32_e32 v23, vcc_lo, 0, v23, vcc_lo
	s_delay_alu instid0(VALU_DEP_2)
	v_lshrrev_b32_e32 v25, v64, v25
; %bb.8188:                             ;   in Loop: Header=BB6_8134 Depth=2
	s_and_not1_saveexec_b32 s7, s7
; %bb.8189:                             ;   in Loop: Header=BB6_8134 Depth=2
	s_delay_alu instid0(VALU_DEP_1)
	v_bfe_u32 v23, v25, 23, 1
; %bb.8190:                             ;   in Loop: Header=BB6_8134 Depth=2
	s_or_b32 exec_lo, exec_lo, s7
	v_lshrrev_b32_e32 v25, 20, v25
	s_delay_alu instid0(VALU_DEP_2) | instskip(SKIP_2) | instid1(VALU_DEP_2)
	v_cmp_gt_i32_e32 vcc_lo, 16, v23
	v_lshrrev_b32_e32 v16, 24, v16
	v_min_i32_e32 v64, 15, v23
	v_dual_cndmask_b32 v25, 7, v25 :: v_dual_and_b32 v16, 0x80, v16
	s_delay_alu instid0(VALU_DEP_2) | instskip(NEXT) | instid1(VALU_DEP_2)
	v_lshlrev_b32_e32 v64, 3, v64
	v_or_b32_e32 v23, v23, v25
	s_delay_alu instid0(VALU_DEP_1) | instskip(SKIP_1) | instid1(VALU_DEP_1)
	v_cmp_ne_u32_e32 vcc_lo, 0, v23
	v_and_b32_e32 v65, 7, v25
	v_or3_b32 v16, v64, v16, v65
	s_delay_alu instid0(VALU_DEP_1)
	v_cndmask_b32_e32 v118, 0, v16, vcc_lo
.LBB6_8191:                             ;   in Loop: Header=BB6_8134 Depth=2
	s_or_b32 exec_lo, exec_lo, s24
.LBB6_8192:                             ;   in Loop: Header=BB6_8134 Depth=2
	s_delay_alu instid0(SALU_CYCLE_1)
	s_or_b32 exec_lo, exec_lo, s23
	flat_load_u8 v16, v[10:11] offset:128 slc dlc
	s_mov_b32 s7, 0
	s_mov_b32 s24, exec_lo
                                        ; implicit-def: $sgpr23
	s_waitcnt vmcnt(0) lgkmcnt(0)
	v_cmpx_lt_i16_e32 0x7f, v16
	s_xor_b32 s24, exec_lo, s24
	s_cbranch_execnz .LBB6_9057
; %bb.8193:                             ;   in Loop: Header=BB6_8134 Depth=2
	s_or_saveexec_b32 s24, s24
	v_mov_b32_e32 v23, s23
	s_xor_b32 exec_lo, exec_lo, s24
	s_cbranch_execnz .LBB6_9060
.LBB6_8194:                             ;   in Loop: Header=BB6_8134 Depth=2
	s_or_b32 exec_lo, exec_lo, s24
	s_and_saveexec_b32 s23, s7
	s_cbranch_execz .LBB6_8196
.LBB6_8195:                             ;   in Loop: Header=BB6_8134 Depth=2
	v_and_b32_e32 v23, 0xffff, v16
	s_delay_alu instid0(VALU_DEP_1) | instskip(NEXT) | instid1(VALU_DEP_1)
	v_and_b32_e32 v25, 7, v23
	v_clz_i32_u32_e32 v64, v25
	s_delay_alu instid0(VALU_DEP_1) | instskip(NEXT) | instid1(VALU_DEP_1)
	v_min_u32_e32 v64, 32, v64
	v_subrev_nc_u32_e32 v65, 28, v64
	v_sub_nc_u32_e32 v64, 29, v64
	s_delay_alu instid0(VALU_DEP_2) | instskip(SKIP_1) | instid1(VALU_DEP_2)
	v_lshlrev_b32_e32 v65, v65, v23
	v_bfe_u32 v23, v23, 3, 4
	v_and_b32_e32 v65, 7, v65
	s_delay_alu instid0(VALU_DEP_2) | instskip(NEXT) | instid1(VALU_DEP_2)
	v_cmp_eq_u32_e32 vcc_lo, 0, v23
	v_dual_cndmask_b32 v25, v25, v65 :: v_dual_lshlrev_b32 v16, 24, v16
	v_cndmask_b32_e32 v23, v23, v64, vcc_lo
	s_delay_alu instid0(VALU_DEP_2) | instskip(NEXT) | instid1(VALU_DEP_3)
	v_and_b32_e32 v16, 0x80000000, v16
	v_lshlrev_b32_e32 v25, 20, v25
	s_delay_alu instid0(VALU_DEP_3) | instskip(NEXT) | instid1(VALU_DEP_1)
	v_lshl_add_u32 v23, v23, 23, 0x3b800000
	v_or3_b32 v23, v16, v23, v25
.LBB6_8196:                             ;   in Loop: Header=BB6_8134 Depth=2
	s_or_b32 exec_lo, exec_lo, s23
	s_delay_alu instid0(VALU_DEP_1) | instskip(SKIP_1) | instid1(VALU_DEP_1)
	v_dual_mul_f32 v16, v17, v23 :: v_dual_mov_b32 v131, 0x80
	s_mov_b32 s23, exec_lo
	v_and_b32_e32 v23, 0x7f800000, v16
	s_delay_alu instid0(VALU_DEP_1)
	v_cmpx_ne_u32_e32 0x7f800000, v23
	s_cbranch_execz .LBB6_8204
; %bb.8197:                             ;   in Loop: Header=BB6_8134 Depth=2
	v_mov_b32_e32 v131, 0
	s_mov_b32 s24, exec_lo
	v_cmpx_ne_u32_e32 0, v16
	s_cbranch_execz .LBB6_8203
; %bb.8198:                             ;   in Loop: Header=BB6_8134 Depth=2
	v_bfe_u32 v23, v16, 23, 8
	v_and_b32_e32 v25, 0x7fffff, v16
	s_delay_alu instid0(VALU_DEP_2) | instskip(SKIP_1) | instid1(VALU_DEP_3)
	v_sub_nc_u32_e32 v64, 0x78, v23
	v_cmp_gt_u32_e32 vcc_lo, 0x79, v23
	v_or_b32_e32 v65, 0x800000, v25
	s_delay_alu instid0(VALU_DEP_3) | instskip(SKIP_2) | instid1(VALU_DEP_4)
	v_cndmask_b32_e32 v64, 0, v64, vcc_lo
	v_cmp_eq_u32_e32 vcc_lo, 0, v23
	v_add_nc_u32_e32 v23, 0xffffff89, v23
	v_cndmask_b32_e32 v25, v65, v25, vcc_lo
	s_delay_alu instid0(VALU_DEP_4) | instskip(NEXT) | instid1(VALU_DEP_3)
	v_cndmask_b32_e64 v64, v64, 0x77, vcc_lo
	v_cndmask_b32_e64 v23, v23, 0xffffff8a, vcc_lo
	s_delay_alu instid0(VALU_DEP_2) | instskip(SKIP_2) | instid1(VALU_DEP_4)
	v_lshrrev_b32_e32 v66, v64, v25
	v_lshl_add_u32 v65, 0x100000, v64, -1
	v_lshlrev_b32_e64 v69, v64, 0x80000
	v_add_nc_u32_e32 v64, v64, v23
	s_delay_alu instid0(VALU_DEP_4) | instskip(NEXT) | instid1(VALU_DEP_4)
	v_bfe_u32 v68, v66, 20, 1
	v_and_b32_e32 v25, v65, v25
	s_delay_alu instid0(VALU_DEP_2) | instskip(NEXT) | instid1(VALU_DEP_2)
	v_add_nc_u32_e32 v65, -1, v68
	v_cmp_eq_u32_e64 s7, v25, v69
	s_delay_alu instid0(VALU_DEP_1) | instskip(SKIP_2) | instid1(VALU_DEP_2)
	v_cndmask_b32_e64 v25, 0, v65, s7
	v_lshrrev_b32_e32 v65, 23, v66
	s_mov_b32 s7, exec_lo
	v_add_nc_u32_e32 v25, v25, v66
	s_delay_alu instid0(VALU_DEP_2) | instskip(NEXT) | instid1(VALU_DEP_2)
	v_xor_b32_e32 v65, 1, v65
	v_and_b32_e32 v23, 0xfffff, v25
	s_delay_alu instid0(VALU_DEP_1) | instskip(NEXT) | instid1(VALU_DEP_3)
	v_add_nc_u32_e32 v25, v23, v66
                                        ; implicit-def: $vgpr23
	v_cmpx_ne_u32_e64 v64, v65
	s_xor_b32 s7, exec_lo, s7
; %bb.8199:                             ;   in Loop: Header=BB6_8134 Depth=2
	s_delay_alu instid0(VALU_DEP_2) | instskip(SKIP_2) | instid1(VALU_DEP_2)
	v_cmp_lt_u32_e32 vcc_lo, 0xffffff, v25
	v_sub_nc_u32_e32 v23, v64, v65
	v_cndmask_b32_e64 v64, 0, 1, vcc_lo
	v_add_co_ci_u32_e32 v23, vcc_lo, 0, v23, vcc_lo
	s_delay_alu instid0(VALU_DEP_2)
	v_lshrrev_b32_e32 v25, v64, v25
; %bb.8200:                             ;   in Loop: Header=BB6_8134 Depth=2
	s_and_not1_saveexec_b32 s7, s7
; %bb.8201:                             ;   in Loop: Header=BB6_8134 Depth=2
	s_delay_alu instid0(VALU_DEP_1)
	v_bfe_u32 v23, v25, 23, 1
; %bb.8202:                             ;   in Loop: Header=BB6_8134 Depth=2
	s_or_b32 exec_lo, exec_lo, s7
	v_lshrrev_b32_e32 v25, 20, v25
	s_delay_alu instid0(VALU_DEP_2) | instskip(SKIP_2) | instid1(VALU_DEP_2)
	v_cmp_gt_i32_e32 vcc_lo, 16, v23
	v_lshrrev_b32_e32 v16, 24, v16
	v_min_i32_e32 v64, 15, v23
	v_dual_cndmask_b32 v25, 7, v25 :: v_dual_and_b32 v16, 0x80, v16
	s_delay_alu instid0(VALU_DEP_2) | instskip(NEXT) | instid1(VALU_DEP_2)
	v_lshlrev_b32_e32 v64, 3, v64
	v_and_b32_e32 v65, 7, v25
	v_or_b32_e32 v23, v23, v25
	s_delay_alu instid0(VALU_DEP_2) | instskip(NEXT) | instid1(VALU_DEP_2)
	v_or3_b32 v16, v64, v16, v65
	v_cmp_ne_u32_e32 vcc_lo, 0, v23
	s_delay_alu instid0(VALU_DEP_2)
	v_cndmask_b32_e32 v131, 0, v16, vcc_lo
.LBB6_8203:                             ;   in Loop: Header=BB6_8134 Depth=2
	s_or_b32 exec_lo, exec_lo, s24
.LBB6_8204:                             ;   in Loop: Header=BB6_8134 Depth=2
	s_delay_alu instid0(SALU_CYCLE_1)
	s_or_b32 exec_lo, exec_lo, s23
	flat_load_u8 v16, v[10:11] offset:160 slc dlc
	s_mov_b32 s7, 0
	s_mov_b32 s24, exec_lo
                                        ; implicit-def: $sgpr23
	s_waitcnt vmcnt(0) lgkmcnt(0)
	v_cmpx_lt_i16_e32 0x7f, v16
	s_xor_b32 s24, exec_lo, s24
	s_cbranch_execnz .LBB6_9061
; %bb.8205:                             ;   in Loop: Header=BB6_8134 Depth=2
	s_or_saveexec_b32 s24, s24
	v_mov_b32_e32 v23, s23
	s_xor_b32 exec_lo, exec_lo, s24
	s_cbranch_execnz .LBB6_9064
.LBB6_8206:                             ;   in Loop: Header=BB6_8134 Depth=2
	s_or_b32 exec_lo, exec_lo, s24
	s_and_saveexec_b32 s23, s7
	s_cbranch_execz .LBB6_8208
.LBB6_8207:                             ;   in Loop: Header=BB6_8134 Depth=2
	v_and_b32_e32 v23, 0xffff, v16
	s_delay_alu instid0(VALU_DEP_1) | instskip(NEXT) | instid1(VALU_DEP_1)
	v_and_b32_e32 v25, 7, v23
	v_clz_i32_u32_e32 v64, v25
	s_delay_alu instid0(VALU_DEP_1) | instskip(NEXT) | instid1(VALU_DEP_1)
	v_min_u32_e32 v64, 32, v64
	v_subrev_nc_u32_e32 v65, 28, v64
	v_sub_nc_u32_e32 v64, 29, v64
	s_delay_alu instid0(VALU_DEP_2) | instskip(SKIP_1) | instid1(VALU_DEP_2)
	v_lshlrev_b32_e32 v65, v65, v23
	v_bfe_u32 v23, v23, 3, 4
	v_and_b32_e32 v65, 7, v65
	s_delay_alu instid0(VALU_DEP_2) | instskip(NEXT) | instid1(VALU_DEP_2)
	v_cmp_eq_u32_e32 vcc_lo, 0, v23
	v_dual_cndmask_b32 v25, v25, v65 :: v_dual_lshlrev_b32 v16, 24, v16
	v_cndmask_b32_e32 v23, v23, v64, vcc_lo
	s_delay_alu instid0(VALU_DEP_2) | instskip(NEXT) | instid1(VALU_DEP_3)
	v_and_b32_e32 v16, 0x80000000, v16
	v_lshlrev_b32_e32 v25, 20, v25
	s_delay_alu instid0(VALU_DEP_3) | instskip(NEXT) | instid1(VALU_DEP_1)
	v_lshl_add_u32 v23, v23, 23, 0x3b800000
	v_or3_b32 v23, v16, v23, v25
.LBB6_8208:                             ;   in Loop: Header=BB6_8134 Depth=2
	s_or_b32 exec_lo, exec_lo, s23
	s_delay_alu instid0(VALU_DEP_1) | instskip(SKIP_2) | instid1(VALU_DEP_2)
	v_mul_f32_e32 v16, v17, v23
	v_mov_b32_e32 v144, 0x80
	s_mov_b32 s23, exec_lo
	v_and_b32_e32 v23, 0x7f800000, v16
	s_delay_alu instid0(VALU_DEP_1)
	v_cmpx_ne_u32_e32 0x7f800000, v23
	s_cbranch_execz .LBB6_8216
; %bb.8209:                             ;   in Loop: Header=BB6_8134 Depth=2
	v_mov_b32_e32 v144, 0
	s_mov_b32 s24, exec_lo
	v_cmpx_ne_u32_e32 0, v16
	s_cbranch_execz .LBB6_8215
; %bb.8210:                             ;   in Loop: Header=BB6_8134 Depth=2
	v_bfe_u32 v23, v16, 23, 8
	v_and_b32_e32 v25, 0x7fffff, v16
	s_delay_alu instid0(VALU_DEP_2) | instskip(SKIP_1) | instid1(VALU_DEP_3)
	v_sub_nc_u32_e32 v64, 0x78, v23
	v_cmp_gt_u32_e32 vcc_lo, 0x79, v23
	v_or_b32_e32 v65, 0x800000, v25
	s_delay_alu instid0(VALU_DEP_3) | instskip(SKIP_2) | instid1(VALU_DEP_4)
	v_cndmask_b32_e32 v64, 0, v64, vcc_lo
	v_cmp_eq_u32_e32 vcc_lo, 0, v23
	v_add_nc_u32_e32 v23, 0xffffff89, v23
	v_cndmask_b32_e32 v25, v65, v25, vcc_lo
	s_delay_alu instid0(VALU_DEP_4) | instskip(NEXT) | instid1(VALU_DEP_3)
	v_cndmask_b32_e64 v64, v64, 0x77, vcc_lo
	v_cndmask_b32_e64 v23, v23, 0xffffff8a, vcc_lo
	s_delay_alu instid0(VALU_DEP_2) | instskip(SKIP_2) | instid1(VALU_DEP_4)
	v_lshrrev_b32_e32 v66, v64, v25
	v_lshl_add_u32 v65, 0x100000, v64, -1
	v_lshlrev_b32_e64 v69, v64, 0x80000
	v_add_nc_u32_e32 v64, v64, v23
	s_delay_alu instid0(VALU_DEP_4) | instskip(NEXT) | instid1(VALU_DEP_4)
	v_bfe_u32 v68, v66, 20, 1
	v_and_b32_e32 v25, v65, v25
	s_delay_alu instid0(VALU_DEP_2) | instskip(NEXT) | instid1(VALU_DEP_2)
	v_add_nc_u32_e32 v65, -1, v68
	v_cmp_eq_u32_e64 s7, v25, v69
	s_delay_alu instid0(VALU_DEP_1) | instskip(SKIP_2) | instid1(VALU_DEP_2)
	v_cndmask_b32_e64 v25, 0, v65, s7
	v_lshrrev_b32_e32 v65, 23, v66
	s_mov_b32 s7, exec_lo
	v_add_nc_u32_e32 v25, v25, v66
	s_delay_alu instid0(VALU_DEP_2) | instskip(NEXT) | instid1(VALU_DEP_2)
	v_xor_b32_e32 v65, 1, v65
	v_and_b32_e32 v23, 0xfffff, v25
	s_delay_alu instid0(VALU_DEP_1) | instskip(NEXT) | instid1(VALU_DEP_3)
	v_add_nc_u32_e32 v25, v23, v66
                                        ; implicit-def: $vgpr23
	v_cmpx_ne_u32_e64 v64, v65
	s_xor_b32 s7, exec_lo, s7
; %bb.8211:                             ;   in Loop: Header=BB6_8134 Depth=2
	s_delay_alu instid0(VALU_DEP_2) | instskip(SKIP_2) | instid1(VALU_DEP_2)
	v_cmp_lt_u32_e32 vcc_lo, 0xffffff, v25
	v_sub_nc_u32_e32 v23, v64, v65
	v_cndmask_b32_e64 v64, 0, 1, vcc_lo
	v_add_co_ci_u32_e32 v23, vcc_lo, 0, v23, vcc_lo
	s_delay_alu instid0(VALU_DEP_2)
	v_lshrrev_b32_e32 v25, v64, v25
; %bb.8212:                             ;   in Loop: Header=BB6_8134 Depth=2
	s_and_not1_saveexec_b32 s7, s7
; %bb.8213:                             ;   in Loop: Header=BB6_8134 Depth=2
	s_delay_alu instid0(VALU_DEP_1)
	v_bfe_u32 v23, v25, 23, 1
; %bb.8214:                             ;   in Loop: Header=BB6_8134 Depth=2
	s_or_b32 exec_lo, exec_lo, s7
	v_lshrrev_b32_e32 v25, 20, v25
	s_delay_alu instid0(VALU_DEP_2) | instskip(SKIP_2) | instid1(VALU_DEP_2)
	v_cmp_gt_i32_e32 vcc_lo, 16, v23
	v_lshrrev_b32_e32 v16, 24, v16
	v_min_i32_e32 v64, 15, v23
	v_dual_cndmask_b32 v25, 7, v25 :: v_dual_and_b32 v16, 0x80, v16
	s_delay_alu instid0(VALU_DEP_2) | instskip(NEXT) | instid1(VALU_DEP_2)
	v_lshlrev_b32_e32 v64, 3, v64
	v_or_b32_e32 v23, v23, v25
	s_delay_alu instid0(VALU_DEP_1) | instskip(SKIP_1) | instid1(VALU_DEP_1)
	v_cmp_ne_u32_e32 vcc_lo, 0, v23
	v_and_b32_e32 v65, 7, v25
	v_or3_b32 v16, v64, v16, v65
	s_delay_alu instid0(VALU_DEP_1)
	v_cndmask_b32_e32 v144, 0, v16, vcc_lo
.LBB6_8215:                             ;   in Loop: Header=BB6_8134 Depth=2
	s_or_b32 exec_lo, exec_lo, s24
.LBB6_8216:                             ;   in Loop: Header=BB6_8134 Depth=2
	s_delay_alu instid0(SALU_CYCLE_1)
	s_or_b32 exec_lo, exec_lo, s23
	flat_load_u8 v16, v[10:11] offset:192 slc dlc
	s_mov_b32 s7, 0
	s_mov_b32 s24, exec_lo
                                        ; implicit-def: $sgpr23
	s_waitcnt vmcnt(0) lgkmcnt(0)
	v_cmpx_lt_i16_e32 0x7f, v16
	s_xor_b32 s24, exec_lo, s24
	s_cbranch_execnz .LBB6_9065
; %bb.8217:                             ;   in Loop: Header=BB6_8134 Depth=2
	s_or_saveexec_b32 s24, s24
	v_mov_b32_e32 v23, s23
	s_xor_b32 exec_lo, exec_lo, s24
	s_cbranch_execnz .LBB6_9068
.LBB6_8218:                             ;   in Loop: Header=BB6_8134 Depth=2
	s_or_b32 exec_lo, exec_lo, s24
	s_and_saveexec_b32 s23, s7
	s_cbranch_execz .LBB6_8220
.LBB6_8219:                             ;   in Loop: Header=BB6_8134 Depth=2
	v_and_b32_e32 v23, 0xffff, v16
	s_delay_alu instid0(VALU_DEP_1) | instskip(NEXT) | instid1(VALU_DEP_1)
	v_and_b32_e32 v25, 7, v23
	v_clz_i32_u32_e32 v64, v25
	s_delay_alu instid0(VALU_DEP_1) | instskip(NEXT) | instid1(VALU_DEP_1)
	v_min_u32_e32 v64, 32, v64
	v_subrev_nc_u32_e32 v65, 28, v64
	v_sub_nc_u32_e32 v64, 29, v64
	s_delay_alu instid0(VALU_DEP_2) | instskip(SKIP_1) | instid1(VALU_DEP_2)
	v_lshlrev_b32_e32 v65, v65, v23
	v_bfe_u32 v23, v23, 3, 4
	v_and_b32_e32 v65, 7, v65
	s_delay_alu instid0(VALU_DEP_2) | instskip(NEXT) | instid1(VALU_DEP_2)
	v_cmp_eq_u32_e32 vcc_lo, 0, v23
	v_dual_cndmask_b32 v25, v25, v65 :: v_dual_lshlrev_b32 v16, 24, v16
	v_cndmask_b32_e32 v23, v23, v64, vcc_lo
	s_delay_alu instid0(VALU_DEP_2) | instskip(NEXT) | instid1(VALU_DEP_3)
	v_and_b32_e32 v16, 0x80000000, v16
	v_lshlrev_b32_e32 v25, 20, v25
	s_delay_alu instid0(VALU_DEP_3) | instskip(NEXT) | instid1(VALU_DEP_1)
	v_lshl_add_u32 v23, v23, 23, 0x3b800000
	v_or3_b32 v23, v16, v23, v25
.LBB6_8220:                             ;   in Loop: Header=BB6_8134 Depth=2
	s_or_b32 exec_lo, exec_lo, s23
	s_delay_alu instid0(VALU_DEP_1) | instskip(SKIP_1) | instid1(VALU_DEP_1)
	v_dual_mul_f32 v16, v17, v23 :: v_dual_mov_b32 v149, 0x80
	s_mov_b32 s23, exec_lo
	v_and_b32_e32 v23, 0x7f800000, v16
	s_delay_alu instid0(VALU_DEP_1)
	v_cmpx_ne_u32_e32 0x7f800000, v23
	s_cbranch_execz .LBB6_8228
; %bb.8221:                             ;   in Loop: Header=BB6_8134 Depth=2
	v_mov_b32_e32 v149, 0
	s_mov_b32 s24, exec_lo
	v_cmpx_ne_u32_e32 0, v16
	s_cbranch_execz .LBB6_8227
; %bb.8222:                             ;   in Loop: Header=BB6_8134 Depth=2
	v_bfe_u32 v23, v16, 23, 8
	v_and_b32_e32 v25, 0x7fffff, v16
	s_delay_alu instid0(VALU_DEP_2) | instskip(SKIP_1) | instid1(VALU_DEP_3)
	v_sub_nc_u32_e32 v64, 0x78, v23
	v_cmp_gt_u32_e32 vcc_lo, 0x79, v23
	v_or_b32_e32 v65, 0x800000, v25
	s_delay_alu instid0(VALU_DEP_3) | instskip(SKIP_2) | instid1(VALU_DEP_4)
	v_cndmask_b32_e32 v64, 0, v64, vcc_lo
	v_cmp_eq_u32_e32 vcc_lo, 0, v23
	v_add_nc_u32_e32 v23, 0xffffff89, v23
	v_cndmask_b32_e32 v25, v65, v25, vcc_lo
	s_delay_alu instid0(VALU_DEP_4) | instskip(NEXT) | instid1(VALU_DEP_3)
	v_cndmask_b32_e64 v64, v64, 0x77, vcc_lo
	v_cndmask_b32_e64 v23, v23, 0xffffff8a, vcc_lo
	s_delay_alu instid0(VALU_DEP_2) | instskip(SKIP_2) | instid1(VALU_DEP_4)
	v_lshrrev_b32_e32 v66, v64, v25
	v_lshl_add_u32 v65, 0x100000, v64, -1
	v_lshlrev_b32_e64 v69, v64, 0x80000
	v_add_nc_u32_e32 v64, v64, v23
	s_delay_alu instid0(VALU_DEP_4) | instskip(NEXT) | instid1(VALU_DEP_4)
	v_bfe_u32 v68, v66, 20, 1
	v_and_b32_e32 v25, v65, v25
	s_delay_alu instid0(VALU_DEP_2) | instskip(NEXT) | instid1(VALU_DEP_2)
	v_add_nc_u32_e32 v65, -1, v68
	v_cmp_eq_u32_e64 s7, v25, v69
	s_delay_alu instid0(VALU_DEP_1) | instskip(SKIP_2) | instid1(VALU_DEP_2)
	v_cndmask_b32_e64 v25, 0, v65, s7
	v_lshrrev_b32_e32 v65, 23, v66
	s_mov_b32 s7, exec_lo
	v_add_nc_u32_e32 v25, v25, v66
	s_delay_alu instid0(VALU_DEP_2) | instskip(NEXT) | instid1(VALU_DEP_2)
	v_xor_b32_e32 v65, 1, v65
	v_and_b32_e32 v23, 0xfffff, v25
	s_delay_alu instid0(VALU_DEP_1) | instskip(NEXT) | instid1(VALU_DEP_3)
	v_add_nc_u32_e32 v25, v23, v66
                                        ; implicit-def: $vgpr23
	v_cmpx_ne_u32_e64 v64, v65
	s_xor_b32 s7, exec_lo, s7
; %bb.8223:                             ;   in Loop: Header=BB6_8134 Depth=2
	s_delay_alu instid0(VALU_DEP_2) | instskip(SKIP_2) | instid1(VALU_DEP_2)
	v_cmp_lt_u32_e32 vcc_lo, 0xffffff, v25
	v_sub_nc_u32_e32 v23, v64, v65
	v_cndmask_b32_e64 v64, 0, 1, vcc_lo
	v_add_co_ci_u32_e32 v23, vcc_lo, 0, v23, vcc_lo
	s_delay_alu instid0(VALU_DEP_2)
	v_lshrrev_b32_e32 v25, v64, v25
; %bb.8224:                             ;   in Loop: Header=BB6_8134 Depth=2
	s_and_not1_saveexec_b32 s7, s7
; %bb.8225:                             ;   in Loop: Header=BB6_8134 Depth=2
	s_delay_alu instid0(VALU_DEP_1)
	v_bfe_u32 v23, v25, 23, 1
; %bb.8226:                             ;   in Loop: Header=BB6_8134 Depth=2
	s_or_b32 exec_lo, exec_lo, s7
	v_lshrrev_b32_e32 v25, 20, v25
	s_delay_alu instid0(VALU_DEP_2) | instskip(SKIP_2) | instid1(VALU_DEP_2)
	v_cmp_gt_i32_e32 vcc_lo, 16, v23
	v_lshrrev_b32_e32 v16, 24, v16
	v_min_i32_e32 v64, 15, v23
	v_dual_cndmask_b32 v25, 7, v25 :: v_dual_and_b32 v16, 0x80, v16
	s_delay_alu instid0(VALU_DEP_2) | instskip(NEXT) | instid1(VALU_DEP_2)
	v_lshlrev_b32_e32 v64, 3, v64
	v_and_b32_e32 v65, 7, v25
	v_or_b32_e32 v23, v23, v25
	s_delay_alu instid0(VALU_DEP_2) | instskip(NEXT) | instid1(VALU_DEP_2)
	v_or3_b32 v16, v64, v16, v65
	v_cmp_ne_u32_e32 vcc_lo, 0, v23
	s_delay_alu instid0(VALU_DEP_2)
	v_cndmask_b32_e32 v149, 0, v16, vcc_lo
.LBB6_8227:                             ;   in Loop: Header=BB6_8134 Depth=2
	s_or_b32 exec_lo, exec_lo, s24
.LBB6_8228:                             ;   in Loop: Header=BB6_8134 Depth=2
	s_delay_alu instid0(SALU_CYCLE_1)
	s_or_b32 exec_lo, exec_lo, s23
	flat_load_u8 v16, v[10:11] offset:224 slc dlc
	s_mov_b32 s7, 0
	s_mov_b32 s24, exec_lo
                                        ; implicit-def: $sgpr23
	s_waitcnt vmcnt(0) lgkmcnt(0)
	v_cmpx_lt_i16_e32 0x7f, v16
	s_xor_b32 s24, exec_lo, s24
	s_cbranch_execnz .LBB6_9069
; %bb.8229:                             ;   in Loop: Header=BB6_8134 Depth=2
	s_or_saveexec_b32 s24, s24
	v_mov_b32_e32 v23, s23
	s_xor_b32 exec_lo, exec_lo, s24
	s_cbranch_execnz .LBB6_9072
.LBB6_8230:                             ;   in Loop: Header=BB6_8134 Depth=2
	s_or_b32 exec_lo, exec_lo, s24
	s_and_saveexec_b32 s23, s7
	s_cbranch_execz .LBB6_8232
.LBB6_8231:                             ;   in Loop: Header=BB6_8134 Depth=2
	v_and_b32_e32 v23, 0xffff, v16
	s_delay_alu instid0(VALU_DEP_1) | instskip(NEXT) | instid1(VALU_DEP_1)
	v_and_b32_e32 v25, 7, v23
	v_clz_i32_u32_e32 v64, v25
	s_delay_alu instid0(VALU_DEP_1) | instskip(NEXT) | instid1(VALU_DEP_1)
	v_min_u32_e32 v64, 32, v64
	v_subrev_nc_u32_e32 v65, 28, v64
	v_sub_nc_u32_e32 v64, 29, v64
	s_delay_alu instid0(VALU_DEP_2) | instskip(SKIP_1) | instid1(VALU_DEP_2)
	v_lshlrev_b32_e32 v65, v65, v23
	v_bfe_u32 v23, v23, 3, 4
	v_and_b32_e32 v65, 7, v65
	s_delay_alu instid0(VALU_DEP_2) | instskip(NEXT) | instid1(VALU_DEP_2)
	v_cmp_eq_u32_e32 vcc_lo, 0, v23
	v_dual_cndmask_b32 v25, v25, v65 :: v_dual_lshlrev_b32 v16, 24, v16
	v_cndmask_b32_e32 v23, v23, v64, vcc_lo
	s_delay_alu instid0(VALU_DEP_2) | instskip(NEXT) | instid1(VALU_DEP_3)
	v_and_b32_e32 v16, 0x80000000, v16
	v_lshlrev_b32_e32 v25, 20, v25
	s_delay_alu instid0(VALU_DEP_3) | instskip(NEXT) | instid1(VALU_DEP_1)
	v_lshl_add_u32 v23, v23, 23, 0x3b800000
	v_or3_b32 v23, v16, v23, v25
.LBB6_8232:                             ;   in Loop: Header=BB6_8134 Depth=2
	s_or_b32 exec_lo, exec_lo, s23
	s_delay_alu instid0(VALU_DEP_1) | instskip(SKIP_2) | instid1(VALU_DEP_2)
	v_mul_f32_e32 v16, v17, v23
	v_mov_b32_e32 v162, 0x80
	s_mov_b32 s23, exec_lo
	v_and_b32_e32 v23, 0x7f800000, v16
	s_delay_alu instid0(VALU_DEP_1)
	v_cmpx_ne_u32_e32 0x7f800000, v23
	s_cbranch_execz .LBB6_8240
; %bb.8233:                             ;   in Loop: Header=BB6_8134 Depth=2
	v_mov_b32_e32 v162, 0
	s_mov_b32 s24, exec_lo
	v_cmpx_ne_u32_e32 0, v16
	s_cbranch_execz .LBB6_8239
; %bb.8234:                             ;   in Loop: Header=BB6_8134 Depth=2
	v_bfe_u32 v23, v16, 23, 8
	v_and_b32_e32 v25, 0x7fffff, v16
	s_delay_alu instid0(VALU_DEP_2) | instskip(SKIP_1) | instid1(VALU_DEP_3)
	v_sub_nc_u32_e32 v64, 0x78, v23
	v_cmp_gt_u32_e32 vcc_lo, 0x79, v23
	v_or_b32_e32 v65, 0x800000, v25
	s_delay_alu instid0(VALU_DEP_3) | instskip(SKIP_2) | instid1(VALU_DEP_4)
	v_cndmask_b32_e32 v64, 0, v64, vcc_lo
	v_cmp_eq_u32_e32 vcc_lo, 0, v23
	v_add_nc_u32_e32 v23, 0xffffff89, v23
	v_cndmask_b32_e32 v25, v65, v25, vcc_lo
	s_delay_alu instid0(VALU_DEP_4) | instskip(NEXT) | instid1(VALU_DEP_3)
	v_cndmask_b32_e64 v64, v64, 0x77, vcc_lo
	v_cndmask_b32_e64 v23, v23, 0xffffff8a, vcc_lo
	s_delay_alu instid0(VALU_DEP_2) | instskip(SKIP_2) | instid1(VALU_DEP_4)
	v_lshrrev_b32_e32 v66, v64, v25
	v_lshl_add_u32 v65, 0x100000, v64, -1
	v_lshlrev_b32_e64 v69, v64, 0x80000
	v_add_nc_u32_e32 v64, v64, v23
	s_delay_alu instid0(VALU_DEP_4) | instskip(NEXT) | instid1(VALU_DEP_4)
	v_bfe_u32 v68, v66, 20, 1
	v_and_b32_e32 v25, v65, v25
	s_delay_alu instid0(VALU_DEP_2) | instskip(NEXT) | instid1(VALU_DEP_2)
	v_add_nc_u32_e32 v65, -1, v68
	v_cmp_eq_u32_e64 s7, v25, v69
	s_delay_alu instid0(VALU_DEP_1) | instskip(SKIP_2) | instid1(VALU_DEP_2)
	v_cndmask_b32_e64 v25, 0, v65, s7
	v_lshrrev_b32_e32 v65, 23, v66
	s_mov_b32 s7, exec_lo
	v_add_nc_u32_e32 v25, v25, v66
	s_delay_alu instid0(VALU_DEP_2) | instskip(NEXT) | instid1(VALU_DEP_2)
	v_xor_b32_e32 v65, 1, v65
	v_and_b32_e32 v23, 0xfffff, v25
	s_delay_alu instid0(VALU_DEP_1) | instskip(NEXT) | instid1(VALU_DEP_3)
	v_add_nc_u32_e32 v25, v23, v66
                                        ; implicit-def: $vgpr23
	v_cmpx_ne_u32_e64 v64, v65
	s_xor_b32 s7, exec_lo, s7
; %bb.8235:                             ;   in Loop: Header=BB6_8134 Depth=2
	s_delay_alu instid0(VALU_DEP_2) | instskip(SKIP_2) | instid1(VALU_DEP_2)
	v_cmp_lt_u32_e32 vcc_lo, 0xffffff, v25
	v_sub_nc_u32_e32 v23, v64, v65
	v_cndmask_b32_e64 v64, 0, 1, vcc_lo
	v_add_co_ci_u32_e32 v23, vcc_lo, 0, v23, vcc_lo
	s_delay_alu instid0(VALU_DEP_2)
	v_lshrrev_b32_e32 v25, v64, v25
; %bb.8236:                             ;   in Loop: Header=BB6_8134 Depth=2
	s_and_not1_saveexec_b32 s7, s7
; %bb.8237:                             ;   in Loop: Header=BB6_8134 Depth=2
	s_delay_alu instid0(VALU_DEP_1)
	v_bfe_u32 v23, v25, 23, 1
; %bb.8238:                             ;   in Loop: Header=BB6_8134 Depth=2
	s_or_b32 exec_lo, exec_lo, s7
	v_lshrrev_b32_e32 v25, 20, v25
	s_delay_alu instid0(VALU_DEP_2) | instskip(SKIP_2) | instid1(VALU_DEP_2)
	v_cmp_gt_i32_e32 vcc_lo, 16, v23
	v_lshrrev_b32_e32 v16, 24, v16
	v_min_i32_e32 v64, 15, v23
	v_dual_cndmask_b32 v25, 7, v25 :: v_dual_and_b32 v16, 0x80, v16
	s_delay_alu instid0(VALU_DEP_2) | instskip(NEXT) | instid1(VALU_DEP_2)
	v_lshlrev_b32_e32 v64, 3, v64
	v_or_b32_e32 v23, v23, v25
	s_delay_alu instid0(VALU_DEP_1) | instskip(SKIP_1) | instid1(VALU_DEP_1)
	v_cmp_ne_u32_e32 vcc_lo, 0, v23
	v_and_b32_e32 v65, 7, v25
	v_or3_b32 v16, v64, v16, v65
	s_delay_alu instid0(VALU_DEP_1)
	v_cndmask_b32_e32 v162, 0, v16, vcc_lo
.LBB6_8239:                             ;   in Loop: Header=BB6_8134 Depth=2
	s_or_b32 exec_lo, exec_lo, s24
.LBB6_8240:                             ;   in Loop: Header=BB6_8134 Depth=2
	s_delay_alu instid0(SALU_CYCLE_1)
	s_or_b32 exec_lo, exec_lo, s23
	flat_load_u8 v16, v[10:11] offset:256 slc dlc
	s_mov_b32 s7, 0
	s_mov_b32 s24, exec_lo
                                        ; implicit-def: $sgpr23
	s_waitcnt vmcnt(0) lgkmcnt(0)
	v_cmpx_lt_i16_e32 0x7f, v16
	s_xor_b32 s24, exec_lo, s24
	s_cbranch_execnz .LBB6_9073
; %bb.8241:                             ;   in Loop: Header=BB6_8134 Depth=2
	s_or_saveexec_b32 s24, s24
	v_mov_b32_e32 v23, s23
	s_xor_b32 exec_lo, exec_lo, s24
	s_cbranch_execnz .LBB6_9076
.LBB6_8242:                             ;   in Loop: Header=BB6_8134 Depth=2
	s_or_b32 exec_lo, exec_lo, s24
	s_and_saveexec_b32 s23, s7
	s_cbranch_execz .LBB6_8244
.LBB6_8243:                             ;   in Loop: Header=BB6_8134 Depth=2
	v_and_b32_e32 v23, 0xffff, v16
	s_delay_alu instid0(VALU_DEP_1) | instskip(NEXT) | instid1(VALU_DEP_1)
	v_and_b32_e32 v25, 7, v23
	v_clz_i32_u32_e32 v64, v25
	s_delay_alu instid0(VALU_DEP_1) | instskip(NEXT) | instid1(VALU_DEP_1)
	v_min_u32_e32 v64, 32, v64
	v_subrev_nc_u32_e32 v65, 28, v64
	v_sub_nc_u32_e32 v64, 29, v64
	s_delay_alu instid0(VALU_DEP_2) | instskip(SKIP_1) | instid1(VALU_DEP_2)
	v_lshlrev_b32_e32 v65, v65, v23
	v_bfe_u32 v23, v23, 3, 4
	v_and_b32_e32 v65, 7, v65
	s_delay_alu instid0(VALU_DEP_2) | instskip(NEXT) | instid1(VALU_DEP_2)
	v_cmp_eq_u32_e32 vcc_lo, 0, v23
	v_dual_cndmask_b32 v25, v25, v65 :: v_dual_lshlrev_b32 v16, 24, v16
	v_cndmask_b32_e32 v23, v23, v64, vcc_lo
	s_delay_alu instid0(VALU_DEP_2) | instskip(NEXT) | instid1(VALU_DEP_3)
	v_and_b32_e32 v16, 0x80000000, v16
	v_lshlrev_b32_e32 v25, 20, v25
	s_delay_alu instid0(VALU_DEP_3) | instskip(NEXT) | instid1(VALU_DEP_1)
	v_lshl_add_u32 v23, v23, 23, 0x3b800000
	v_or3_b32 v23, v16, v23, v25
.LBB6_8244:                             ;   in Loop: Header=BB6_8134 Depth=2
	s_or_b32 exec_lo, exec_lo, s23
	s_delay_alu instid0(VALU_DEP_1) | instskip(SKIP_1) | instid1(VALU_DEP_1)
	v_dual_mul_f32 v16, v17, v23 :: v_dual_mov_b32 v163, 0x80
	s_mov_b32 s23, exec_lo
	v_and_b32_e32 v23, 0x7f800000, v16
	s_delay_alu instid0(VALU_DEP_1)
	v_cmpx_ne_u32_e32 0x7f800000, v23
	s_cbranch_execz .LBB6_8252
; %bb.8245:                             ;   in Loop: Header=BB6_8134 Depth=2
	v_mov_b32_e32 v163, 0
	s_mov_b32 s24, exec_lo
	v_cmpx_ne_u32_e32 0, v16
	s_cbranch_execz .LBB6_8251
; %bb.8246:                             ;   in Loop: Header=BB6_8134 Depth=2
	v_bfe_u32 v23, v16, 23, 8
	v_and_b32_e32 v25, 0x7fffff, v16
	s_delay_alu instid0(VALU_DEP_2) | instskip(SKIP_1) | instid1(VALU_DEP_3)
	v_sub_nc_u32_e32 v64, 0x78, v23
	v_cmp_gt_u32_e32 vcc_lo, 0x79, v23
	v_or_b32_e32 v65, 0x800000, v25
	s_delay_alu instid0(VALU_DEP_3) | instskip(SKIP_2) | instid1(VALU_DEP_4)
	v_cndmask_b32_e32 v64, 0, v64, vcc_lo
	v_cmp_eq_u32_e32 vcc_lo, 0, v23
	v_add_nc_u32_e32 v23, 0xffffff89, v23
	v_cndmask_b32_e32 v25, v65, v25, vcc_lo
	s_delay_alu instid0(VALU_DEP_4) | instskip(NEXT) | instid1(VALU_DEP_3)
	v_cndmask_b32_e64 v64, v64, 0x77, vcc_lo
	v_cndmask_b32_e64 v23, v23, 0xffffff8a, vcc_lo
	s_delay_alu instid0(VALU_DEP_2) | instskip(SKIP_2) | instid1(VALU_DEP_4)
	v_lshrrev_b32_e32 v66, v64, v25
	v_lshl_add_u32 v65, 0x100000, v64, -1
	v_lshlrev_b32_e64 v69, v64, 0x80000
	v_add_nc_u32_e32 v64, v64, v23
	s_delay_alu instid0(VALU_DEP_4) | instskip(NEXT) | instid1(VALU_DEP_4)
	v_bfe_u32 v68, v66, 20, 1
	v_and_b32_e32 v25, v65, v25
	s_delay_alu instid0(VALU_DEP_2) | instskip(NEXT) | instid1(VALU_DEP_2)
	v_add_nc_u32_e32 v65, -1, v68
	v_cmp_eq_u32_e64 s7, v25, v69
	s_delay_alu instid0(VALU_DEP_1) | instskip(SKIP_2) | instid1(VALU_DEP_2)
	v_cndmask_b32_e64 v25, 0, v65, s7
	v_lshrrev_b32_e32 v65, 23, v66
	s_mov_b32 s7, exec_lo
	v_add_nc_u32_e32 v25, v25, v66
	s_delay_alu instid0(VALU_DEP_2) | instskip(NEXT) | instid1(VALU_DEP_2)
	v_xor_b32_e32 v65, 1, v65
	v_and_b32_e32 v23, 0xfffff, v25
	s_delay_alu instid0(VALU_DEP_1) | instskip(NEXT) | instid1(VALU_DEP_3)
	v_add_nc_u32_e32 v25, v23, v66
                                        ; implicit-def: $vgpr23
	v_cmpx_ne_u32_e64 v64, v65
	s_xor_b32 s7, exec_lo, s7
; %bb.8247:                             ;   in Loop: Header=BB6_8134 Depth=2
	s_delay_alu instid0(VALU_DEP_2) | instskip(SKIP_2) | instid1(VALU_DEP_2)
	v_cmp_lt_u32_e32 vcc_lo, 0xffffff, v25
	v_sub_nc_u32_e32 v23, v64, v65
	v_cndmask_b32_e64 v64, 0, 1, vcc_lo
	v_add_co_ci_u32_e32 v23, vcc_lo, 0, v23, vcc_lo
	s_delay_alu instid0(VALU_DEP_2)
	v_lshrrev_b32_e32 v25, v64, v25
; %bb.8248:                             ;   in Loop: Header=BB6_8134 Depth=2
	s_and_not1_saveexec_b32 s7, s7
; %bb.8249:                             ;   in Loop: Header=BB6_8134 Depth=2
	s_delay_alu instid0(VALU_DEP_1)
	v_bfe_u32 v23, v25, 23, 1
; %bb.8250:                             ;   in Loop: Header=BB6_8134 Depth=2
	s_or_b32 exec_lo, exec_lo, s7
	v_lshrrev_b32_e32 v25, 20, v25
	s_delay_alu instid0(VALU_DEP_2) | instskip(SKIP_2) | instid1(VALU_DEP_2)
	v_cmp_gt_i32_e32 vcc_lo, 16, v23
	v_lshrrev_b32_e32 v16, 24, v16
	v_min_i32_e32 v64, 15, v23
	v_dual_cndmask_b32 v25, 7, v25 :: v_dual_and_b32 v16, 0x80, v16
	s_delay_alu instid0(VALU_DEP_2) | instskip(NEXT) | instid1(VALU_DEP_2)
	v_lshlrev_b32_e32 v64, 3, v64
	v_and_b32_e32 v65, 7, v25
	v_or_b32_e32 v23, v23, v25
	s_delay_alu instid0(VALU_DEP_2) | instskip(NEXT) | instid1(VALU_DEP_2)
	v_or3_b32 v16, v64, v16, v65
	v_cmp_ne_u32_e32 vcc_lo, 0, v23
	s_delay_alu instid0(VALU_DEP_2)
	v_cndmask_b32_e32 v163, 0, v16, vcc_lo
.LBB6_8251:                             ;   in Loop: Header=BB6_8134 Depth=2
	s_or_b32 exec_lo, exec_lo, s24
.LBB6_8252:                             ;   in Loop: Header=BB6_8134 Depth=2
	s_delay_alu instid0(SALU_CYCLE_1)
	s_or_b32 exec_lo, exec_lo, s23
	flat_load_u8 v16, v[10:11] offset:288 slc dlc
	s_mov_b32 s7, 0
	s_mov_b32 s24, exec_lo
                                        ; implicit-def: $sgpr23
	s_waitcnt vmcnt(0) lgkmcnt(0)
	v_cmpx_lt_i16_e32 0x7f, v16
	s_xor_b32 s24, exec_lo, s24
	s_cbranch_execnz .LBB6_9077
; %bb.8253:                             ;   in Loop: Header=BB6_8134 Depth=2
	s_or_saveexec_b32 s24, s24
	v_mov_b32_e32 v23, s23
	s_xor_b32 exec_lo, exec_lo, s24
	s_cbranch_execnz .LBB6_9080
.LBB6_8254:                             ;   in Loop: Header=BB6_8134 Depth=2
	s_or_b32 exec_lo, exec_lo, s24
	s_and_saveexec_b32 s23, s7
	s_cbranch_execz .LBB6_8256
.LBB6_8255:                             ;   in Loop: Header=BB6_8134 Depth=2
	v_and_b32_e32 v23, 0xffff, v16
	s_delay_alu instid0(VALU_DEP_1) | instskip(NEXT) | instid1(VALU_DEP_1)
	v_and_b32_e32 v25, 7, v23
	v_clz_i32_u32_e32 v64, v25
	s_delay_alu instid0(VALU_DEP_1) | instskip(NEXT) | instid1(VALU_DEP_1)
	v_min_u32_e32 v64, 32, v64
	v_subrev_nc_u32_e32 v65, 28, v64
	v_sub_nc_u32_e32 v64, 29, v64
	s_delay_alu instid0(VALU_DEP_2) | instskip(SKIP_1) | instid1(VALU_DEP_2)
	v_lshlrev_b32_e32 v65, v65, v23
	v_bfe_u32 v23, v23, 3, 4
	v_and_b32_e32 v65, 7, v65
	s_delay_alu instid0(VALU_DEP_2) | instskip(NEXT) | instid1(VALU_DEP_2)
	v_cmp_eq_u32_e32 vcc_lo, 0, v23
	v_dual_cndmask_b32 v25, v25, v65 :: v_dual_lshlrev_b32 v16, 24, v16
	v_cndmask_b32_e32 v23, v23, v64, vcc_lo
	s_delay_alu instid0(VALU_DEP_2) | instskip(NEXT) | instid1(VALU_DEP_3)
	v_and_b32_e32 v16, 0x80000000, v16
	v_lshlrev_b32_e32 v25, 20, v25
	s_delay_alu instid0(VALU_DEP_3) | instskip(NEXT) | instid1(VALU_DEP_1)
	v_lshl_add_u32 v23, v23, 23, 0x3b800000
	v_or3_b32 v23, v16, v23, v25
.LBB6_8256:                             ;   in Loop: Header=BB6_8134 Depth=2
	s_or_b32 exec_lo, exec_lo, s23
	s_delay_alu instid0(VALU_DEP_1) | instskip(SKIP_1) | instid1(VALU_DEP_1)
	v_dual_mul_f32 v16, v17, v23 :: v_dual_mov_b32 v161, 0x80
	s_mov_b32 s23, exec_lo
	v_and_b32_e32 v23, 0x7f800000, v16
	s_delay_alu instid0(VALU_DEP_1)
	v_cmpx_ne_u32_e32 0x7f800000, v23
	s_cbranch_execz .LBB6_8264
; %bb.8257:                             ;   in Loop: Header=BB6_8134 Depth=2
	v_mov_b32_e32 v161, 0
	s_mov_b32 s24, exec_lo
	v_cmpx_ne_u32_e32 0, v16
	s_cbranch_execz .LBB6_8263
; %bb.8258:                             ;   in Loop: Header=BB6_8134 Depth=2
	v_bfe_u32 v23, v16, 23, 8
	v_and_b32_e32 v25, 0x7fffff, v16
	s_delay_alu instid0(VALU_DEP_2) | instskip(SKIP_1) | instid1(VALU_DEP_3)
	v_sub_nc_u32_e32 v64, 0x78, v23
	v_cmp_gt_u32_e32 vcc_lo, 0x79, v23
	v_or_b32_e32 v65, 0x800000, v25
	s_delay_alu instid0(VALU_DEP_3) | instskip(SKIP_2) | instid1(VALU_DEP_4)
	v_cndmask_b32_e32 v64, 0, v64, vcc_lo
	v_cmp_eq_u32_e32 vcc_lo, 0, v23
	v_add_nc_u32_e32 v23, 0xffffff89, v23
	v_cndmask_b32_e32 v25, v65, v25, vcc_lo
	s_delay_alu instid0(VALU_DEP_4) | instskip(NEXT) | instid1(VALU_DEP_3)
	v_cndmask_b32_e64 v64, v64, 0x77, vcc_lo
	v_cndmask_b32_e64 v23, v23, 0xffffff8a, vcc_lo
	s_delay_alu instid0(VALU_DEP_2) | instskip(SKIP_2) | instid1(VALU_DEP_4)
	v_lshrrev_b32_e32 v66, v64, v25
	v_lshl_add_u32 v65, 0x100000, v64, -1
	v_lshlrev_b32_e64 v69, v64, 0x80000
	v_add_nc_u32_e32 v64, v64, v23
	s_delay_alu instid0(VALU_DEP_4) | instskip(NEXT) | instid1(VALU_DEP_4)
	v_bfe_u32 v68, v66, 20, 1
	v_and_b32_e32 v25, v65, v25
	s_delay_alu instid0(VALU_DEP_2) | instskip(NEXT) | instid1(VALU_DEP_2)
	v_add_nc_u32_e32 v65, -1, v68
	v_cmp_eq_u32_e64 s7, v25, v69
	s_delay_alu instid0(VALU_DEP_1) | instskip(SKIP_2) | instid1(VALU_DEP_2)
	v_cndmask_b32_e64 v25, 0, v65, s7
	v_lshrrev_b32_e32 v65, 23, v66
	s_mov_b32 s7, exec_lo
	v_add_nc_u32_e32 v25, v25, v66
	s_delay_alu instid0(VALU_DEP_2) | instskip(NEXT) | instid1(VALU_DEP_2)
	v_xor_b32_e32 v65, 1, v65
	v_and_b32_e32 v23, 0xfffff, v25
	s_delay_alu instid0(VALU_DEP_1) | instskip(NEXT) | instid1(VALU_DEP_3)
	v_add_nc_u32_e32 v25, v23, v66
                                        ; implicit-def: $vgpr23
	v_cmpx_ne_u32_e64 v64, v65
	s_xor_b32 s7, exec_lo, s7
; %bb.8259:                             ;   in Loop: Header=BB6_8134 Depth=2
	s_delay_alu instid0(VALU_DEP_2) | instskip(SKIP_2) | instid1(VALU_DEP_2)
	v_cmp_lt_u32_e32 vcc_lo, 0xffffff, v25
	v_sub_nc_u32_e32 v23, v64, v65
	v_cndmask_b32_e64 v64, 0, 1, vcc_lo
	v_add_co_ci_u32_e32 v23, vcc_lo, 0, v23, vcc_lo
	s_delay_alu instid0(VALU_DEP_2)
	v_lshrrev_b32_e32 v25, v64, v25
; %bb.8260:                             ;   in Loop: Header=BB6_8134 Depth=2
	s_and_not1_saveexec_b32 s7, s7
; %bb.8261:                             ;   in Loop: Header=BB6_8134 Depth=2
	s_delay_alu instid0(VALU_DEP_1)
	v_bfe_u32 v23, v25, 23, 1
; %bb.8262:                             ;   in Loop: Header=BB6_8134 Depth=2
	s_or_b32 exec_lo, exec_lo, s7
	v_lshrrev_b32_e32 v25, 20, v25
	s_delay_alu instid0(VALU_DEP_2) | instskip(SKIP_2) | instid1(VALU_DEP_2)
	v_cmp_gt_i32_e32 vcc_lo, 16, v23
	v_lshrrev_b32_e32 v16, 24, v16
	v_min_i32_e32 v64, 15, v23
	v_dual_cndmask_b32 v25, 7, v25 :: v_dual_and_b32 v16, 0x80, v16
	s_delay_alu instid0(VALU_DEP_2) | instskip(NEXT) | instid1(VALU_DEP_2)
	v_lshlrev_b32_e32 v64, 3, v64
	v_and_b32_e32 v65, 7, v25
	v_or_b32_e32 v23, v23, v25
	s_delay_alu instid0(VALU_DEP_2) | instskip(NEXT) | instid1(VALU_DEP_2)
	v_or3_b32 v16, v64, v16, v65
	v_cmp_ne_u32_e32 vcc_lo, 0, v23
	s_delay_alu instid0(VALU_DEP_2)
	v_cndmask_b32_e32 v161, 0, v16, vcc_lo
.LBB6_8263:                             ;   in Loop: Header=BB6_8134 Depth=2
	s_or_b32 exec_lo, exec_lo, s24
.LBB6_8264:                             ;   in Loop: Header=BB6_8134 Depth=2
	s_delay_alu instid0(SALU_CYCLE_1)
	s_or_b32 exec_lo, exec_lo, s23
	flat_load_u8 v16, v[10:11] offset:320 slc dlc
	s_mov_b32 s7, 0
	s_mov_b32 s24, exec_lo
                                        ; implicit-def: $sgpr23
	s_waitcnt vmcnt(0) lgkmcnt(0)
	v_cmpx_lt_i16_e32 0x7f, v16
	s_xor_b32 s24, exec_lo, s24
	s_cbranch_execnz .LBB6_9081
; %bb.8265:                             ;   in Loop: Header=BB6_8134 Depth=2
	s_or_saveexec_b32 s24, s24
	v_mov_b32_e32 v23, s23
	s_xor_b32 exec_lo, exec_lo, s24
	s_cbranch_execnz .LBB6_9084
.LBB6_8266:                             ;   in Loop: Header=BB6_8134 Depth=2
	s_or_b32 exec_lo, exec_lo, s24
	s_and_saveexec_b32 s23, s7
	s_cbranch_execz .LBB6_8268
.LBB6_8267:                             ;   in Loop: Header=BB6_8134 Depth=2
	v_and_b32_e32 v23, 0xffff, v16
	s_delay_alu instid0(VALU_DEP_1) | instskip(NEXT) | instid1(VALU_DEP_1)
	v_and_b32_e32 v25, 7, v23
	v_clz_i32_u32_e32 v64, v25
	s_delay_alu instid0(VALU_DEP_1) | instskip(NEXT) | instid1(VALU_DEP_1)
	v_min_u32_e32 v64, 32, v64
	v_subrev_nc_u32_e32 v65, 28, v64
	v_sub_nc_u32_e32 v64, 29, v64
	s_delay_alu instid0(VALU_DEP_2) | instskip(SKIP_1) | instid1(VALU_DEP_2)
	v_lshlrev_b32_e32 v65, v65, v23
	v_bfe_u32 v23, v23, 3, 4
	v_and_b32_e32 v65, 7, v65
	s_delay_alu instid0(VALU_DEP_2) | instskip(NEXT) | instid1(VALU_DEP_2)
	v_cmp_eq_u32_e32 vcc_lo, 0, v23
	v_dual_cndmask_b32 v25, v25, v65 :: v_dual_lshlrev_b32 v16, 24, v16
	v_cndmask_b32_e32 v23, v23, v64, vcc_lo
	s_delay_alu instid0(VALU_DEP_2) | instskip(NEXT) | instid1(VALU_DEP_3)
	v_and_b32_e32 v16, 0x80000000, v16
	v_lshlrev_b32_e32 v25, 20, v25
	s_delay_alu instid0(VALU_DEP_3) | instskip(NEXT) | instid1(VALU_DEP_1)
	v_lshl_add_u32 v23, v23, 23, 0x3b800000
	v_or3_b32 v23, v16, v23, v25
.LBB6_8268:                             ;   in Loop: Header=BB6_8134 Depth=2
	s_or_b32 exec_lo, exec_lo, s23
	s_delay_alu instid0(VALU_DEP_1) | instskip(SKIP_1) | instid1(VALU_DEP_1)
	v_dual_mul_f32 v16, v17, v23 :: v_dual_mov_b32 v151, 0x80
	s_mov_b32 s23, exec_lo
	v_and_b32_e32 v23, 0x7f800000, v16
	s_delay_alu instid0(VALU_DEP_1)
	v_cmpx_ne_u32_e32 0x7f800000, v23
	s_cbranch_execz .LBB6_8276
; %bb.8269:                             ;   in Loop: Header=BB6_8134 Depth=2
	v_mov_b32_e32 v151, 0
	s_mov_b32 s24, exec_lo
	v_cmpx_ne_u32_e32 0, v16
	s_cbranch_execz .LBB6_8275
; %bb.8270:                             ;   in Loop: Header=BB6_8134 Depth=2
	v_bfe_u32 v23, v16, 23, 8
	v_and_b32_e32 v25, 0x7fffff, v16
	s_delay_alu instid0(VALU_DEP_2) | instskip(SKIP_1) | instid1(VALU_DEP_3)
	v_sub_nc_u32_e32 v64, 0x78, v23
	v_cmp_gt_u32_e32 vcc_lo, 0x79, v23
	v_or_b32_e32 v65, 0x800000, v25
	s_delay_alu instid0(VALU_DEP_3) | instskip(SKIP_2) | instid1(VALU_DEP_4)
	v_cndmask_b32_e32 v64, 0, v64, vcc_lo
	v_cmp_eq_u32_e32 vcc_lo, 0, v23
	v_add_nc_u32_e32 v23, 0xffffff89, v23
	v_cndmask_b32_e32 v25, v65, v25, vcc_lo
	s_delay_alu instid0(VALU_DEP_4) | instskip(NEXT) | instid1(VALU_DEP_3)
	v_cndmask_b32_e64 v64, v64, 0x77, vcc_lo
	v_cndmask_b32_e64 v23, v23, 0xffffff8a, vcc_lo
	s_delay_alu instid0(VALU_DEP_2) | instskip(SKIP_2) | instid1(VALU_DEP_4)
	v_lshrrev_b32_e32 v66, v64, v25
	v_lshl_add_u32 v65, 0x100000, v64, -1
	v_lshlrev_b32_e64 v69, v64, 0x80000
	v_add_nc_u32_e32 v64, v64, v23
	s_delay_alu instid0(VALU_DEP_4) | instskip(NEXT) | instid1(VALU_DEP_4)
	v_bfe_u32 v68, v66, 20, 1
	v_and_b32_e32 v25, v65, v25
	s_delay_alu instid0(VALU_DEP_2) | instskip(NEXT) | instid1(VALU_DEP_2)
	v_add_nc_u32_e32 v65, -1, v68
	v_cmp_eq_u32_e64 s7, v25, v69
	s_delay_alu instid0(VALU_DEP_1) | instskip(SKIP_2) | instid1(VALU_DEP_2)
	v_cndmask_b32_e64 v25, 0, v65, s7
	v_lshrrev_b32_e32 v65, 23, v66
	s_mov_b32 s7, exec_lo
	v_add_nc_u32_e32 v25, v25, v66
	s_delay_alu instid0(VALU_DEP_2) | instskip(NEXT) | instid1(VALU_DEP_2)
	v_xor_b32_e32 v65, 1, v65
	v_and_b32_e32 v23, 0xfffff, v25
	s_delay_alu instid0(VALU_DEP_1) | instskip(NEXT) | instid1(VALU_DEP_3)
	v_add_nc_u32_e32 v25, v23, v66
                                        ; implicit-def: $vgpr23
	v_cmpx_ne_u32_e64 v64, v65
	s_xor_b32 s7, exec_lo, s7
; %bb.8271:                             ;   in Loop: Header=BB6_8134 Depth=2
	s_delay_alu instid0(VALU_DEP_2) | instskip(SKIP_2) | instid1(VALU_DEP_2)
	v_cmp_lt_u32_e32 vcc_lo, 0xffffff, v25
	v_sub_nc_u32_e32 v23, v64, v65
	v_cndmask_b32_e64 v64, 0, 1, vcc_lo
	v_add_co_ci_u32_e32 v23, vcc_lo, 0, v23, vcc_lo
	s_delay_alu instid0(VALU_DEP_2)
	v_lshrrev_b32_e32 v25, v64, v25
; %bb.8272:                             ;   in Loop: Header=BB6_8134 Depth=2
	s_and_not1_saveexec_b32 s7, s7
; %bb.8273:                             ;   in Loop: Header=BB6_8134 Depth=2
	s_delay_alu instid0(VALU_DEP_1)
	v_bfe_u32 v23, v25, 23, 1
; %bb.8274:                             ;   in Loop: Header=BB6_8134 Depth=2
	s_or_b32 exec_lo, exec_lo, s7
	v_lshrrev_b32_e32 v25, 20, v25
	s_delay_alu instid0(VALU_DEP_2) | instskip(SKIP_2) | instid1(VALU_DEP_2)
	v_cmp_gt_i32_e32 vcc_lo, 16, v23
	v_lshrrev_b32_e32 v16, 24, v16
	v_min_i32_e32 v64, 15, v23
	v_dual_cndmask_b32 v25, 7, v25 :: v_dual_and_b32 v16, 0x80, v16
	s_delay_alu instid0(VALU_DEP_2) | instskip(NEXT) | instid1(VALU_DEP_2)
	v_lshlrev_b32_e32 v64, 3, v64
	v_and_b32_e32 v65, 7, v25
	v_or_b32_e32 v23, v23, v25
	s_delay_alu instid0(VALU_DEP_2) | instskip(NEXT) | instid1(VALU_DEP_2)
	v_or3_b32 v16, v64, v16, v65
	v_cmp_ne_u32_e32 vcc_lo, 0, v23
	s_delay_alu instid0(VALU_DEP_2)
	v_cndmask_b32_e32 v151, 0, v16, vcc_lo
.LBB6_8275:                             ;   in Loop: Header=BB6_8134 Depth=2
	s_or_b32 exec_lo, exec_lo, s24
.LBB6_8276:                             ;   in Loop: Header=BB6_8134 Depth=2
	s_delay_alu instid0(SALU_CYCLE_1)
	s_or_b32 exec_lo, exec_lo, s23
	flat_load_u8 v16, v[10:11] offset:352 slc dlc
	s_mov_b32 s7, 0
	s_mov_b32 s24, exec_lo
                                        ; implicit-def: $sgpr23
	s_waitcnt vmcnt(0) lgkmcnt(0)
	v_cmpx_lt_i16_e32 0x7f, v16
	s_xor_b32 s24, exec_lo, s24
	s_cbranch_execnz .LBB6_9085
; %bb.8277:                             ;   in Loop: Header=BB6_8134 Depth=2
	s_or_saveexec_b32 s24, s24
	v_mov_b32_e32 v23, s23
	s_xor_b32 exec_lo, exec_lo, s24
	s_cbranch_execnz .LBB6_9088
.LBB6_8278:                             ;   in Loop: Header=BB6_8134 Depth=2
	s_or_b32 exec_lo, exec_lo, s24
	s_and_saveexec_b32 s23, s7
	s_cbranch_execz .LBB6_8280
.LBB6_8279:                             ;   in Loop: Header=BB6_8134 Depth=2
	v_and_b32_e32 v23, 0xffff, v16
	s_delay_alu instid0(VALU_DEP_1) | instskip(NEXT) | instid1(VALU_DEP_1)
	v_and_b32_e32 v25, 7, v23
	v_clz_i32_u32_e32 v64, v25
	s_delay_alu instid0(VALU_DEP_1) | instskip(NEXT) | instid1(VALU_DEP_1)
	v_min_u32_e32 v64, 32, v64
	v_subrev_nc_u32_e32 v65, 28, v64
	v_sub_nc_u32_e32 v64, 29, v64
	s_delay_alu instid0(VALU_DEP_2) | instskip(SKIP_1) | instid1(VALU_DEP_2)
	v_lshlrev_b32_e32 v65, v65, v23
	v_bfe_u32 v23, v23, 3, 4
	v_and_b32_e32 v65, 7, v65
	s_delay_alu instid0(VALU_DEP_2) | instskip(NEXT) | instid1(VALU_DEP_2)
	v_cmp_eq_u32_e32 vcc_lo, 0, v23
	v_dual_cndmask_b32 v25, v25, v65 :: v_dual_lshlrev_b32 v16, 24, v16
	v_cndmask_b32_e32 v23, v23, v64, vcc_lo
	s_delay_alu instid0(VALU_DEP_2) | instskip(NEXT) | instid1(VALU_DEP_3)
	v_and_b32_e32 v16, 0x80000000, v16
	v_lshlrev_b32_e32 v25, 20, v25
	s_delay_alu instid0(VALU_DEP_3) | instskip(NEXT) | instid1(VALU_DEP_1)
	v_lshl_add_u32 v23, v23, 23, 0x3b800000
	v_or3_b32 v23, v16, v23, v25
.LBB6_8280:                             ;   in Loop: Header=BB6_8134 Depth=2
	s_or_b32 exec_lo, exec_lo, s23
	s_delay_alu instid0(VALU_DEP_1) | instskip(SKIP_2) | instid1(VALU_DEP_2)
	v_mul_f32_e32 v16, v17, v23
	v_mov_b32_e32 v150, 0x80
	s_mov_b32 s23, exec_lo
	v_and_b32_e32 v23, 0x7f800000, v16
	s_delay_alu instid0(VALU_DEP_1)
	v_cmpx_ne_u32_e32 0x7f800000, v23
	s_cbranch_execz .LBB6_8288
; %bb.8281:                             ;   in Loop: Header=BB6_8134 Depth=2
	v_mov_b32_e32 v150, 0
	s_mov_b32 s24, exec_lo
	v_cmpx_ne_u32_e32 0, v16
	s_cbranch_execz .LBB6_8287
; %bb.8282:                             ;   in Loop: Header=BB6_8134 Depth=2
	v_bfe_u32 v23, v16, 23, 8
	v_and_b32_e32 v25, 0x7fffff, v16
	s_delay_alu instid0(VALU_DEP_2) | instskip(SKIP_1) | instid1(VALU_DEP_3)
	v_sub_nc_u32_e32 v64, 0x78, v23
	v_cmp_gt_u32_e32 vcc_lo, 0x79, v23
	v_or_b32_e32 v65, 0x800000, v25
	s_delay_alu instid0(VALU_DEP_3) | instskip(SKIP_2) | instid1(VALU_DEP_4)
	v_cndmask_b32_e32 v64, 0, v64, vcc_lo
	v_cmp_eq_u32_e32 vcc_lo, 0, v23
	v_add_nc_u32_e32 v23, 0xffffff89, v23
	v_cndmask_b32_e32 v25, v65, v25, vcc_lo
	s_delay_alu instid0(VALU_DEP_4) | instskip(NEXT) | instid1(VALU_DEP_3)
	v_cndmask_b32_e64 v64, v64, 0x77, vcc_lo
	v_cndmask_b32_e64 v23, v23, 0xffffff8a, vcc_lo
	s_delay_alu instid0(VALU_DEP_2) | instskip(SKIP_2) | instid1(VALU_DEP_4)
	v_lshrrev_b32_e32 v66, v64, v25
	v_lshl_add_u32 v65, 0x100000, v64, -1
	v_lshlrev_b32_e64 v69, v64, 0x80000
	v_add_nc_u32_e32 v64, v64, v23
	s_delay_alu instid0(VALU_DEP_4) | instskip(NEXT) | instid1(VALU_DEP_4)
	v_bfe_u32 v68, v66, 20, 1
	v_and_b32_e32 v25, v65, v25
	s_delay_alu instid0(VALU_DEP_2) | instskip(NEXT) | instid1(VALU_DEP_2)
	v_add_nc_u32_e32 v65, -1, v68
	v_cmp_eq_u32_e64 s7, v25, v69
	s_delay_alu instid0(VALU_DEP_1) | instskip(SKIP_2) | instid1(VALU_DEP_2)
	v_cndmask_b32_e64 v25, 0, v65, s7
	v_lshrrev_b32_e32 v65, 23, v66
	s_mov_b32 s7, exec_lo
	v_add_nc_u32_e32 v25, v25, v66
	s_delay_alu instid0(VALU_DEP_2) | instskip(NEXT) | instid1(VALU_DEP_2)
	v_xor_b32_e32 v65, 1, v65
	v_and_b32_e32 v23, 0xfffff, v25
	s_delay_alu instid0(VALU_DEP_1) | instskip(NEXT) | instid1(VALU_DEP_3)
	v_add_nc_u32_e32 v25, v23, v66
                                        ; implicit-def: $vgpr23
	v_cmpx_ne_u32_e64 v64, v65
	s_xor_b32 s7, exec_lo, s7
; %bb.8283:                             ;   in Loop: Header=BB6_8134 Depth=2
	s_delay_alu instid0(VALU_DEP_2) | instskip(SKIP_2) | instid1(VALU_DEP_2)
	v_cmp_lt_u32_e32 vcc_lo, 0xffffff, v25
	v_sub_nc_u32_e32 v23, v64, v65
	v_cndmask_b32_e64 v64, 0, 1, vcc_lo
	v_add_co_ci_u32_e32 v23, vcc_lo, 0, v23, vcc_lo
	s_delay_alu instid0(VALU_DEP_2)
	v_lshrrev_b32_e32 v25, v64, v25
; %bb.8284:                             ;   in Loop: Header=BB6_8134 Depth=2
	s_and_not1_saveexec_b32 s7, s7
; %bb.8285:                             ;   in Loop: Header=BB6_8134 Depth=2
	s_delay_alu instid0(VALU_DEP_1)
	v_bfe_u32 v23, v25, 23, 1
; %bb.8286:                             ;   in Loop: Header=BB6_8134 Depth=2
	s_or_b32 exec_lo, exec_lo, s7
	v_lshrrev_b32_e32 v25, 20, v25
	s_delay_alu instid0(VALU_DEP_2) | instskip(SKIP_2) | instid1(VALU_DEP_2)
	v_cmp_gt_i32_e32 vcc_lo, 16, v23
	v_lshrrev_b32_e32 v16, 24, v16
	v_min_i32_e32 v64, 15, v23
	v_dual_cndmask_b32 v25, 7, v25 :: v_dual_and_b32 v16, 0x80, v16
	s_delay_alu instid0(VALU_DEP_2) | instskip(NEXT) | instid1(VALU_DEP_2)
	v_lshlrev_b32_e32 v64, 3, v64
	v_or_b32_e32 v23, v23, v25
	s_delay_alu instid0(VALU_DEP_1) | instskip(SKIP_1) | instid1(VALU_DEP_1)
	v_cmp_ne_u32_e32 vcc_lo, 0, v23
	v_and_b32_e32 v65, 7, v25
	v_or3_b32 v16, v64, v16, v65
	s_delay_alu instid0(VALU_DEP_1)
	v_cndmask_b32_e32 v150, 0, v16, vcc_lo
.LBB6_8287:                             ;   in Loop: Header=BB6_8134 Depth=2
	s_or_b32 exec_lo, exec_lo, s24
.LBB6_8288:                             ;   in Loop: Header=BB6_8134 Depth=2
	s_delay_alu instid0(SALU_CYCLE_1)
	s_or_b32 exec_lo, exec_lo, s23
	flat_load_u8 v16, v[10:11] offset:384 slc dlc
	s_mov_b32 s7, 0
	s_mov_b32 s24, exec_lo
                                        ; implicit-def: $sgpr23
	s_waitcnt vmcnt(0) lgkmcnt(0)
	v_cmpx_lt_i16_e32 0x7f, v16
	s_xor_b32 s24, exec_lo, s24
	s_cbranch_execnz .LBB6_9089
; %bb.8289:                             ;   in Loop: Header=BB6_8134 Depth=2
	s_or_saveexec_b32 s24, s24
	v_mov_b32_e32 v23, s23
	s_xor_b32 exec_lo, exec_lo, s24
	s_cbranch_execnz .LBB6_9092
.LBB6_8290:                             ;   in Loop: Header=BB6_8134 Depth=2
	s_or_b32 exec_lo, exec_lo, s24
	s_and_saveexec_b32 s23, s7
	s_cbranch_execz .LBB6_8292
.LBB6_8291:                             ;   in Loop: Header=BB6_8134 Depth=2
	v_and_b32_e32 v23, 0xffff, v16
	s_delay_alu instid0(VALU_DEP_1) | instskip(NEXT) | instid1(VALU_DEP_1)
	v_and_b32_e32 v25, 7, v23
	v_clz_i32_u32_e32 v64, v25
	s_delay_alu instid0(VALU_DEP_1) | instskip(NEXT) | instid1(VALU_DEP_1)
	v_min_u32_e32 v64, 32, v64
	v_subrev_nc_u32_e32 v65, 28, v64
	v_sub_nc_u32_e32 v64, 29, v64
	s_delay_alu instid0(VALU_DEP_2) | instskip(SKIP_1) | instid1(VALU_DEP_2)
	v_lshlrev_b32_e32 v65, v65, v23
	v_bfe_u32 v23, v23, 3, 4
	v_and_b32_e32 v65, 7, v65
	s_delay_alu instid0(VALU_DEP_2) | instskip(NEXT) | instid1(VALU_DEP_2)
	v_cmp_eq_u32_e32 vcc_lo, 0, v23
	v_dual_cndmask_b32 v25, v25, v65 :: v_dual_lshlrev_b32 v16, 24, v16
	v_cndmask_b32_e32 v23, v23, v64, vcc_lo
	s_delay_alu instid0(VALU_DEP_2) | instskip(NEXT) | instid1(VALU_DEP_3)
	v_and_b32_e32 v16, 0x80000000, v16
	v_lshlrev_b32_e32 v25, 20, v25
	s_delay_alu instid0(VALU_DEP_3) | instskip(NEXT) | instid1(VALU_DEP_1)
	v_lshl_add_u32 v23, v23, 23, 0x3b800000
	v_or3_b32 v23, v16, v23, v25
.LBB6_8292:                             ;   in Loop: Header=BB6_8134 Depth=2
	s_or_b32 exec_lo, exec_lo, s23
	s_delay_alu instid0(VALU_DEP_1) | instskip(SKIP_2) | instid1(VALU_DEP_2)
	v_mul_f32_e32 v16, v17, v23
	v_mov_b32_e32 v148, 0x80
	s_mov_b32 s23, exec_lo
	v_and_b32_e32 v23, 0x7f800000, v16
	s_delay_alu instid0(VALU_DEP_1)
	v_cmpx_ne_u32_e32 0x7f800000, v23
	s_cbranch_execz .LBB6_8300
; %bb.8293:                             ;   in Loop: Header=BB6_8134 Depth=2
	v_mov_b32_e32 v148, 0
	s_mov_b32 s24, exec_lo
	v_cmpx_ne_u32_e32 0, v16
	s_cbranch_execz .LBB6_8299
; %bb.8294:                             ;   in Loop: Header=BB6_8134 Depth=2
	v_bfe_u32 v23, v16, 23, 8
	v_and_b32_e32 v25, 0x7fffff, v16
	s_delay_alu instid0(VALU_DEP_2) | instskip(SKIP_1) | instid1(VALU_DEP_3)
	v_sub_nc_u32_e32 v64, 0x78, v23
	v_cmp_gt_u32_e32 vcc_lo, 0x79, v23
	v_or_b32_e32 v65, 0x800000, v25
	s_delay_alu instid0(VALU_DEP_3) | instskip(SKIP_2) | instid1(VALU_DEP_4)
	v_cndmask_b32_e32 v64, 0, v64, vcc_lo
	v_cmp_eq_u32_e32 vcc_lo, 0, v23
	v_add_nc_u32_e32 v23, 0xffffff89, v23
	v_cndmask_b32_e32 v25, v65, v25, vcc_lo
	s_delay_alu instid0(VALU_DEP_4) | instskip(NEXT) | instid1(VALU_DEP_3)
	v_cndmask_b32_e64 v64, v64, 0x77, vcc_lo
	v_cndmask_b32_e64 v23, v23, 0xffffff8a, vcc_lo
	s_delay_alu instid0(VALU_DEP_2) | instskip(SKIP_2) | instid1(VALU_DEP_4)
	v_lshrrev_b32_e32 v66, v64, v25
	v_lshl_add_u32 v65, 0x100000, v64, -1
	v_lshlrev_b32_e64 v69, v64, 0x80000
	v_add_nc_u32_e32 v64, v64, v23
	s_delay_alu instid0(VALU_DEP_4) | instskip(NEXT) | instid1(VALU_DEP_4)
	v_bfe_u32 v68, v66, 20, 1
	v_and_b32_e32 v25, v65, v25
	s_delay_alu instid0(VALU_DEP_2) | instskip(NEXT) | instid1(VALU_DEP_2)
	v_add_nc_u32_e32 v65, -1, v68
	v_cmp_eq_u32_e64 s7, v25, v69
	s_delay_alu instid0(VALU_DEP_1) | instskip(SKIP_2) | instid1(VALU_DEP_2)
	v_cndmask_b32_e64 v25, 0, v65, s7
	v_lshrrev_b32_e32 v65, 23, v66
	s_mov_b32 s7, exec_lo
	v_add_nc_u32_e32 v25, v25, v66
	s_delay_alu instid0(VALU_DEP_2) | instskip(NEXT) | instid1(VALU_DEP_2)
	v_xor_b32_e32 v65, 1, v65
	v_and_b32_e32 v23, 0xfffff, v25
	s_delay_alu instid0(VALU_DEP_1) | instskip(NEXT) | instid1(VALU_DEP_3)
	v_add_nc_u32_e32 v25, v23, v66
                                        ; implicit-def: $vgpr23
	v_cmpx_ne_u32_e64 v64, v65
	s_xor_b32 s7, exec_lo, s7
; %bb.8295:                             ;   in Loop: Header=BB6_8134 Depth=2
	s_delay_alu instid0(VALU_DEP_2) | instskip(SKIP_2) | instid1(VALU_DEP_2)
	v_cmp_lt_u32_e32 vcc_lo, 0xffffff, v25
	v_sub_nc_u32_e32 v23, v64, v65
	v_cndmask_b32_e64 v64, 0, 1, vcc_lo
	v_add_co_ci_u32_e32 v23, vcc_lo, 0, v23, vcc_lo
	s_delay_alu instid0(VALU_DEP_2)
	v_lshrrev_b32_e32 v25, v64, v25
; %bb.8296:                             ;   in Loop: Header=BB6_8134 Depth=2
	s_and_not1_saveexec_b32 s7, s7
; %bb.8297:                             ;   in Loop: Header=BB6_8134 Depth=2
	s_delay_alu instid0(VALU_DEP_1)
	v_bfe_u32 v23, v25, 23, 1
; %bb.8298:                             ;   in Loop: Header=BB6_8134 Depth=2
	s_or_b32 exec_lo, exec_lo, s7
	v_lshrrev_b32_e32 v25, 20, v25
	s_delay_alu instid0(VALU_DEP_2) | instskip(SKIP_2) | instid1(VALU_DEP_2)
	v_cmp_gt_i32_e32 vcc_lo, 16, v23
	v_lshrrev_b32_e32 v16, 24, v16
	v_min_i32_e32 v64, 15, v23
	v_dual_cndmask_b32 v25, 7, v25 :: v_dual_and_b32 v16, 0x80, v16
	s_delay_alu instid0(VALU_DEP_2) | instskip(NEXT) | instid1(VALU_DEP_2)
	v_lshlrev_b32_e32 v64, 3, v64
	v_or_b32_e32 v23, v23, v25
	s_delay_alu instid0(VALU_DEP_1) | instskip(SKIP_1) | instid1(VALU_DEP_1)
	v_cmp_ne_u32_e32 vcc_lo, 0, v23
	v_and_b32_e32 v65, 7, v25
	v_or3_b32 v16, v64, v16, v65
	s_delay_alu instid0(VALU_DEP_1)
	v_cndmask_b32_e32 v148, 0, v16, vcc_lo
.LBB6_8299:                             ;   in Loop: Header=BB6_8134 Depth=2
	s_or_b32 exec_lo, exec_lo, s24
.LBB6_8300:                             ;   in Loop: Header=BB6_8134 Depth=2
	s_delay_alu instid0(SALU_CYCLE_1)
	s_or_b32 exec_lo, exec_lo, s23
	flat_load_u8 v16, v[10:11] offset:416 slc dlc
	s_mov_b32 s7, 0
	s_mov_b32 s24, exec_lo
                                        ; implicit-def: $sgpr23
	s_waitcnt vmcnt(0) lgkmcnt(0)
	v_cmpx_lt_i16_e32 0x7f, v16
	s_xor_b32 s24, exec_lo, s24
	s_cbranch_execnz .LBB6_9093
; %bb.8301:                             ;   in Loop: Header=BB6_8134 Depth=2
	s_or_saveexec_b32 s24, s24
	v_mov_b32_e32 v23, s23
	s_xor_b32 exec_lo, exec_lo, s24
	s_cbranch_execnz .LBB6_9096
.LBB6_8302:                             ;   in Loop: Header=BB6_8134 Depth=2
	s_or_b32 exec_lo, exec_lo, s24
	s_and_saveexec_b32 s23, s7
	s_cbranch_execz .LBB6_8304
.LBB6_8303:                             ;   in Loop: Header=BB6_8134 Depth=2
	v_and_b32_e32 v23, 0xffff, v16
	s_delay_alu instid0(VALU_DEP_1) | instskip(NEXT) | instid1(VALU_DEP_1)
	v_and_b32_e32 v25, 7, v23
	v_clz_i32_u32_e32 v64, v25
	s_delay_alu instid0(VALU_DEP_1) | instskip(NEXT) | instid1(VALU_DEP_1)
	v_min_u32_e32 v64, 32, v64
	v_subrev_nc_u32_e32 v65, 28, v64
	v_sub_nc_u32_e32 v64, 29, v64
	s_delay_alu instid0(VALU_DEP_2) | instskip(SKIP_1) | instid1(VALU_DEP_2)
	v_lshlrev_b32_e32 v65, v65, v23
	v_bfe_u32 v23, v23, 3, 4
	v_and_b32_e32 v65, 7, v65
	s_delay_alu instid0(VALU_DEP_2) | instskip(NEXT) | instid1(VALU_DEP_2)
	v_cmp_eq_u32_e32 vcc_lo, 0, v23
	v_dual_cndmask_b32 v25, v25, v65 :: v_dual_lshlrev_b32 v16, 24, v16
	v_cndmask_b32_e32 v23, v23, v64, vcc_lo
	s_delay_alu instid0(VALU_DEP_2) | instskip(NEXT) | instid1(VALU_DEP_3)
	v_and_b32_e32 v16, 0x80000000, v16
	v_lshlrev_b32_e32 v25, 20, v25
	s_delay_alu instid0(VALU_DEP_3) | instskip(NEXT) | instid1(VALU_DEP_1)
	v_lshl_add_u32 v23, v23, 23, 0x3b800000
	v_or3_b32 v23, v16, v23, v25
.LBB6_8304:                             ;   in Loop: Header=BB6_8134 Depth=2
	s_or_b32 exec_lo, exec_lo, s23
	s_delay_alu instid0(VALU_DEP_1) | instskip(SKIP_2) | instid1(VALU_DEP_2)
	v_mul_f32_e32 v16, v17, v23
	v_mov_b32_e32 v146, 0x80
	s_mov_b32 s23, exec_lo
	v_and_b32_e32 v23, 0x7f800000, v16
	s_delay_alu instid0(VALU_DEP_1)
	v_cmpx_ne_u32_e32 0x7f800000, v23
	s_cbranch_execz .LBB6_8312
; %bb.8305:                             ;   in Loop: Header=BB6_8134 Depth=2
	v_mov_b32_e32 v146, 0
	s_mov_b32 s24, exec_lo
	v_cmpx_ne_u32_e32 0, v16
	s_cbranch_execz .LBB6_8311
; %bb.8306:                             ;   in Loop: Header=BB6_8134 Depth=2
	v_bfe_u32 v23, v16, 23, 8
	v_and_b32_e32 v25, 0x7fffff, v16
	s_delay_alu instid0(VALU_DEP_2) | instskip(SKIP_1) | instid1(VALU_DEP_3)
	v_sub_nc_u32_e32 v64, 0x78, v23
	v_cmp_gt_u32_e32 vcc_lo, 0x79, v23
	v_or_b32_e32 v65, 0x800000, v25
	s_delay_alu instid0(VALU_DEP_3) | instskip(SKIP_2) | instid1(VALU_DEP_4)
	v_cndmask_b32_e32 v64, 0, v64, vcc_lo
	v_cmp_eq_u32_e32 vcc_lo, 0, v23
	v_add_nc_u32_e32 v23, 0xffffff89, v23
	v_cndmask_b32_e32 v25, v65, v25, vcc_lo
	s_delay_alu instid0(VALU_DEP_4) | instskip(NEXT) | instid1(VALU_DEP_3)
	v_cndmask_b32_e64 v64, v64, 0x77, vcc_lo
	v_cndmask_b32_e64 v23, v23, 0xffffff8a, vcc_lo
	s_delay_alu instid0(VALU_DEP_2) | instskip(SKIP_2) | instid1(VALU_DEP_4)
	v_lshrrev_b32_e32 v66, v64, v25
	v_lshl_add_u32 v65, 0x100000, v64, -1
	v_lshlrev_b32_e64 v69, v64, 0x80000
	v_add_nc_u32_e32 v64, v64, v23
	s_delay_alu instid0(VALU_DEP_4) | instskip(NEXT) | instid1(VALU_DEP_4)
	v_bfe_u32 v68, v66, 20, 1
	v_and_b32_e32 v25, v65, v25
	s_delay_alu instid0(VALU_DEP_2) | instskip(NEXT) | instid1(VALU_DEP_2)
	v_add_nc_u32_e32 v65, -1, v68
	v_cmp_eq_u32_e64 s7, v25, v69
	s_delay_alu instid0(VALU_DEP_1) | instskip(SKIP_2) | instid1(VALU_DEP_2)
	v_cndmask_b32_e64 v25, 0, v65, s7
	v_lshrrev_b32_e32 v65, 23, v66
	s_mov_b32 s7, exec_lo
	v_add_nc_u32_e32 v25, v25, v66
	s_delay_alu instid0(VALU_DEP_2) | instskip(NEXT) | instid1(VALU_DEP_2)
	v_xor_b32_e32 v65, 1, v65
	v_and_b32_e32 v23, 0xfffff, v25
	s_delay_alu instid0(VALU_DEP_1) | instskip(NEXT) | instid1(VALU_DEP_3)
	v_add_nc_u32_e32 v25, v23, v66
                                        ; implicit-def: $vgpr23
	v_cmpx_ne_u32_e64 v64, v65
	s_xor_b32 s7, exec_lo, s7
; %bb.8307:                             ;   in Loop: Header=BB6_8134 Depth=2
	s_delay_alu instid0(VALU_DEP_2) | instskip(SKIP_2) | instid1(VALU_DEP_2)
	v_cmp_lt_u32_e32 vcc_lo, 0xffffff, v25
	v_sub_nc_u32_e32 v23, v64, v65
	v_cndmask_b32_e64 v64, 0, 1, vcc_lo
	v_add_co_ci_u32_e32 v23, vcc_lo, 0, v23, vcc_lo
	s_delay_alu instid0(VALU_DEP_2)
	v_lshrrev_b32_e32 v25, v64, v25
; %bb.8308:                             ;   in Loop: Header=BB6_8134 Depth=2
	s_and_not1_saveexec_b32 s7, s7
; %bb.8309:                             ;   in Loop: Header=BB6_8134 Depth=2
	s_delay_alu instid0(VALU_DEP_1)
	v_bfe_u32 v23, v25, 23, 1
; %bb.8310:                             ;   in Loop: Header=BB6_8134 Depth=2
	s_or_b32 exec_lo, exec_lo, s7
	v_lshrrev_b32_e32 v25, 20, v25
	s_delay_alu instid0(VALU_DEP_2) | instskip(SKIP_2) | instid1(VALU_DEP_2)
	v_cmp_gt_i32_e32 vcc_lo, 16, v23
	v_lshrrev_b32_e32 v16, 24, v16
	v_min_i32_e32 v64, 15, v23
	v_dual_cndmask_b32 v25, 7, v25 :: v_dual_and_b32 v16, 0x80, v16
	s_delay_alu instid0(VALU_DEP_2) | instskip(NEXT) | instid1(VALU_DEP_2)
	v_lshlrev_b32_e32 v64, 3, v64
	v_or_b32_e32 v23, v23, v25
	s_delay_alu instid0(VALU_DEP_1) | instskip(SKIP_1) | instid1(VALU_DEP_1)
	v_cmp_ne_u32_e32 vcc_lo, 0, v23
	v_and_b32_e32 v65, 7, v25
	v_or3_b32 v16, v64, v16, v65
	s_delay_alu instid0(VALU_DEP_1)
	v_cndmask_b32_e32 v146, 0, v16, vcc_lo
.LBB6_8311:                             ;   in Loop: Header=BB6_8134 Depth=2
	s_or_b32 exec_lo, exec_lo, s24
.LBB6_8312:                             ;   in Loop: Header=BB6_8134 Depth=2
	s_delay_alu instid0(SALU_CYCLE_1)
	s_or_b32 exec_lo, exec_lo, s23
	flat_load_u8 v16, v[10:11] offset:448 slc dlc
	s_mov_b32 s7, 0
	s_mov_b32 s24, exec_lo
                                        ; implicit-def: $sgpr23
	s_waitcnt vmcnt(0) lgkmcnt(0)
	v_cmpx_lt_i16_e32 0x7f, v16
	s_xor_b32 s24, exec_lo, s24
	s_cbranch_execnz .LBB6_9097
; %bb.8313:                             ;   in Loop: Header=BB6_8134 Depth=2
	s_or_saveexec_b32 s24, s24
	v_mov_b32_e32 v23, s23
	s_xor_b32 exec_lo, exec_lo, s24
	s_cbranch_execnz .LBB6_9100
.LBB6_8314:                             ;   in Loop: Header=BB6_8134 Depth=2
	s_or_b32 exec_lo, exec_lo, s24
	s_and_saveexec_b32 s23, s7
	s_cbranch_execz .LBB6_8316
.LBB6_8315:                             ;   in Loop: Header=BB6_8134 Depth=2
	v_and_b32_e32 v23, 0xffff, v16
	s_delay_alu instid0(VALU_DEP_1) | instskip(NEXT) | instid1(VALU_DEP_1)
	v_and_b32_e32 v25, 7, v23
	v_clz_i32_u32_e32 v64, v25
	s_delay_alu instid0(VALU_DEP_1) | instskip(NEXT) | instid1(VALU_DEP_1)
	v_min_u32_e32 v64, 32, v64
	v_subrev_nc_u32_e32 v65, 28, v64
	v_sub_nc_u32_e32 v64, 29, v64
	s_delay_alu instid0(VALU_DEP_2) | instskip(SKIP_1) | instid1(VALU_DEP_2)
	v_lshlrev_b32_e32 v65, v65, v23
	v_bfe_u32 v23, v23, 3, 4
	v_and_b32_e32 v65, 7, v65
	s_delay_alu instid0(VALU_DEP_2) | instskip(NEXT) | instid1(VALU_DEP_2)
	v_cmp_eq_u32_e32 vcc_lo, 0, v23
	v_dual_cndmask_b32 v25, v25, v65 :: v_dual_lshlrev_b32 v16, 24, v16
	v_cndmask_b32_e32 v23, v23, v64, vcc_lo
	s_delay_alu instid0(VALU_DEP_2) | instskip(NEXT) | instid1(VALU_DEP_3)
	v_and_b32_e32 v16, 0x80000000, v16
	v_lshlrev_b32_e32 v25, 20, v25
	s_delay_alu instid0(VALU_DEP_3) | instskip(NEXT) | instid1(VALU_DEP_1)
	v_lshl_add_u32 v23, v23, 23, 0x3b800000
	v_or3_b32 v23, v16, v23, v25
.LBB6_8316:                             ;   in Loop: Header=BB6_8134 Depth=2
	s_or_b32 exec_lo, exec_lo, s23
	s_delay_alu instid0(VALU_DEP_1) | instskip(SKIP_1) | instid1(VALU_DEP_1)
	v_dual_mul_f32 v16, v17, v23 :: v_dual_mov_b32 v145, 0x80
	s_mov_b32 s23, exec_lo
	v_and_b32_e32 v23, 0x7f800000, v16
	s_delay_alu instid0(VALU_DEP_1)
	v_cmpx_ne_u32_e32 0x7f800000, v23
	s_cbranch_execz .LBB6_8324
; %bb.8317:                             ;   in Loop: Header=BB6_8134 Depth=2
	v_mov_b32_e32 v145, 0
	s_mov_b32 s24, exec_lo
	v_cmpx_ne_u32_e32 0, v16
	s_cbranch_execz .LBB6_8323
; %bb.8318:                             ;   in Loop: Header=BB6_8134 Depth=2
	v_bfe_u32 v23, v16, 23, 8
	v_and_b32_e32 v25, 0x7fffff, v16
	s_delay_alu instid0(VALU_DEP_2) | instskip(SKIP_1) | instid1(VALU_DEP_3)
	v_sub_nc_u32_e32 v64, 0x78, v23
	v_cmp_gt_u32_e32 vcc_lo, 0x79, v23
	v_or_b32_e32 v65, 0x800000, v25
	s_delay_alu instid0(VALU_DEP_3) | instskip(SKIP_2) | instid1(VALU_DEP_4)
	v_cndmask_b32_e32 v64, 0, v64, vcc_lo
	v_cmp_eq_u32_e32 vcc_lo, 0, v23
	v_add_nc_u32_e32 v23, 0xffffff89, v23
	v_cndmask_b32_e32 v25, v65, v25, vcc_lo
	s_delay_alu instid0(VALU_DEP_4) | instskip(NEXT) | instid1(VALU_DEP_3)
	v_cndmask_b32_e64 v64, v64, 0x77, vcc_lo
	v_cndmask_b32_e64 v23, v23, 0xffffff8a, vcc_lo
	s_delay_alu instid0(VALU_DEP_2) | instskip(SKIP_2) | instid1(VALU_DEP_4)
	v_lshrrev_b32_e32 v66, v64, v25
	v_lshl_add_u32 v65, 0x100000, v64, -1
	v_lshlrev_b32_e64 v69, v64, 0x80000
	v_add_nc_u32_e32 v64, v64, v23
	s_delay_alu instid0(VALU_DEP_4) | instskip(NEXT) | instid1(VALU_DEP_4)
	v_bfe_u32 v68, v66, 20, 1
	v_and_b32_e32 v25, v65, v25
	s_delay_alu instid0(VALU_DEP_2) | instskip(NEXT) | instid1(VALU_DEP_2)
	v_add_nc_u32_e32 v65, -1, v68
	v_cmp_eq_u32_e64 s7, v25, v69
	s_delay_alu instid0(VALU_DEP_1) | instskip(SKIP_2) | instid1(VALU_DEP_2)
	v_cndmask_b32_e64 v25, 0, v65, s7
	v_lshrrev_b32_e32 v65, 23, v66
	s_mov_b32 s7, exec_lo
	v_add_nc_u32_e32 v25, v25, v66
	s_delay_alu instid0(VALU_DEP_2) | instskip(NEXT) | instid1(VALU_DEP_2)
	v_xor_b32_e32 v65, 1, v65
	v_and_b32_e32 v23, 0xfffff, v25
	s_delay_alu instid0(VALU_DEP_1) | instskip(NEXT) | instid1(VALU_DEP_3)
	v_add_nc_u32_e32 v25, v23, v66
                                        ; implicit-def: $vgpr23
	v_cmpx_ne_u32_e64 v64, v65
	s_xor_b32 s7, exec_lo, s7
; %bb.8319:                             ;   in Loop: Header=BB6_8134 Depth=2
	s_delay_alu instid0(VALU_DEP_2) | instskip(SKIP_2) | instid1(VALU_DEP_2)
	v_cmp_lt_u32_e32 vcc_lo, 0xffffff, v25
	v_sub_nc_u32_e32 v23, v64, v65
	v_cndmask_b32_e64 v64, 0, 1, vcc_lo
	v_add_co_ci_u32_e32 v23, vcc_lo, 0, v23, vcc_lo
	s_delay_alu instid0(VALU_DEP_2)
	v_lshrrev_b32_e32 v25, v64, v25
; %bb.8320:                             ;   in Loop: Header=BB6_8134 Depth=2
	s_and_not1_saveexec_b32 s7, s7
; %bb.8321:                             ;   in Loop: Header=BB6_8134 Depth=2
	s_delay_alu instid0(VALU_DEP_1)
	v_bfe_u32 v23, v25, 23, 1
; %bb.8322:                             ;   in Loop: Header=BB6_8134 Depth=2
	s_or_b32 exec_lo, exec_lo, s7
	v_lshrrev_b32_e32 v25, 20, v25
	s_delay_alu instid0(VALU_DEP_2) | instskip(SKIP_2) | instid1(VALU_DEP_2)
	v_cmp_gt_i32_e32 vcc_lo, 16, v23
	v_lshrrev_b32_e32 v16, 24, v16
	v_min_i32_e32 v64, 15, v23
	v_dual_cndmask_b32 v25, 7, v25 :: v_dual_and_b32 v16, 0x80, v16
	s_delay_alu instid0(VALU_DEP_2) | instskip(NEXT) | instid1(VALU_DEP_2)
	v_lshlrev_b32_e32 v64, 3, v64
	v_and_b32_e32 v65, 7, v25
	v_or_b32_e32 v23, v23, v25
	s_delay_alu instid0(VALU_DEP_2) | instskip(NEXT) | instid1(VALU_DEP_2)
	v_or3_b32 v16, v64, v16, v65
	v_cmp_ne_u32_e32 vcc_lo, 0, v23
	s_delay_alu instid0(VALU_DEP_2)
	v_cndmask_b32_e32 v145, 0, v16, vcc_lo
.LBB6_8323:                             ;   in Loop: Header=BB6_8134 Depth=2
	s_or_b32 exec_lo, exec_lo, s24
.LBB6_8324:                             ;   in Loop: Header=BB6_8134 Depth=2
	s_delay_alu instid0(SALU_CYCLE_1)
	s_or_b32 exec_lo, exec_lo, s23
	flat_load_u8 v16, v[10:11] offset:480 slc dlc
	s_mov_b32 s7, 0
	s_mov_b32 s24, exec_lo
                                        ; implicit-def: $sgpr23
	s_waitcnt vmcnt(0) lgkmcnt(0)
	v_cmpx_lt_i16_e32 0x7f, v16
	s_xor_b32 s24, exec_lo, s24
	s_cbranch_execnz .LBB6_9101
; %bb.8325:                             ;   in Loop: Header=BB6_8134 Depth=2
	s_or_saveexec_b32 s24, s24
	v_mov_b32_e32 v23, s23
	s_xor_b32 exec_lo, exec_lo, s24
	s_cbranch_execnz .LBB6_9104
.LBB6_8326:                             ;   in Loop: Header=BB6_8134 Depth=2
	s_or_b32 exec_lo, exec_lo, s24
	s_and_saveexec_b32 s23, s7
	s_cbranch_execz .LBB6_8328
.LBB6_8327:                             ;   in Loop: Header=BB6_8134 Depth=2
	v_and_b32_e32 v23, 0xffff, v16
	s_delay_alu instid0(VALU_DEP_1) | instskip(NEXT) | instid1(VALU_DEP_1)
	v_and_b32_e32 v25, 7, v23
	v_clz_i32_u32_e32 v64, v25
	s_delay_alu instid0(VALU_DEP_1) | instskip(NEXT) | instid1(VALU_DEP_1)
	v_min_u32_e32 v64, 32, v64
	v_subrev_nc_u32_e32 v65, 28, v64
	v_sub_nc_u32_e32 v64, 29, v64
	s_delay_alu instid0(VALU_DEP_2) | instskip(SKIP_1) | instid1(VALU_DEP_2)
	v_lshlrev_b32_e32 v65, v65, v23
	v_bfe_u32 v23, v23, 3, 4
	v_and_b32_e32 v65, 7, v65
	s_delay_alu instid0(VALU_DEP_2) | instskip(NEXT) | instid1(VALU_DEP_2)
	v_cmp_eq_u32_e32 vcc_lo, 0, v23
	v_dual_cndmask_b32 v25, v25, v65 :: v_dual_lshlrev_b32 v16, 24, v16
	v_cndmask_b32_e32 v23, v23, v64, vcc_lo
	s_delay_alu instid0(VALU_DEP_2) | instskip(NEXT) | instid1(VALU_DEP_3)
	v_and_b32_e32 v16, 0x80000000, v16
	v_lshlrev_b32_e32 v25, 20, v25
	s_delay_alu instid0(VALU_DEP_3) | instskip(NEXT) | instid1(VALU_DEP_1)
	v_lshl_add_u32 v23, v23, 23, 0x3b800000
	v_or3_b32 v23, v16, v23, v25
.LBB6_8328:                             ;   in Loop: Header=BB6_8134 Depth=2
	s_or_b32 exec_lo, exec_lo, s23
	s_delay_alu instid0(VALU_DEP_1) | instskip(SKIP_1) | instid1(VALU_DEP_1)
	v_dual_mul_f32 v16, v17, v23 :: v_dual_mov_b32 v135, 0x80
	s_mov_b32 s23, exec_lo
	v_and_b32_e32 v23, 0x7f800000, v16
	s_delay_alu instid0(VALU_DEP_1)
	v_cmpx_ne_u32_e32 0x7f800000, v23
	s_cbranch_execz .LBB6_8336
; %bb.8329:                             ;   in Loop: Header=BB6_8134 Depth=2
	v_mov_b32_e32 v135, 0
	s_mov_b32 s24, exec_lo
	v_cmpx_ne_u32_e32 0, v16
	s_cbranch_execz .LBB6_8335
; %bb.8330:                             ;   in Loop: Header=BB6_8134 Depth=2
	v_bfe_u32 v23, v16, 23, 8
	v_and_b32_e32 v25, 0x7fffff, v16
	s_delay_alu instid0(VALU_DEP_2) | instskip(SKIP_1) | instid1(VALU_DEP_3)
	v_sub_nc_u32_e32 v64, 0x78, v23
	v_cmp_gt_u32_e32 vcc_lo, 0x79, v23
	v_or_b32_e32 v65, 0x800000, v25
	s_delay_alu instid0(VALU_DEP_3) | instskip(SKIP_2) | instid1(VALU_DEP_4)
	v_cndmask_b32_e32 v64, 0, v64, vcc_lo
	v_cmp_eq_u32_e32 vcc_lo, 0, v23
	v_add_nc_u32_e32 v23, 0xffffff89, v23
	v_cndmask_b32_e32 v25, v65, v25, vcc_lo
	s_delay_alu instid0(VALU_DEP_4) | instskip(NEXT) | instid1(VALU_DEP_3)
	v_cndmask_b32_e64 v64, v64, 0x77, vcc_lo
	v_cndmask_b32_e64 v23, v23, 0xffffff8a, vcc_lo
	s_delay_alu instid0(VALU_DEP_2) | instskip(SKIP_2) | instid1(VALU_DEP_4)
	v_lshrrev_b32_e32 v66, v64, v25
	v_lshl_add_u32 v65, 0x100000, v64, -1
	v_lshlrev_b32_e64 v69, v64, 0x80000
	v_add_nc_u32_e32 v64, v64, v23
	s_delay_alu instid0(VALU_DEP_4) | instskip(NEXT) | instid1(VALU_DEP_4)
	v_bfe_u32 v68, v66, 20, 1
	v_and_b32_e32 v25, v65, v25
	s_delay_alu instid0(VALU_DEP_2) | instskip(NEXT) | instid1(VALU_DEP_2)
	v_add_nc_u32_e32 v65, -1, v68
	v_cmp_eq_u32_e64 s7, v25, v69
	s_delay_alu instid0(VALU_DEP_1) | instskip(SKIP_2) | instid1(VALU_DEP_2)
	v_cndmask_b32_e64 v25, 0, v65, s7
	v_lshrrev_b32_e32 v65, 23, v66
	s_mov_b32 s7, exec_lo
	v_add_nc_u32_e32 v25, v25, v66
	s_delay_alu instid0(VALU_DEP_2) | instskip(NEXT) | instid1(VALU_DEP_2)
	v_xor_b32_e32 v65, 1, v65
	v_and_b32_e32 v23, 0xfffff, v25
	s_delay_alu instid0(VALU_DEP_1) | instskip(NEXT) | instid1(VALU_DEP_3)
	v_add_nc_u32_e32 v25, v23, v66
                                        ; implicit-def: $vgpr23
	v_cmpx_ne_u32_e64 v64, v65
	s_xor_b32 s7, exec_lo, s7
; %bb.8331:                             ;   in Loop: Header=BB6_8134 Depth=2
	s_delay_alu instid0(VALU_DEP_2) | instskip(SKIP_2) | instid1(VALU_DEP_2)
	v_cmp_lt_u32_e32 vcc_lo, 0xffffff, v25
	v_sub_nc_u32_e32 v23, v64, v65
	v_cndmask_b32_e64 v64, 0, 1, vcc_lo
	v_add_co_ci_u32_e32 v23, vcc_lo, 0, v23, vcc_lo
	s_delay_alu instid0(VALU_DEP_2)
	v_lshrrev_b32_e32 v25, v64, v25
; %bb.8332:                             ;   in Loop: Header=BB6_8134 Depth=2
	s_and_not1_saveexec_b32 s7, s7
; %bb.8333:                             ;   in Loop: Header=BB6_8134 Depth=2
	s_delay_alu instid0(VALU_DEP_1)
	v_bfe_u32 v23, v25, 23, 1
; %bb.8334:                             ;   in Loop: Header=BB6_8134 Depth=2
	s_or_b32 exec_lo, exec_lo, s7
	v_lshrrev_b32_e32 v25, 20, v25
	s_delay_alu instid0(VALU_DEP_2) | instskip(SKIP_2) | instid1(VALU_DEP_2)
	v_cmp_gt_i32_e32 vcc_lo, 16, v23
	v_lshrrev_b32_e32 v16, 24, v16
	v_min_i32_e32 v64, 15, v23
	v_dual_cndmask_b32 v25, 7, v25 :: v_dual_and_b32 v16, 0x80, v16
	s_delay_alu instid0(VALU_DEP_2) | instskip(NEXT) | instid1(VALU_DEP_2)
	v_lshlrev_b32_e32 v64, 3, v64
	v_and_b32_e32 v65, 7, v25
	v_or_b32_e32 v23, v23, v25
	s_delay_alu instid0(VALU_DEP_2) | instskip(NEXT) | instid1(VALU_DEP_2)
	v_or3_b32 v16, v64, v16, v65
	v_cmp_ne_u32_e32 vcc_lo, 0, v23
	s_delay_alu instid0(VALU_DEP_2)
	v_cndmask_b32_e32 v135, 0, v16, vcc_lo
.LBB6_8335:                             ;   in Loop: Header=BB6_8134 Depth=2
	s_or_b32 exec_lo, exec_lo, s24
.LBB6_8336:                             ;   in Loop: Header=BB6_8134 Depth=2
	s_delay_alu instid0(SALU_CYCLE_1)
	s_or_b32 exec_lo, exec_lo, s23
	flat_load_u8 v16, v[10:11] offset:512 slc dlc
	s_mov_b32 s7, 0
	s_mov_b32 s24, exec_lo
                                        ; implicit-def: $sgpr23
	s_waitcnt vmcnt(0) lgkmcnt(0)
	v_cmpx_lt_i16_e32 0x7f, v16
	s_xor_b32 s24, exec_lo, s24
	s_cbranch_execnz .LBB6_9105
; %bb.8337:                             ;   in Loop: Header=BB6_8134 Depth=2
	s_or_saveexec_b32 s24, s24
	v_mov_b32_e32 v23, s23
	s_xor_b32 exec_lo, exec_lo, s24
	s_cbranch_execnz .LBB6_9108
.LBB6_8338:                             ;   in Loop: Header=BB6_8134 Depth=2
	s_or_b32 exec_lo, exec_lo, s24
	s_and_saveexec_b32 s23, s7
	s_cbranch_execz .LBB6_8340
.LBB6_8339:                             ;   in Loop: Header=BB6_8134 Depth=2
	v_and_b32_e32 v23, 0xffff, v16
	s_delay_alu instid0(VALU_DEP_1) | instskip(NEXT) | instid1(VALU_DEP_1)
	v_and_b32_e32 v25, 7, v23
	v_clz_i32_u32_e32 v64, v25
	s_delay_alu instid0(VALU_DEP_1) | instskip(NEXT) | instid1(VALU_DEP_1)
	v_min_u32_e32 v64, 32, v64
	v_subrev_nc_u32_e32 v65, 28, v64
	v_sub_nc_u32_e32 v64, 29, v64
	s_delay_alu instid0(VALU_DEP_2) | instskip(SKIP_1) | instid1(VALU_DEP_2)
	v_lshlrev_b32_e32 v65, v65, v23
	v_bfe_u32 v23, v23, 3, 4
	v_and_b32_e32 v65, 7, v65
	s_delay_alu instid0(VALU_DEP_2) | instskip(NEXT) | instid1(VALU_DEP_2)
	v_cmp_eq_u32_e32 vcc_lo, 0, v23
	v_dual_cndmask_b32 v25, v25, v65 :: v_dual_lshlrev_b32 v16, 24, v16
	v_cndmask_b32_e32 v23, v23, v64, vcc_lo
	s_delay_alu instid0(VALU_DEP_2) | instskip(NEXT) | instid1(VALU_DEP_3)
	v_and_b32_e32 v16, 0x80000000, v16
	v_lshlrev_b32_e32 v25, 20, v25
	s_delay_alu instid0(VALU_DEP_3) | instskip(NEXT) | instid1(VALU_DEP_1)
	v_lshl_add_u32 v23, v23, 23, 0x3b800000
	v_or3_b32 v23, v16, v23, v25
.LBB6_8340:                             ;   in Loop: Header=BB6_8134 Depth=2
	s_or_b32 exec_lo, exec_lo, s23
	s_delay_alu instid0(VALU_DEP_1) | instskip(SKIP_1) | instid1(VALU_DEP_1)
	v_dual_mul_f32 v16, v17, v23 :: v_dual_mov_b32 v133, 0x80
	s_mov_b32 s23, exec_lo
	v_and_b32_e32 v23, 0x7f800000, v16
	s_delay_alu instid0(VALU_DEP_1)
	v_cmpx_ne_u32_e32 0x7f800000, v23
	s_cbranch_execz .LBB6_8348
; %bb.8341:                             ;   in Loop: Header=BB6_8134 Depth=2
	v_mov_b32_e32 v133, 0
	s_mov_b32 s24, exec_lo
	v_cmpx_ne_u32_e32 0, v16
	s_cbranch_execz .LBB6_8347
; %bb.8342:                             ;   in Loop: Header=BB6_8134 Depth=2
	v_bfe_u32 v23, v16, 23, 8
	v_and_b32_e32 v25, 0x7fffff, v16
	s_delay_alu instid0(VALU_DEP_2) | instskip(SKIP_1) | instid1(VALU_DEP_3)
	v_sub_nc_u32_e32 v64, 0x78, v23
	v_cmp_gt_u32_e32 vcc_lo, 0x79, v23
	v_or_b32_e32 v65, 0x800000, v25
	s_delay_alu instid0(VALU_DEP_3) | instskip(SKIP_2) | instid1(VALU_DEP_4)
	v_cndmask_b32_e32 v64, 0, v64, vcc_lo
	v_cmp_eq_u32_e32 vcc_lo, 0, v23
	v_add_nc_u32_e32 v23, 0xffffff89, v23
	v_cndmask_b32_e32 v25, v65, v25, vcc_lo
	s_delay_alu instid0(VALU_DEP_4) | instskip(NEXT) | instid1(VALU_DEP_3)
	v_cndmask_b32_e64 v64, v64, 0x77, vcc_lo
	v_cndmask_b32_e64 v23, v23, 0xffffff8a, vcc_lo
	s_delay_alu instid0(VALU_DEP_2) | instskip(SKIP_2) | instid1(VALU_DEP_4)
	v_lshrrev_b32_e32 v66, v64, v25
	v_lshl_add_u32 v65, 0x100000, v64, -1
	v_lshlrev_b32_e64 v69, v64, 0x80000
	v_add_nc_u32_e32 v64, v64, v23
	s_delay_alu instid0(VALU_DEP_4) | instskip(NEXT) | instid1(VALU_DEP_4)
	v_bfe_u32 v68, v66, 20, 1
	v_and_b32_e32 v25, v65, v25
	s_delay_alu instid0(VALU_DEP_2) | instskip(NEXT) | instid1(VALU_DEP_2)
	v_add_nc_u32_e32 v65, -1, v68
	v_cmp_eq_u32_e64 s7, v25, v69
	s_delay_alu instid0(VALU_DEP_1) | instskip(SKIP_2) | instid1(VALU_DEP_2)
	v_cndmask_b32_e64 v25, 0, v65, s7
	v_lshrrev_b32_e32 v65, 23, v66
	s_mov_b32 s7, exec_lo
	v_add_nc_u32_e32 v25, v25, v66
	s_delay_alu instid0(VALU_DEP_2) | instskip(NEXT) | instid1(VALU_DEP_2)
	v_xor_b32_e32 v65, 1, v65
	v_and_b32_e32 v23, 0xfffff, v25
	s_delay_alu instid0(VALU_DEP_1) | instskip(NEXT) | instid1(VALU_DEP_3)
	v_add_nc_u32_e32 v25, v23, v66
                                        ; implicit-def: $vgpr23
	v_cmpx_ne_u32_e64 v64, v65
	s_xor_b32 s7, exec_lo, s7
; %bb.8343:                             ;   in Loop: Header=BB6_8134 Depth=2
	s_delay_alu instid0(VALU_DEP_2) | instskip(SKIP_2) | instid1(VALU_DEP_2)
	v_cmp_lt_u32_e32 vcc_lo, 0xffffff, v25
	v_sub_nc_u32_e32 v23, v64, v65
	v_cndmask_b32_e64 v64, 0, 1, vcc_lo
	v_add_co_ci_u32_e32 v23, vcc_lo, 0, v23, vcc_lo
	s_delay_alu instid0(VALU_DEP_2)
	v_lshrrev_b32_e32 v25, v64, v25
; %bb.8344:                             ;   in Loop: Header=BB6_8134 Depth=2
	s_and_not1_saveexec_b32 s7, s7
; %bb.8345:                             ;   in Loop: Header=BB6_8134 Depth=2
	s_delay_alu instid0(VALU_DEP_1)
	v_bfe_u32 v23, v25, 23, 1
; %bb.8346:                             ;   in Loop: Header=BB6_8134 Depth=2
	s_or_b32 exec_lo, exec_lo, s7
	v_lshrrev_b32_e32 v25, 20, v25
	s_delay_alu instid0(VALU_DEP_2) | instskip(SKIP_2) | instid1(VALU_DEP_2)
	v_cmp_gt_i32_e32 vcc_lo, 16, v23
	v_lshrrev_b32_e32 v16, 24, v16
	v_min_i32_e32 v64, 15, v23
	v_dual_cndmask_b32 v25, 7, v25 :: v_dual_and_b32 v16, 0x80, v16
	s_delay_alu instid0(VALU_DEP_2) | instskip(NEXT) | instid1(VALU_DEP_2)
	v_lshlrev_b32_e32 v64, 3, v64
	v_and_b32_e32 v65, 7, v25
	v_or_b32_e32 v23, v23, v25
	s_delay_alu instid0(VALU_DEP_2) | instskip(NEXT) | instid1(VALU_DEP_2)
	v_or3_b32 v16, v64, v16, v65
	v_cmp_ne_u32_e32 vcc_lo, 0, v23
	s_delay_alu instid0(VALU_DEP_2)
	v_cndmask_b32_e32 v133, 0, v16, vcc_lo
.LBB6_8347:                             ;   in Loop: Header=BB6_8134 Depth=2
	s_or_b32 exec_lo, exec_lo, s24
.LBB6_8348:                             ;   in Loop: Header=BB6_8134 Depth=2
	s_delay_alu instid0(SALU_CYCLE_1)
	s_or_b32 exec_lo, exec_lo, s23
	flat_load_u8 v16, v[10:11] offset:544 slc dlc
	s_mov_b32 s7, 0
	s_mov_b32 s24, exec_lo
                                        ; implicit-def: $sgpr23
	s_waitcnt vmcnt(0) lgkmcnt(0)
	v_cmpx_lt_i16_e32 0x7f, v16
	s_xor_b32 s24, exec_lo, s24
	s_cbranch_execnz .LBB6_9109
; %bb.8349:                             ;   in Loop: Header=BB6_8134 Depth=2
	s_or_saveexec_b32 s24, s24
	v_mov_b32_e32 v23, s23
	s_xor_b32 exec_lo, exec_lo, s24
	s_cbranch_execnz .LBB6_9112
.LBB6_8350:                             ;   in Loop: Header=BB6_8134 Depth=2
	s_or_b32 exec_lo, exec_lo, s24
	s_and_saveexec_b32 s23, s7
	s_cbranch_execz .LBB6_8352
.LBB6_8351:                             ;   in Loop: Header=BB6_8134 Depth=2
	v_and_b32_e32 v23, 0xffff, v16
	s_delay_alu instid0(VALU_DEP_1) | instskip(NEXT) | instid1(VALU_DEP_1)
	v_and_b32_e32 v25, 7, v23
	v_clz_i32_u32_e32 v64, v25
	s_delay_alu instid0(VALU_DEP_1) | instskip(NEXT) | instid1(VALU_DEP_1)
	v_min_u32_e32 v64, 32, v64
	v_subrev_nc_u32_e32 v65, 28, v64
	v_sub_nc_u32_e32 v64, 29, v64
	s_delay_alu instid0(VALU_DEP_2) | instskip(SKIP_1) | instid1(VALU_DEP_2)
	v_lshlrev_b32_e32 v65, v65, v23
	v_bfe_u32 v23, v23, 3, 4
	v_and_b32_e32 v65, 7, v65
	s_delay_alu instid0(VALU_DEP_2) | instskip(NEXT) | instid1(VALU_DEP_2)
	v_cmp_eq_u32_e32 vcc_lo, 0, v23
	v_dual_cndmask_b32 v25, v25, v65 :: v_dual_lshlrev_b32 v16, 24, v16
	v_cndmask_b32_e32 v23, v23, v64, vcc_lo
	s_delay_alu instid0(VALU_DEP_2) | instskip(NEXT) | instid1(VALU_DEP_3)
	v_and_b32_e32 v16, 0x80000000, v16
	v_lshlrev_b32_e32 v25, 20, v25
	s_delay_alu instid0(VALU_DEP_3) | instskip(NEXT) | instid1(VALU_DEP_1)
	v_lshl_add_u32 v23, v23, 23, 0x3b800000
	v_or3_b32 v23, v16, v23, v25
.LBB6_8352:                             ;   in Loop: Header=BB6_8134 Depth=2
	s_or_b32 exec_lo, exec_lo, s23
	s_delay_alu instid0(VALU_DEP_1) | instskip(SKIP_2) | instid1(VALU_DEP_2)
	v_mul_f32_e32 v16, v17, v23
	v_mov_b32_e32 v132, 0x80
	s_mov_b32 s23, exec_lo
	v_and_b32_e32 v23, 0x7f800000, v16
	s_delay_alu instid0(VALU_DEP_1)
	v_cmpx_ne_u32_e32 0x7f800000, v23
	s_cbranch_execz .LBB6_8360
; %bb.8353:                             ;   in Loop: Header=BB6_8134 Depth=2
	v_mov_b32_e32 v132, 0
	s_mov_b32 s24, exec_lo
	v_cmpx_ne_u32_e32 0, v16
	s_cbranch_execz .LBB6_8359
; %bb.8354:                             ;   in Loop: Header=BB6_8134 Depth=2
	v_bfe_u32 v23, v16, 23, 8
	v_and_b32_e32 v25, 0x7fffff, v16
	s_delay_alu instid0(VALU_DEP_2) | instskip(SKIP_1) | instid1(VALU_DEP_3)
	v_sub_nc_u32_e32 v64, 0x78, v23
	v_cmp_gt_u32_e32 vcc_lo, 0x79, v23
	v_or_b32_e32 v65, 0x800000, v25
	s_delay_alu instid0(VALU_DEP_3) | instskip(SKIP_2) | instid1(VALU_DEP_4)
	v_cndmask_b32_e32 v64, 0, v64, vcc_lo
	v_cmp_eq_u32_e32 vcc_lo, 0, v23
	v_add_nc_u32_e32 v23, 0xffffff89, v23
	v_cndmask_b32_e32 v25, v65, v25, vcc_lo
	s_delay_alu instid0(VALU_DEP_4) | instskip(NEXT) | instid1(VALU_DEP_3)
	v_cndmask_b32_e64 v64, v64, 0x77, vcc_lo
	v_cndmask_b32_e64 v23, v23, 0xffffff8a, vcc_lo
	s_delay_alu instid0(VALU_DEP_2) | instskip(SKIP_2) | instid1(VALU_DEP_4)
	v_lshrrev_b32_e32 v66, v64, v25
	v_lshl_add_u32 v65, 0x100000, v64, -1
	v_lshlrev_b32_e64 v69, v64, 0x80000
	v_add_nc_u32_e32 v64, v64, v23
	s_delay_alu instid0(VALU_DEP_4) | instskip(NEXT) | instid1(VALU_DEP_4)
	v_bfe_u32 v68, v66, 20, 1
	v_and_b32_e32 v25, v65, v25
	s_delay_alu instid0(VALU_DEP_2) | instskip(NEXT) | instid1(VALU_DEP_2)
	v_add_nc_u32_e32 v65, -1, v68
	v_cmp_eq_u32_e64 s7, v25, v69
	s_delay_alu instid0(VALU_DEP_1) | instskip(SKIP_2) | instid1(VALU_DEP_2)
	v_cndmask_b32_e64 v25, 0, v65, s7
	v_lshrrev_b32_e32 v65, 23, v66
	s_mov_b32 s7, exec_lo
	v_add_nc_u32_e32 v25, v25, v66
	s_delay_alu instid0(VALU_DEP_2) | instskip(NEXT) | instid1(VALU_DEP_2)
	v_xor_b32_e32 v65, 1, v65
	v_and_b32_e32 v23, 0xfffff, v25
	s_delay_alu instid0(VALU_DEP_1) | instskip(NEXT) | instid1(VALU_DEP_3)
	v_add_nc_u32_e32 v25, v23, v66
                                        ; implicit-def: $vgpr23
	v_cmpx_ne_u32_e64 v64, v65
	s_xor_b32 s7, exec_lo, s7
; %bb.8355:                             ;   in Loop: Header=BB6_8134 Depth=2
	s_delay_alu instid0(VALU_DEP_2) | instskip(SKIP_2) | instid1(VALU_DEP_2)
	v_cmp_lt_u32_e32 vcc_lo, 0xffffff, v25
	v_sub_nc_u32_e32 v23, v64, v65
	v_cndmask_b32_e64 v64, 0, 1, vcc_lo
	v_add_co_ci_u32_e32 v23, vcc_lo, 0, v23, vcc_lo
	s_delay_alu instid0(VALU_DEP_2)
	v_lshrrev_b32_e32 v25, v64, v25
; %bb.8356:                             ;   in Loop: Header=BB6_8134 Depth=2
	s_and_not1_saveexec_b32 s7, s7
; %bb.8357:                             ;   in Loop: Header=BB6_8134 Depth=2
	s_delay_alu instid0(VALU_DEP_1)
	v_bfe_u32 v23, v25, 23, 1
; %bb.8358:                             ;   in Loop: Header=BB6_8134 Depth=2
	s_or_b32 exec_lo, exec_lo, s7
	v_lshrrev_b32_e32 v25, 20, v25
	s_delay_alu instid0(VALU_DEP_2) | instskip(SKIP_2) | instid1(VALU_DEP_2)
	v_cmp_gt_i32_e32 vcc_lo, 16, v23
	v_lshrrev_b32_e32 v16, 24, v16
	v_min_i32_e32 v64, 15, v23
	v_dual_cndmask_b32 v25, 7, v25 :: v_dual_and_b32 v16, 0x80, v16
	s_delay_alu instid0(VALU_DEP_2) | instskip(NEXT) | instid1(VALU_DEP_2)
	v_lshlrev_b32_e32 v64, 3, v64
	v_or_b32_e32 v23, v23, v25
	s_delay_alu instid0(VALU_DEP_1) | instskip(SKIP_1) | instid1(VALU_DEP_1)
	v_cmp_ne_u32_e32 vcc_lo, 0, v23
	v_and_b32_e32 v65, 7, v25
	v_or3_b32 v16, v64, v16, v65
	s_delay_alu instid0(VALU_DEP_1)
	v_cndmask_b32_e32 v132, 0, v16, vcc_lo
.LBB6_8359:                             ;   in Loop: Header=BB6_8134 Depth=2
	s_or_b32 exec_lo, exec_lo, s24
.LBB6_8360:                             ;   in Loop: Header=BB6_8134 Depth=2
	s_delay_alu instid0(SALU_CYCLE_1)
	s_or_b32 exec_lo, exec_lo, s23
	flat_load_u8 v16, v[10:11] offset:576 slc dlc
	s_mov_b32 s7, 0
	s_mov_b32 s24, exec_lo
                                        ; implicit-def: $sgpr23
	s_waitcnt vmcnt(0) lgkmcnt(0)
	v_cmpx_lt_i16_e32 0x7f, v16
	s_xor_b32 s24, exec_lo, s24
	s_cbranch_execnz .LBB6_9113
; %bb.8361:                             ;   in Loop: Header=BB6_8134 Depth=2
	s_or_saveexec_b32 s24, s24
	v_mov_b32_e32 v23, s23
	s_xor_b32 exec_lo, exec_lo, s24
	s_cbranch_execnz .LBB6_9116
.LBB6_8362:                             ;   in Loop: Header=BB6_8134 Depth=2
	s_or_b32 exec_lo, exec_lo, s24
	s_and_saveexec_b32 s23, s7
	s_cbranch_execz .LBB6_8364
.LBB6_8363:                             ;   in Loop: Header=BB6_8134 Depth=2
	v_and_b32_e32 v23, 0xffff, v16
	s_delay_alu instid0(VALU_DEP_1) | instskip(NEXT) | instid1(VALU_DEP_1)
	v_and_b32_e32 v25, 7, v23
	v_clz_i32_u32_e32 v64, v25
	s_delay_alu instid0(VALU_DEP_1) | instskip(NEXT) | instid1(VALU_DEP_1)
	v_min_u32_e32 v64, 32, v64
	v_subrev_nc_u32_e32 v65, 28, v64
	v_sub_nc_u32_e32 v64, 29, v64
	s_delay_alu instid0(VALU_DEP_2) | instskip(SKIP_1) | instid1(VALU_DEP_2)
	v_lshlrev_b32_e32 v65, v65, v23
	v_bfe_u32 v23, v23, 3, 4
	v_and_b32_e32 v65, 7, v65
	s_delay_alu instid0(VALU_DEP_2) | instskip(NEXT) | instid1(VALU_DEP_2)
	v_cmp_eq_u32_e32 vcc_lo, 0, v23
	v_dual_cndmask_b32 v25, v25, v65 :: v_dual_lshlrev_b32 v16, 24, v16
	v_cndmask_b32_e32 v23, v23, v64, vcc_lo
	s_delay_alu instid0(VALU_DEP_2) | instskip(NEXT) | instid1(VALU_DEP_3)
	v_and_b32_e32 v16, 0x80000000, v16
	v_lshlrev_b32_e32 v25, 20, v25
	s_delay_alu instid0(VALU_DEP_3) | instskip(NEXT) | instid1(VALU_DEP_1)
	v_lshl_add_u32 v23, v23, 23, 0x3b800000
	v_or3_b32 v23, v16, v23, v25
.LBB6_8364:                             ;   in Loop: Header=BB6_8134 Depth=2
	s_or_b32 exec_lo, exec_lo, s23
	s_delay_alu instid0(VALU_DEP_1) | instskip(SKIP_2) | instid1(VALU_DEP_2)
	v_mul_f32_e32 v16, v17, v23
	v_mov_b32_e32 v130, 0x80
	s_mov_b32 s23, exec_lo
	v_and_b32_e32 v23, 0x7f800000, v16
	s_delay_alu instid0(VALU_DEP_1)
	v_cmpx_ne_u32_e32 0x7f800000, v23
	s_cbranch_execz .LBB6_8372
; %bb.8365:                             ;   in Loop: Header=BB6_8134 Depth=2
	v_mov_b32_e32 v130, 0
	s_mov_b32 s24, exec_lo
	v_cmpx_ne_u32_e32 0, v16
	s_cbranch_execz .LBB6_8371
; %bb.8366:                             ;   in Loop: Header=BB6_8134 Depth=2
	v_bfe_u32 v23, v16, 23, 8
	v_and_b32_e32 v25, 0x7fffff, v16
	s_delay_alu instid0(VALU_DEP_2) | instskip(SKIP_1) | instid1(VALU_DEP_3)
	v_sub_nc_u32_e32 v64, 0x78, v23
	v_cmp_gt_u32_e32 vcc_lo, 0x79, v23
	v_or_b32_e32 v65, 0x800000, v25
	s_delay_alu instid0(VALU_DEP_3) | instskip(SKIP_2) | instid1(VALU_DEP_4)
	v_cndmask_b32_e32 v64, 0, v64, vcc_lo
	v_cmp_eq_u32_e32 vcc_lo, 0, v23
	v_add_nc_u32_e32 v23, 0xffffff89, v23
	v_cndmask_b32_e32 v25, v65, v25, vcc_lo
	s_delay_alu instid0(VALU_DEP_4) | instskip(NEXT) | instid1(VALU_DEP_3)
	v_cndmask_b32_e64 v64, v64, 0x77, vcc_lo
	v_cndmask_b32_e64 v23, v23, 0xffffff8a, vcc_lo
	s_delay_alu instid0(VALU_DEP_2) | instskip(SKIP_2) | instid1(VALU_DEP_4)
	v_lshrrev_b32_e32 v66, v64, v25
	v_lshl_add_u32 v65, 0x100000, v64, -1
	v_lshlrev_b32_e64 v69, v64, 0x80000
	v_add_nc_u32_e32 v64, v64, v23
	s_delay_alu instid0(VALU_DEP_4) | instskip(NEXT) | instid1(VALU_DEP_4)
	v_bfe_u32 v68, v66, 20, 1
	v_and_b32_e32 v25, v65, v25
	s_delay_alu instid0(VALU_DEP_2) | instskip(NEXT) | instid1(VALU_DEP_2)
	v_add_nc_u32_e32 v65, -1, v68
	v_cmp_eq_u32_e64 s7, v25, v69
	s_delay_alu instid0(VALU_DEP_1) | instskip(SKIP_2) | instid1(VALU_DEP_2)
	v_cndmask_b32_e64 v25, 0, v65, s7
	v_lshrrev_b32_e32 v65, 23, v66
	s_mov_b32 s7, exec_lo
	v_add_nc_u32_e32 v25, v25, v66
	s_delay_alu instid0(VALU_DEP_2) | instskip(NEXT) | instid1(VALU_DEP_2)
	v_xor_b32_e32 v65, 1, v65
	v_and_b32_e32 v23, 0xfffff, v25
	s_delay_alu instid0(VALU_DEP_1) | instskip(NEXT) | instid1(VALU_DEP_3)
	v_add_nc_u32_e32 v25, v23, v66
                                        ; implicit-def: $vgpr23
	v_cmpx_ne_u32_e64 v64, v65
	s_xor_b32 s7, exec_lo, s7
; %bb.8367:                             ;   in Loop: Header=BB6_8134 Depth=2
	s_delay_alu instid0(VALU_DEP_2) | instskip(SKIP_2) | instid1(VALU_DEP_2)
	v_cmp_lt_u32_e32 vcc_lo, 0xffffff, v25
	v_sub_nc_u32_e32 v23, v64, v65
	v_cndmask_b32_e64 v64, 0, 1, vcc_lo
	v_add_co_ci_u32_e32 v23, vcc_lo, 0, v23, vcc_lo
	s_delay_alu instid0(VALU_DEP_2)
	v_lshrrev_b32_e32 v25, v64, v25
; %bb.8368:                             ;   in Loop: Header=BB6_8134 Depth=2
	s_and_not1_saveexec_b32 s7, s7
; %bb.8369:                             ;   in Loop: Header=BB6_8134 Depth=2
	s_delay_alu instid0(VALU_DEP_1)
	v_bfe_u32 v23, v25, 23, 1
; %bb.8370:                             ;   in Loop: Header=BB6_8134 Depth=2
	s_or_b32 exec_lo, exec_lo, s7
	v_lshrrev_b32_e32 v25, 20, v25
	s_delay_alu instid0(VALU_DEP_2) | instskip(SKIP_2) | instid1(VALU_DEP_2)
	v_cmp_gt_i32_e32 vcc_lo, 16, v23
	v_lshrrev_b32_e32 v16, 24, v16
	v_min_i32_e32 v64, 15, v23
	v_dual_cndmask_b32 v25, 7, v25 :: v_dual_and_b32 v16, 0x80, v16
	s_delay_alu instid0(VALU_DEP_2) | instskip(NEXT) | instid1(VALU_DEP_2)
	v_lshlrev_b32_e32 v64, 3, v64
	v_or_b32_e32 v23, v23, v25
	s_delay_alu instid0(VALU_DEP_1) | instskip(SKIP_1) | instid1(VALU_DEP_1)
	v_cmp_ne_u32_e32 vcc_lo, 0, v23
	v_and_b32_e32 v65, 7, v25
	v_or3_b32 v16, v64, v16, v65
	s_delay_alu instid0(VALU_DEP_1)
	v_cndmask_b32_e32 v130, 0, v16, vcc_lo
.LBB6_8371:                             ;   in Loop: Header=BB6_8134 Depth=2
	s_or_b32 exec_lo, exec_lo, s24
.LBB6_8372:                             ;   in Loop: Header=BB6_8134 Depth=2
	s_delay_alu instid0(SALU_CYCLE_1)
	s_or_b32 exec_lo, exec_lo, s23
	flat_load_u8 v16, v[10:11] offset:608 slc dlc
	s_mov_b32 s7, 0
	s_mov_b32 s24, exec_lo
                                        ; implicit-def: $sgpr23
	s_waitcnt vmcnt(0) lgkmcnt(0)
	v_cmpx_lt_i16_e32 0x7f, v16
	s_xor_b32 s24, exec_lo, s24
	s_cbranch_execnz .LBB6_9117
; %bb.8373:                             ;   in Loop: Header=BB6_8134 Depth=2
	s_or_saveexec_b32 s24, s24
	v_mov_b32_e32 v23, s23
	s_xor_b32 exec_lo, exec_lo, s24
	s_cbranch_execnz .LBB6_9120
.LBB6_8374:                             ;   in Loop: Header=BB6_8134 Depth=2
	s_or_b32 exec_lo, exec_lo, s24
	s_and_saveexec_b32 s23, s7
	s_cbranch_execz .LBB6_8376
.LBB6_8375:                             ;   in Loop: Header=BB6_8134 Depth=2
	v_and_b32_e32 v23, 0xffff, v16
	s_delay_alu instid0(VALU_DEP_1) | instskip(NEXT) | instid1(VALU_DEP_1)
	v_and_b32_e32 v25, 7, v23
	v_clz_i32_u32_e32 v64, v25
	s_delay_alu instid0(VALU_DEP_1) | instskip(NEXT) | instid1(VALU_DEP_1)
	v_min_u32_e32 v64, 32, v64
	v_subrev_nc_u32_e32 v65, 28, v64
	v_sub_nc_u32_e32 v64, 29, v64
	s_delay_alu instid0(VALU_DEP_2) | instskip(SKIP_1) | instid1(VALU_DEP_2)
	v_lshlrev_b32_e32 v65, v65, v23
	v_bfe_u32 v23, v23, 3, 4
	v_and_b32_e32 v65, 7, v65
	s_delay_alu instid0(VALU_DEP_2) | instskip(NEXT) | instid1(VALU_DEP_2)
	v_cmp_eq_u32_e32 vcc_lo, 0, v23
	v_dual_cndmask_b32 v25, v25, v65 :: v_dual_lshlrev_b32 v16, 24, v16
	v_cndmask_b32_e32 v23, v23, v64, vcc_lo
	s_delay_alu instid0(VALU_DEP_2) | instskip(NEXT) | instid1(VALU_DEP_3)
	v_and_b32_e32 v16, 0x80000000, v16
	v_lshlrev_b32_e32 v25, 20, v25
	s_delay_alu instid0(VALU_DEP_3) | instskip(NEXT) | instid1(VALU_DEP_1)
	v_lshl_add_u32 v23, v23, 23, 0x3b800000
	v_or3_b32 v23, v16, v23, v25
.LBB6_8376:                             ;   in Loop: Header=BB6_8134 Depth=2
	s_or_b32 exec_lo, exec_lo, s23
	s_delay_alu instid0(VALU_DEP_1) | instskip(SKIP_2) | instid1(VALU_DEP_2)
	v_mul_f32_e32 v16, v17, v23
	v_mov_b32_e32 v128, 0x80
	s_mov_b32 s23, exec_lo
	v_and_b32_e32 v23, 0x7f800000, v16
	s_delay_alu instid0(VALU_DEP_1)
	v_cmpx_ne_u32_e32 0x7f800000, v23
	s_cbranch_execz .LBB6_8384
; %bb.8377:                             ;   in Loop: Header=BB6_8134 Depth=2
	v_mov_b32_e32 v128, 0
	s_mov_b32 s24, exec_lo
	v_cmpx_ne_u32_e32 0, v16
	s_cbranch_execz .LBB6_8383
; %bb.8378:                             ;   in Loop: Header=BB6_8134 Depth=2
	v_bfe_u32 v23, v16, 23, 8
	v_and_b32_e32 v25, 0x7fffff, v16
	s_delay_alu instid0(VALU_DEP_2) | instskip(SKIP_1) | instid1(VALU_DEP_3)
	v_sub_nc_u32_e32 v64, 0x78, v23
	v_cmp_gt_u32_e32 vcc_lo, 0x79, v23
	v_or_b32_e32 v65, 0x800000, v25
	s_delay_alu instid0(VALU_DEP_3) | instskip(SKIP_2) | instid1(VALU_DEP_4)
	v_cndmask_b32_e32 v64, 0, v64, vcc_lo
	v_cmp_eq_u32_e32 vcc_lo, 0, v23
	v_add_nc_u32_e32 v23, 0xffffff89, v23
	v_cndmask_b32_e32 v25, v65, v25, vcc_lo
	s_delay_alu instid0(VALU_DEP_4) | instskip(NEXT) | instid1(VALU_DEP_3)
	v_cndmask_b32_e64 v64, v64, 0x77, vcc_lo
	v_cndmask_b32_e64 v23, v23, 0xffffff8a, vcc_lo
	s_delay_alu instid0(VALU_DEP_2) | instskip(SKIP_2) | instid1(VALU_DEP_4)
	v_lshrrev_b32_e32 v66, v64, v25
	v_lshl_add_u32 v65, 0x100000, v64, -1
	v_lshlrev_b32_e64 v69, v64, 0x80000
	v_add_nc_u32_e32 v64, v64, v23
	s_delay_alu instid0(VALU_DEP_4) | instskip(NEXT) | instid1(VALU_DEP_4)
	v_bfe_u32 v68, v66, 20, 1
	v_and_b32_e32 v25, v65, v25
	s_delay_alu instid0(VALU_DEP_2) | instskip(NEXT) | instid1(VALU_DEP_2)
	v_add_nc_u32_e32 v65, -1, v68
	v_cmp_eq_u32_e64 s7, v25, v69
	s_delay_alu instid0(VALU_DEP_1) | instskip(SKIP_2) | instid1(VALU_DEP_2)
	v_cndmask_b32_e64 v25, 0, v65, s7
	v_lshrrev_b32_e32 v65, 23, v66
	s_mov_b32 s7, exec_lo
	v_add_nc_u32_e32 v25, v25, v66
	s_delay_alu instid0(VALU_DEP_2) | instskip(NEXT) | instid1(VALU_DEP_2)
	v_xor_b32_e32 v65, 1, v65
	v_and_b32_e32 v23, 0xfffff, v25
	s_delay_alu instid0(VALU_DEP_1) | instskip(NEXT) | instid1(VALU_DEP_3)
	v_add_nc_u32_e32 v25, v23, v66
                                        ; implicit-def: $vgpr23
	v_cmpx_ne_u32_e64 v64, v65
	s_xor_b32 s7, exec_lo, s7
; %bb.8379:                             ;   in Loop: Header=BB6_8134 Depth=2
	s_delay_alu instid0(VALU_DEP_2) | instskip(SKIP_2) | instid1(VALU_DEP_2)
	v_cmp_lt_u32_e32 vcc_lo, 0xffffff, v25
	v_sub_nc_u32_e32 v23, v64, v65
	v_cndmask_b32_e64 v64, 0, 1, vcc_lo
	v_add_co_ci_u32_e32 v23, vcc_lo, 0, v23, vcc_lo
	s_delay_alu instid0(VALU_DEP_2)
	v_lshrrev_b32_e32 v25, v64, v25
; %bb.8380:                             ;   in Loop: Header=BB6_8134 Depth=2
	s_and_not1_saveexec_b32 s7, s7
; %bb.8381:                             ;   in Loop: Header=BB6_8134 Depth=2
	s_delay_alu instid0(VALU_DEP_1)
	v_bfe_u32 v23, v25, 23, 1
; %bb.8382:                             ;   in Loop: Header=BB6_8134 Depth=2
	s_or_b32 exec_lo, exec_lo, s7
	v_lshrrev_b32_e32 v25, 20, v25
	s_delay_alu instid0(VALU_DEP_2) | instskip(SKIP_2) | instid1(VALU_DEP_2)
	v_cmp_gt_i32_e32 vcc_lo, 16, v23
	v_lshrrev_b32_e32 v16, 24, v16
	v_min_i32_e32 v64, 15, v23
	v_dual_cndmask_b32 v25, 7, v25 :: v_dual_and_b32 v16, 0x80, v16
	s_delay_alu instid0(VALU_DEP_2) | instskip(NEXT) | instid1(VALU_DEP_2)
	v_lshlrev_b32_e32 v64, 3, v64
	v_or_b32_e32 v23, v23, v25
	s_delay_alu instid0(VALU_DEP_1) | instskip(SKIP_1) | instid1(VALU_DEP_1)
	v_cmp_ne_u32_e32 vcc_lo, 0, v23
	v_and_b32_e32 v65, 7, v25
	v_or3_b32 v16, v64, v16, v65
	s_delay_alu instid0(VALU_DEP_1)
	v_cndmask_b32_e32 v128, 0, v16, vcc_lo
.LBB6_8383:                             ;   in Loop: Header=BB6_8134 Depth=2
	s_or_b32 exec_lo, exec_lo, s24
.LBB6_8384:                             ;   in Loop: Header=BB6_8134 Depth=2
	s_delay_alu instid0(SALU_CYCLE_1)
	s_or_b32 exec_lo, exec_lo, s23
	flat_load_u8 v16, v[10:11] offset:640 slc dlc
	s_mov_b32 s7, 0
	s_mov_b32 s24, exec_lo
                                        ; implicit-def: $sgpr23
	s_waitcnt vmcnt(0) lgkmcnt(0)
	v_cmpx_lt_i16_e32 0x7f, v16
	s_xor_b32 s24, exec_lo, s24
	s_cbranch_execnz .LBB6_9121
; %bb.8385:                             ;   in Loop: Header=BB6_8134 Depth=2
	s_or_saveexec_b32 s24, s24
	v_mov_b32_e32 v23, s23
	s_xor_b32 exec_lo, exec_lo, s24
	s_cbranch_execnz .LBB6_9124
.LBB6_8386:                             ;   in Loop: Header=BB6_8134 Depth=2
	s_or_b32 exec_lo, exec_lo, s24
	s_and_saveexec_b32 s23, s7
	s_cbranch_execz .LBB6_8388
.LBB6_8387:                             ;   in Loop: Header=BB6_8134 Depth=2
	v_and_b32_e32 v23, 0xffff, v16
	s_delay_alu instid0(VALU_DEP_1) | instskip(NEXT) | instid1(VALU_DEP_1)
	v_and_b32_e32 v25, 7, v23
	v_clz_i32_u32_e32 v64, v25
	s_delay_alu instid0(VALU_DEP_1) | instskip(NEXT) | instid1(VALU_DEP_1)
	v_min_u32_e32 v64, 32, v64
	v_subrev_nc_u32_e32 v65, 28, v64
	v_sub_nc_u32_e32 v64, 29, v64
	s_delay_alu instid0(VALU_DEP_2) | instskip(SKIP_1) | instid1(VALU_DEP_2)
	v_lshlrev_b32_e32 v65, v65, v23
	v_bfe_u32 v23, v23, 3, 4
	v_and_b32_e32 v65, 7, v65
	s_delay_alu instid0(VALU_DEP_2) | instskip(NEXT) | instid1(VALU_DEP_2)
	v_cmp_eq_u32_e32 vcc_lo, 0, v23
	v_dual_cndmask_b32 v25, v25, v65 :: v_dual_lshlrev_b32 v16, 24, v16
	v_cndmask_b32_e32 v23, v23, v64, vcc_lo
	s_delay_alu instid0(VALU_DEP_2) | instskip(NEXT) | instid1(VALU_DEP_3)
	v_and_b32_e32 v16, 0x80000000, v16
	v_lshlrev_b32_e32 v25, 20, v25
	s_delay_alu instid0(VALU_DEP_3) | instskip(NEXT) | instid1(VALU_DEP_1)
	v_lshl_add_u32 v23, v23, 23, 0x3b800000
	v_or3_b32 v23, v16, v23, v25
.LBB6_8388:                             ;   in Loop: Header=BB6_8134 Depth=2
	s_or_b32 exec_lo, exec_lo, s23
	s_delay_alu instid0(VALU_DEP_1) | instskip(SKIP_1) | instid1(VALU_DEP_1)
	v_dual_mul_f32 v16, v17, v23 :: v_dual_mov_b32 v119, 0x80
	s_mov_b32 s23, exec_lo
	v_and_b32_e32 v23, 0x7f800000, v16
	s_delay_alu instid0(VALU_DEP_1)
	v_cmpx_ne_u32_e32 0x7f800000, v23
	s_cbranch_execz .LBB6_8396
; %bb.8389:                             ;   in Loop: Header=BB6_8134 Depth=2
	v_mov_b32_e32 v119, 0
	s_mov_b32 s24, exec_lo
	v_cmpx_ne_u32_e32 0, v16
	s_cbranch_execz .LBB6_8395
; %bb.8390:                             ;   in Loop: Header=BB6_8134 Depth=2
	v_bfe_u32 v23, v16, 23, 8
	v_and_b32_e32 v25, 0x7fffff, v16
	s_delay_alu instid0(VALU_DEP_2) | instskip(SKIP_1) | instid1(VALU_DEP_3)
	v_sub_nc_u32_e32 v64, 0x78, v23
	v_cmp_gt_u32_e32 vcc_lo, 0x79, v23
	v_or_b32_e32 v65, 0x800000, v25
	s_delay_alu instid0(VALU_DEP_3) | instskip(SKIP_2) | instid1(VALU_DEP_4)
	v_cndmask_b32_e32 v64, 0, v64, vcc_lo
	v_cmp_eq_u32_e32 vcc_lo, 0, v23
	v_add_nc_u32_e32 v23, 0xffffff89, v23
	v_cndmask_b32_e32 v25, v65, v25, vcc_lo
	s_delay_alu instid0(VALU_DEP_4) | instskip(NEXT) | instid1(VALU_DEP_3)
	v_cndmask_b32_e64 v64, v64, 0x77, vcc_lo
	v_cndmask_b32_e64 v23, v23, 0xffffff8a, vcc_lo
	s_delay_alu instid0(VALU_DEP_2) | instskip(SKIP_2) | instid1(VALU_DEP_4)
	v_lshrrev_b32_e32 v66, v64, v25
	v_lshl_add_u32 v65, 0x100000, v64, -1
	v_lshlrev_b32_e64 v69, v64, 0x80000
	v_add_nc_u32_e32 v64, v64, v23
	s_delay_alu instid0(VALU_DEP_4) | instskip(NEXT) | instid1(VALU_DEP_4)
	v_bfe_u32 v68, v66, 20, 1
	v_and_b32_e32 v25, v65, v25
	s_delay_alu instid0(VALU_DEP_2) | instskip(NEXT) | instid1(VALU_DEP_2)
	v_add_nc_u32_e32 v65, -1, v68
	v_cmp_eq_u32_e64 s7, v25, v69
	s_delay_alu instid0(VALU_DEP_1) | instskip(SKIP_2) | instid1(VALU_DEP_2)
	v_cndmask_b32_e64 v25, 0, v65, s7
	v_lshrrev_b32_e32 v65, 23, v66
	s_mov_b32 s7, exec_lo
	v_add_nc_u32_e32 v25, v25, v66
	s_delay_alu instid0(VALU_DEP_2) | instskip(NEXT) | instid1(VALU_DEP_2)
	v_xor_b32_e32 v65, 1, v65
	v_and_b32_e32 v23, 0xfffff, v25
	s_delay_alu instid0(VALU_DEP_1) | instskip(NEXT) | instid1(VALU_DEP_3)
	v_add_nc_u32_e32 v25, v23, v66
                                        ; implicit-def: $vgpr23
	v_cmpx_ne_u32_e64 v64, v65
	s_xor_b32 s7, exec_lo, s7
; %bb.8391:                             ;   in Loop: Header=BB6_8134 Depth=2
	s_delay_alu instid0(VALU_DEP_2) | instskip(SKIP_2) | instid1(VALU_DEP_2)
	v_cmp_lt_u32_e32 vcc_lo, 0xffffff, v25
	v_sub_nc_u32_e32 v23, v64, v65
	v_cndmask_b32_e64 v64, 0, 1, vcc_lo
	v_add_co_ci_u32_e32 v23, vcc_lo, 0, v23, vcc_lo
	s_delay_alu instid0(VALU_DEP_2)
	v_lshrrev_b32_e32 v25, v64, v25
; %bb.8392:                             ;   in Loop: Header=BB6_8134 Depth=2
	s_and_not1_saveexec_b32 s7, s7
; %bb.8393:                             ;   in Loop: Header=BB6_8134 Depth=2
	s_delay_alu instid0(VALU_DEP_1)
	v_bfe_u32 v23, v25, 23, 1
; %bb.8394:                             ;   in Loop: Header=BB6_8134 Depth=2
	s_or_b32 exec_lo, exec_lo, s7
	v_lshrrev_b32_e32 v25, 20, v25
	s_delay_alu instid0(VALU_DEP_2) | instskip(SKIP_2) | instid1(VALU_DEP_2)
	v_cmp_gt_i32_e32 vcc_lo, 16, v23
	v_lshrrev_b32_e32 v16, 24, v16
	v_min_i32_e32 v64, 15, v23
	v_dual_cndmask_b32 v25, 7, v25 :: v_dual_and_b32 v16, 0x80, v16
	s_delay_alu instid0(VALU_DEP_2) | instskip(NEXT) | instid1(VALU_DEP_2)
	v_lshlrev_b32_e32 v64, 3, v64
	v_and_b32_e32 v65, 7, v25
	v_or_b32_e32 v23, v23, v25
	s_delay_alu instid0(VALU_DEP_2) | instskip(NEXT) | instid1(VALU_DEP_2)
	v_or3_b32 v16, v64, v16, v65
	v_cmp_ne_u32_e32 vcc_lo, 0, v23
	s_delay_alu instid0(VALU_DEP_2)
	v_cndmask_b32_e32 v119, 0, v16, vcc_lo
.LBB6_8395:                             ;   in Loop: Header=BB6_8134 Depth=2
	s_or_b32 exec_lo, exec_lo, s24
.LBB6_8396:                             ;   in Loop: Header=BB6_8134 Depth=2
	s_delay_alu instid0(SALU_CYCLE_1)
	s_or_b32 exec_lo, exec_lo, s23
	flat_load_u8 v16, v[10:11] offset:672 slc dlc
	s_mov_b32 s7, 0
	s_mov_b32 s24, exec_lo
                                        ; implicit-def: $sgpr23
	s_waitcnt vmcnt(0) lgkmcnt(0)
	v_cmpx_lt_i16_e32 0x7f, v16
	s_xor_b32 s24, exec_lo, s24
	s_cbranch_execnz .LBB6_9125
; %bb.8397:                             ;   in Loop: Header=BB6_8134 Depth=2
	s_or_saveexec_b32 s24, s24
	v_mov_b32_e32 v23, s23
	s_xor_b32 exec_lo, exec_lo, s24
	s_cbranch_execnz .LBB6_9128
.LBB6_8398:                             ;   in Loop: Header=BB6_8134 Depth=2
	s_or_b32 exec_lo, exec_lo, s24
	s_and_saveexec_b32 s23, s7
	s_cbranch_execz .LBB6_8400
.LBB6_8399:                             ;   in Loop: Header=BB6_8134 Depth=2
	v_and_b32_e32 v23, 0xffff, v16
	s_delay_alu instid0(VALU_DEP_1) | instskip(NEXT) | instid1(VALU_DEP_1)
	v_and_b32_e32 v25, 7, v23
	v_clz_i32_u32_e32 v64, v25
	s_delay_alu instid0(VALU_DEP_1) | instskip(NEXT) | instid1(VALU_DEP_1)
	v_min_u32_e32 v64, 32, v64
	v_subrev_nc_u32_e32 v65, 28, v64
	v_sub_nc_u32_e32 v64, 29, v64
	s_delay_alu instid0(VALU_DEP_2) | instskip(SKIP_1) | instid1(VALU_DEP_2)
	v_lshlrev_b32_e32 v65, v65, v23
	v_bfe_u32 v23, v23, 3, 4
	v_and_b32_e32 v65, 7, v65
	s_delay_alu instid0(VALU_DEP_2) | instskip(NEXT) | instid1(VALU_DEP_2)
	v_cmp_eq_u32_e32 vcc_lo, 0, v23
	v_dual_cndmask_b32 v25, v25, v65 :: v_dual_lshlrev_b32 v16, 24, v16
	v_cndmask_b32_e32 v23, v23, v64, vcc_lo
	s_delay_alu instid0(VALU_DEP_2) | instskip(NEXT) | instid1(VALU_DEP_3)
	v_and_b32_e32 v16, 0x80000000, v16
	v_lshlrev_b32_e32 v25, 20, v25
	s_delay_alu instid0(VALU_DEP_3) | instskip(NEXT) | instid1(VALU_DEP_1)
	v_lshl_add_u32 v23, v23, 23, 0x3b800000
	v_or3_b32 v23, v16, v23, v25
.LBB6_8400:                             ;   in Loop: Header=BB6_8134 Depth=2
	s_or_b32 exec_lo, exec_lo, s23
	s_delay_alu instid0(VALU_DEP_1) | instskip(SKIP_1) | instid1(VALU_DEP_1)
	v_dual_mul_f32 v16, v17, v23 :: v_dual_mov_b32 v117, 0x80
	s_mov_b32 s23, exec_lo
	v_and_b32_e32 v23, 0x7f800000, v16
	s_delay_alu instid0(VALU_DEP_1)
	v_cmpx_ne_u32_e32 0x7f800000, v23
	s_cbranch_execz .LBB6_8408
; %bb.8401:                             ;   in Loop: Header=BB6_8134 Depth=2
	v_mov_b32_e32 v117, 0
	s_mov_b32 s24, exec_lo
	v_cmpx_ne_u32_e32 0, v16
	s_cbranch_execz .LBB6_8407
; %bb.8402:                             ;   in Loop: Header=BB6_8134 Depth=2
	v_bfe_u32 v23, v16, 23, 8
	v_and_b32_e32 v25, 0x7fffff, v16
	s_delay_alu instid0(VALU_DEP_2) | instskip(SKIP_1) | instid1(VALU_DEP_3)
	v_sub_nc_u32_e32 v64, 0x78, v23
	v_cmp_gt_u32_e32 vcc_lo, 0x79, v23
	v_or_b32_e32 v65, 0x800000, v25
	s_delay_alu instid0(VALU_DEP_3) | instskip(SKIP_2) | instid1(VALU_DEP_4)
	v_cndmask_b32_e32 v64, 0, v64, vcc_lo
	v_cmp_eq_u32_e32 vcc_lo, 0, v23
	v_add_nc_u32_e32 v23, 0xffffff89, v23
	v_cndmask_b32_e32 v25, v65, v25, vcc_lo
	s_delay_alu instid0(VALU_DEP_4) | instskip(NEXT) | instid1(VALU_DEP_3)
	v_cndmask_b32_e64 v64, v64, 0x77, vcc_lo
	v_cndmask_b32_e64 v23, v23, 0xffffff8a, vcc_lo
	s_delay_alu instid0(VALU_DEP_2) | instskip(SKIP_2) | instid1(VALU_DEP_4)
	v_lshrrev_b32_e32 v66, v64, v25
	v_lshl_add_u32 v65, 0x100000, v64, -1
	v_lshlrev_b32_e64 v69, v64, 0x80000
	v_add_nc_u32_e32 v64, v64, v23
	s_delay_alu instid0(VALU_DEP_4) | instskip(NEXT) | instid1(VALU_DEP_4)
	v_bfe_u32 v68, v66, 20, 1
	v_and_b32_e32 v25, v65, v25
	s_delay_alu instid0(VALU_DEP_2) | instskip(NEXT) | instid1(VALU_DEP_2)
	v_add_nc_u32_e32 v65, -1, v68
	v_cmp_eq_u32_e64 s7, v25, v69
	s_delay_alu instid0(VALU_DEP_1) | instskip(SKIP_2) | instid1(VALU_DEP_2)
	v_cndmask_b32_e64 v25, 0, v65, s7
	v_lshrrev_b32_e32 v65, 23, v66
	s_mov_b32 s7, exec_lo
	v_add_nc_u32_e32 v25, v25, v66
	s_delay_alu instid0(VALU_DEP_2) | instskip(NEXT) | instid1(VALU_DEP_2)
	v_xor_b32_e32 v65, 1, v65
	v_and_b32_e32 v23, 0xfffff, v25
	s_delay_alu instid0(VALU_DEP_1) | instskip(NEXT) | instid1(VALU_DEP_3)
	v_add_nc_u32_e32 v25, v23, v66
                                        ; implicit-def: $vgpr23
	v_cmpx_ne_u32_e64 v64, v65
	s_xor_b32 s7, exec_lo, s7
; %bb.8403:                             ;   in Loop: Header=BB6_8134 Depth=2
	s_delay_alu instid0(VALU_DEP_2) | instskip(SKIP_2) | instid1(VALU_DEP_2)
	v_cmp_lt_u32_e32 vcc_lo, 0xffffff, v25
	v_sub_nc_u32_e32 v23, v64, v65
	v_cndmask_b32_e64 v64, 0, 1, vcc_lo
	v_add_co_ci_u32_e32 v23, vcc_lo, 0, v23, vcc_lo
	s_delay_alu instid0(VALU_DEP_2)
	v_lshrrev_b32_e32 v25, v64, v25
; %bb.8404:                             ;   in Loop: Header=BB6_8134 Depth=2
	s_and_not1_saveexec_b32 s7, s7
; %bb.8405:                             ;   in Loop: Header=BB6_8134 Depth=2
	s_delay_alu instid0(VALU_DEP_1)
	v_bfe_u32 v23, v25, 23, 1
; %bb.8406:                             ;   in Loop: Header=BB6_8134 Depth=2
	s_or_b32 exec_lo, exec_lo, s7
	v_lshrrev_b32_e32 v25, 20, v25
	s_delay_alu instid0(VALU_DEP_2) | instskip(SKIP_2) | instid1(VALU_DEP_2)
	v_cmp_gt_i32_e32 vcc_lo, 16, v23
	v_lshrrev_b32_e32 v16, 24, v16
	v_min_i32_e32 v64, 15, v23
	v_dual_cndmask_b32 v25, 7, v25 :: v_dual_and_b32 v16, 0x80, v16
	s_delay_alu instid0(VALU_DEP_2) | instskip(NEXT) | instid1(VALU_DEP_2)
	v_lshlrev_b32_e32 v64, 3, v64
	v_and_b32_e32 v65, 7, v25
	v_or_b32_e32 v23, v23, v25
	s_delay_alu instid0(VALU_DEP_2) | instskip(NEXT) | instid1(VALU_DEP_2)
	v_or3_b32 v16, v64, v16, v65
	v_cmp_ne_u32_e32 vcc_lo, 0, v23
	s_delay_alu instid0(VALU_DEP_2)
	v_cndmask_b32_e32 v117, 0, v16, vcc_lo
.LBB6_8407:                             ;   in Loop: Header=BB6_8134 Depth=2
	s_or_b32 exec_lo, exec_lo, s24
.LBB6_8408:                             ;   in Loop: Header=BB6_8134 Depth=2
	s_delay_alu instid0(SALU_CYCLE_1)
	s_or_b32 exec_lo, exec_lo, s23
	flat_load_u8 v16, v[10:11] offset:704 slc dlc
	s_mov_b32 s7, 0
	s_mov_b32 s24, exec_lo
                                        ; implicit-def: $sgpr23
	s_waitcnt vmcnt(0) lgkmcnt(0)
	v_cmpx_lt_i16_e32 0x7f, v16
	s_xor_b32 s24, exec_lo, s24
	s_cbranch_execnz .LBB6_9129
; %bb.8409:                             ;   in Loop: Header=BB6_8134 Depth=2
	s_or_saveexec_b32 s24, s24
	v_mov_b32_e32 v23, s23
	s_xor_b32 exec_lo, exec_lo, s24
	s_cbranch_execnz .LBB6_9132
.LBB6_8410:                             ;   in Loop: Header=BB6_8134 Depth=2
	s_or_b32 exec_lo, exec_lo, s24
	s_and_saveexec_b32 s23, s7
	s_cbranch_execz .LBB6_8412
.LBB6_8411:                             ;   in Loop: Header=BB6_8134 Depth=2
	v_and_b32_e32 v23, 0xffff, v16
	s_delay_alu instid0(VALU_DEP_1) | instskip(NEXT) | instid1(VALU_DEP_1)
	v_and_b32_e32 v25, 7, v23
	v_clz_i32_u32_e32 v64, v25
	s_delay_alu instid0(VALU_DEP_1) | instskip(NEXT) | instid1(VALU_DEP_1)
	v_min_u32_e32 v64, 32, v64
	v_subrev_nc_u32_e32 v65, 28, v64
	v_sub_nc_u32_e32 v64, 29, v64
	s_delay_alu instid0(VALU_DEP_2) | instskip(SKIP_1) | instid1(VALU_DEP_2)
	v_lshlrev_b32_e32 v65, v65, v23
	v_bfe_u32 v23, v23, 3, 4
	v_and_b32_e32 v65, 7, v65
	s_delay_alu instid0(VALU_DEP_2) | instskip(NEXT) | instid1(VALU_DEP_2)
	v_cmp_eq_u32_e32 vcc_lo, 0, v23
	v_dual_cndmask_b32 v25, v25, v65 :: v_dual_lshlrev_b32 v16, 24, v16
	v_cndmask_b32_e32 v23, v23, v64, vcc_lo
	s_delay_alu instid0(VALU_DEP_2) | instskip(NEXT) | instid1(VALU_DEP_3)
	v_and_b32_e32 v16, 0x80000000, v16
	v_lshlrev_b32_e32 v25, 20, v25
	s_delay_alu instid0(VALU_DEP_3) | instskip(NEXT) | instid1(VALU_DEP_1)
	v_lshl_add_u32 v23, v23, 23, 0x3b800000
	v_or3_b32 v23, v16, v23, v25
.LBB6_8412:                             ;   in Loop: Header=BB6_8134 Depth=2
	s_or_b32 exec_lo, exec_lo, s23
	s_delay_alu instid0(VALU_DEP_1) | instskip(SKIP_2) | instid1(VALU_DEP_2)
	v_mul_f32_e32 v16, v17, v23
	v_mov_b32_e32 v116, 0x80
	s_mov_b32 s23, exec_lo
	v_and_b32_e32 v23, 0x7f800000, v16
	s_delay_alu instid0(VALU_DEP_1)
	v_cmpx_ne_u32_e32 0x7f800000, v23
	s_cbranch_execz .LBB6_8420
; %bb.8413:                             ;   in Loop: Header=BB6_8134 Depth=2
	v_mov_b32_e32 v116, 0
	s_mov_b32 s24, exec_lo
	v_cmpx_ne_u32_e32 0, v16
	s_cbranch_execz .LBB6_8419
; %bb.8414:                             ;   in Loop: Header=BB6_8134 Depth=2
	v_bfe_u32 v23, v16, 23, 8
	v_and_b32_e32 v25, 0x7fffff, v16
	s_delay_alu instid0(VALU_DEP_2) | instskip(SKIP_1) | instid1(VALU_DEP_3)
	v_sub_nc_u32_e32 v64, 0x78, v23
	v_cmp_gt_u32_e32 vcc_lo, 0x79, v23
	v_or_b32_e32 v65, 0x800000, v25
	s_delay_alu instid0(VALU_DEP_3) | instskip(SKIP_2) | instid1(VALU_DEP_4)
	v_cndmask_b32_e32 v64, 0, v64, vcc_lo
	v_cmp_eq_u32_e32 vcc_lo, 0, v23
	v_add_nc_u32_e32 v23, 0xffffff89, v23
	v_cndmask_b32_e32 v25, v65, v25, vcc_lo
	s_delay_alu instid0(VALU_DEP_4) | instskip(NEXT) | instid1(VALU_DEP_3)
	v_cndmask_b32_e64 v64, v64, 0x77, vcc_lo
	v_cndmask_b32_e64 v23, v23, 0xffffff8a, vcc_lo
	s_delay_alu instid0(VALU_DEP_2) | instskip(SKIP_2) | instid1(VALU_DEP_4)
	v_lshrrev_b32_e32 v66, v64, v25
	v_lshl_add_u32 v65, 0x100000, v64, -1
	v_lshlrev_b32_e64 v69, v64, 0x80000
	v_add_nc_u32_e32 v64, v64, v23
	s_delay_alu instid0(VALU_DEP_4) | instskip(NEXT) | instid1(VALU_DEP_4)
	v_bfe_u32 v68, v66, 20, 1
	v_and_b32_e32 v25, v65, v25
	s_delay_alu instid0(VALU_DEP_2) | instskip(NEXT) | instid1(VALU_DEP_2)
	v_add_nc_u32_e32 v65, -1, v68
	v_cmp_eq_u32_e64 s7, v25, v69
	s_delay_alu instid0(VALU_DEP_1) | instskip(SKIP_2) | instid1(VALU_DEP_2)
	v_cndmask_b32_e64 v25, 0, v65, s7
	v_lshrrev_b32_e32 v65, 23, v66
	s_mov_b32 s7, exec_lo
	v_add_nc_u32_e32 v25, v25, v66
	s_delay_alu instid0(VALU_DEP_2) | instskip(NEXT) | instid1(VALU_DEP_2)
	v_xor_b32_e32 v65, 1, v65
	v_and_b32_e32 v23, 0xfffff, v25
	s_delay_alu instid0(VALU_DEP_1) | instskip(NEXT) | instid1(VALU_DEP_3)
	v_add_nc_u32_e32 v25, v23, v66
                                        ; implicit-def: $vgpr23
	v_cmpx_ne_u32_e64 v64, v65
	s_xor_b32 s7, exec_lo, s7
; %bb.8415:                             ;   in Loop: Header=BB6_8134 Depth=2
	s_delay_alu instid0(VALU_DEP_2) | instskip(SKIP_2) | instid1(VALU_DEP_2)
	v_cmp_lt_u32_e32 vcc_lo, 0xffffff, v25
	v_sub_nc_u32_e32 v23, v64, v65
	v_cndmask_b32_e64 v64, 0, 1, vcc_lo
	v_add_co_ci_u32_e32 v23, vcc_lo, 0, v23, vcc_lo
	s_delay_alu instid0(VALU_DEP_2)
	v_lshrrev_b32_e32 v25, v64, v25
; %bb.8416:                             ;   in Loop: Header=BB6_8134 Depth=2
	s_and_not1_saveexec_b32 s7, s7
; %bb.8417:                             ;   in Loop: Header=BB6_8134 Depth=2
	s_delay_alu instid0(VALU_DEP_1)
	v_bfe_u32 v23, v25, 23, 1
; %bb.8418:                             ;   in Loop: Header=BB6_8134 Depth=2
	s_or_b32 exec_lo, exec_lo, s7
	v_lshrrev_b32_e32 v25, 20, v25
	s_delay_alu instid0(VALU_DEP_2) | instskip(SKIP_2) | instid1(VALU_DEP_2)
	v_cmp_gt_i32_e32 vcc_lo, 16, v23
	v_lshrrev_b32_e32 v16, 24, v16
	v_min_i32_e32 v64, 15, v23
	v_dual_cndmask_b32 v25, 7, v25 :: v_dual_and_b32 v16, 0x80, v16
	s_delay_alu instid0(VALU_DEP_2) | instskip(NEXT) | instid1(VALU_DEP_2)
	v_lshlrev_b32_e32 v64, 3, v64
	v_or_b32_e32 v23, v23, v25
	s_delay_alu instid0(VALU_DEP_1) | instskip(SKIP_1) | instid1(VALU_DEP_1)
	v_cmp_ne_u32_e32 vcc_lo, 0, v23
	v_and_b32_e32 v65, 7, v25
	v_or3_b32 v16, v64, v16, v65
	s_delay_alu instid0(VALU_DEP_1)
	v_cndmask_b32_e32 v116, 0, v16, vcc_lo
.LBB6_8419:                             ;   in Loop: Header=BB6_8134 Depth=2
	s_or_b32 exec_lo, exec_lo, s24
.LBB6_8420:                             ;   in Loop: Header=BB6_8134 Depth=2
	s_delay_alu instid0(SALU_CYCLE_1)
	s_or_b32 exec_lo, exec_lo, s23
	flat_load_u8 v16, v[10:11] offset:736 slc dlc
	s_mov_b32 s7, 0
	s_mov_b32 s24, exec_lo
                                        ; implicit-def: $sgpr23
	s_waitcnt vmcnt(0) lgkmcnt(0)
	v_cmpx_lt_i16_e32 0x7f, v16
	s_xor_b32 s24, exec_lo, s24
	s_cbranch_execnz .LBB6_9133
; %bb.8421:                             ;   in Loop: Header=BB6_8134 Depth=2
	s_or_saveexec_b32 s24, s24
	v_mov_b32_e32 v23, s23
	s_xor_b32 exec_lo, exec_lo, s24
	s_cbranch_execnz .LBB6_9136
.LBB6_8422:                             ;   in Loop: Header=BB6_8134 Depth=2
	s_or_b32 exec_lo, exec_lo, s24
	s_and_saveexec_b32 s23, s7
	s_cbranch_execz .LBB6_8424
.LBB6_8423:                             ;   in Loop: Header=BB6_8134 Depth=2
	v_and_b32_e32 v23, 0xffff, v16
	s_delay_alu instid0(VALU_DEP_1) | instskip(NEXT) | instid1(VALU_DEP_1)
	v_and_b32_e32 v25, 7, v23
	v_clz_i32_u32_e32 v64, v25
	s_delay_alu instid0(VALU_DEP_1) | instskip(NEXT) | instid1(VALU_DEP_1)
	v_min_u32_e32 v64, 32, v64
	v_subrev_nc_u32_e32 v65, 28, v64
	v_sub_nc_u32_e32 v64, 29, v64
	s_delay_alu instid0(VALU_DEP_2) | instskip(SKIP_1) | instid1(VALU_DEP_2)
	v_lshlrev_b32_e32 v65, v65, v23
	v_bfe_u32 v23, v23, 3, 4
	v_and_b32_e32 v65, 7, v65
	s_delay_alu instid0(VALU_DEP_2) | instskip(NEXT) | instid1(VALU_DEP_2)
	v_cmp_eq_u32_e32 vcc_lo, 0, v23
	v_dual_cndmask_b32 v25, v25, v65 :: v_dual_lshlrev_b32 v16, 24, v16
	v_cndmask_b32_e32 v23, v23, v64, vcc_lo
	s_delay_alu instid0(VALU_DEP_2) | instskip(NEXT) | instid1(VALU_DEP_3)
	v_and_b32_e32 v16, 0x80000000, v16
	v_lshlrev_b32_e32 v25, 20, v25
	s_delay_alu instid0(VALU_DEP_3) | instskip(NEXT) | instid1(VALU_DEP_1)
	v_lshl_add_u32 v23, v23, 23, 0x3b800000
	v_or3_b32 v23, v16, v23, v25
.LBB6_8424:                             ;   in Loop: Header=BB6_8134 Depth=2
	s_or_b32 exec_lo, exec_lo, s23
	s_delay_alu instid0(VALU_DEP_1) | instskip(SKIP_2) | instid1(VALU_DEP_2)
	v_mul_f32_e32 v16, v17, v23
	v_mov_b32_e32 v114, 0x80
	s_mov_b32 s23, exec_lo
	v_and_b32_e32 v23, 0x7f800000, v16
	s_delay_alu instid0(VALU_DEP_1)
	v_cmpx_ne_u32_e32 0x7f800000, v23
	s_cbranch_execz .LBB6_8432
; %bb.8425:                             ;   in Loop: Header=BB6_8134 Depth=2
	v_mov_b32_e32 v114, 0
	s_mov_b32 s24, exec_lo
	v_cmpx_ne_u32_e32 0, v16
	s_cbranch_execz .LBB6_8431
; %bb.8426:                             ;   in Loop: Header=BB6_8134 Depth=2
	v_bfe_u32 v23, v16, 23, 8
	v_and_b32_e32 v25, 0x7fffff, v16
	s_delay_alu instid0(VALU_DEP_2) | instskip(SKIP_1) | instid1(VALU_DEP_3)
	v_sub_nc_u32_e32 v64, 0x78, v23
	v_cmp_gt_u32_e32 vcc_lo, 0x79, v23
	v_or_b32_e32 v65, 0x800000, v25
	s_delay_alu instid0(VALU_DEP_3) | instskip(SKIP_2) | instid1(VALU_DEP_4)
	v_cndmask_b32_e32 v64, 0, v64, vcc_lo
	v_cmp_eq_u32_e32 vcc_lo, 0, v23
	v_add_nc_u32_e32 v23, 0xffffff89, v23
	v_cndmask_b32_e32 v25, v65, v25, vcc_lo
	s_delay_alu instid0(VALU_DEP_4) | instskip(NEXT) | instid1(VALU_DEP_3)
	v_cndmask_b32_e64 v64, v64, 0x77, vcc_lo
	v_cndmask_b32_e64 v23, v23, 0xffffff8a, vcc_lo
	s_delay_alu instid0(VALU_DEP_2) | instskip(SKIP_2) | instid1(VALU_DEP_4)
	v_lshrrev_b32_e32 v66, v64, v25
	v_lshl_add_u32 v65, 0x100000, v64, -1
	v_lshlrev_b32_e64 v69, v64, 0x80000
	v_add_nc_u32_e32 v64, v64, v23
	s_delay_alu instid0(VALU_DEP_4) | instskip(NEXT) | instid1(VALU_DEP_4)
	v_bfe_u32 v68, v66, 20, 1
	v_and_b32_e32 v25, v65, v25
	s_delay_alu instid0(VALU_DEP_2) | instskip(NEXT) | instid1(VALU_DEP_2)
	v_add_nc_u32_e32 v65, -1, v68
	v_cmp_eq_u32_e64 s7, v25, v69
	s_delay_alu instid0(VALU_DEP_1) | instskip(SKIP_2) | instid1(VALU_DEP_2)
	v_cndmask_b32_e64 v25, 0, v65, s7
	v_lshrrev_b32_e32 v65, 23, v66
	s_mov_b32 s7, exec_lo
	v_add_nc_u32_e32 v25, v25, v66
	s_delay_alu instid0(VALU_DEP_2) | instskip(NEXT) | instid1(VALU_DEP_2)
	v_xor_b32_e32 v65, 1, v65
	v_and_b32_e32 v23, 0xfffff, v25
	s_delay_alu instid0(VALU_DEP_1) | instskip(NEXT) | instid1(VALU_DEP_3)
	v_add_nc_u32_e32 v25, v23, v66
                                        ; implicit-def: $vgpr23
	v_cmpx_ne_u32_e64 v64, v65
	s_xor_b32 s7, exec_lo, s7
; %bb.8427:                             ;   in Loop: Header=BB6_8134 Depth=2
	s_delay_alu instid0(VALU_DEP_2) | instskip(SKIP_2) | instid1(VALU_DEP_2)
	v_cmp_lt_u32_e32 vcc_lo, 0xffffff, v25
	v_sub_nc_u32_e32 v23, v64, v65
	v_cndmask_b32_e64 v64, 0, 1, vcc_lo
	v_add_co_ci_u32_e32 v23, vcc_lo, 0, v23, vcc_lo
	s_delay_alu instid0(VALU_DEP_2)
	v_lshrrev_b32_e32 v25, v64, v25
; %bb.8428:                             ;   in Loop: Header=BB6_8134 Depth=2
	s_and_not1_saveexec_b32 s7, s7
; %bb.8429:                             ;   in Loop: Header=BB6_8134 Depth=2
	s_delay_alu instid0(VALU_DEP_1)
	v_bfe_u32 v23, v25, 23, 1
; %bb.8430:                             ;   in Loop: Header=BB6_8134 Depth=2
	s_or_b32 exec_lo, exec_lo, s7
	v_lshrrev_b32_e32 v25, 20, v25
	s_delay_alu instid0(VALU_DEP_2) | instskip(SKIP_2) | instid1(VALU_DEP_2)
	v_cmp_gt_i32_e32 vcc_lo, 16, v23
	v_lshrrev_b32_e32 v16, 24, v16
	v_min_i32_e32 v64, 15, v23
	v_dual_cndmask_b32 v25, 7, v25 :: v_dual_and_b32 v16, 0x80, v16
	s_delay_alu instid0(VALU_DEP_2) | instskip(NEXT) | instid1(VALU_DEP_2)
	v_lshlrev_b32_e32 v64, 3, v64
	v_or_b32_e32 v23, v23, v25
	s_delay_alu instid0(VALU_DEP_1) | instskip(SKIP_1) | instid1(VALU_DEP_1)
	v_cmp_ne_u32_e32 vcc_lo, 0, v23
	v_and_b32_e32 v65, 7, v25
	v_or3_b32 v16, v64, v16, v65
	s_delay_alu instid0(VALU_DEP_1)
	v_cndmask_b32_e32 v114, 0, v16, vcc_lo
.LBB6_8431:                             ;   in Loop: Header=BB6_8134 Depth=2
	s_or_b32 exec_lo, exec_lo, s24
.LBB6_8432:                             ;   in Loop: Header=BB6_8134 Depth=2
	s_delay_alu instid0(SALU_CYCLE_1)
	s_or_b32 exec_lo, exec_lo, s23
	flat_load_u8 v16, v[10:11] offset:768 slc dlc
	s_mov_b32 s7, 0
	s_mov_b32 s24, exec_lo
                                        ; implicit-def: $sgpr23
	s_waitcnt vmcnt(0) lgkmcnt(0)
	v_cmpx_lt_i16_e32 0x7f, v16
	s_xor_b32 s24, exec_lo, s24
	s_cbranch_execnz .LBB6_9137
; %bb.8433:                             ;   in Loop: Header=BB6_8134 Depth=2
	s_or_saveexec_b32 s24, s24
	v_mov_b32_e32 v23, s23
	s_xor_b32 exec_lo, exec_lo, s24
	s_cbranch_execnz .LBB6_9140
.LBB6_8434:                             ;   in Loop: Header=BB6_8134 Depth=2
	s_or_b32 exec_lo, exec_lo, s24
	s_and_saveexec_b32 s23, s7
	s_cbranch_execz .LBB6_8436
.LBB6_8435:                             ;   in Loop: Header=BB6_8134 Depth=2
	v_and_b32_e32 v23, 0xffff, v16
	s_delay_alu instid0(VALU_DEP_1) | instskip(NEXT) | instid1(VALU_DEP_1)
	v_and_b32_e32 v25, 7, v23
	v_clz_i32_u32_e32 v64, v25
	s_delay_alu instid0(VALU_DEP_1) | instskip(NEXT) | instid1(VALU_DEP_1)
	v_min_u32_e32 v64, 32, v64
	v_subrev_nc_u32_e32 v65, 28, v64
	v_sub_nc_u32_e32 v64, 29, v64
	s_delay_alu instid0(VALU_DEP_2) | instskip(SKIP_1) | instid1(VALU_DEP_2)
	v_lshlrev_b32_e32 v65, v65, v23
	v_bfe_u32 v23, v23, 3, 4
	v_and_b32_e32 v65, 7, v65
	s_delay_alu instid0(VALU_DEP_2) | instskip(NEXT) | instid1(VALU_DEP_2)
	v_cmp_eq_u32_e32 vcc_lo, 0, v23
	v_dual_cndmask_b32 v25, v25, v65 :: v_dual_lshlrev_b32 v16, 24, v16
	v_cndmask_b32_e32 v23, v23, v64, vcc_lo
	s_delay_alu instid0(VALU_DEP_2) | instskip(NEXT) | instid1(VALU_DEP_3)
	v_and_b32_e32 v16, 0x80000000, v16
	v_lshlrev_b32_e32 v25, 20, v25
	s_delay_alu instid0(VALU_DEP_3) | instskip(NEXT) | instid1(VALU_DEP_1)
	v_lshl_add_u32 v23, v23, 23, 0x3b800000
	v_or3_b32 v23, v16, v23, v25
.LBB6_8436:                             ;   in Loop: Header=BB6_8134 Depth=2
	s_or_b32 exec_lo, exec_lo, s23
	s_delay_alu instid0(VALU_DEP_1) | instskip(SKIP_2) | instid1(VALU_DEP_2)
	v_mul_f32_e32 v16, v17, v23
	v_mov_b32_e32 v112, 0x80
	s_mov_b32 s23, exec_lo
	v_and_b32_e32 v23, 0x7f800000, v16
	s_delay_alu instid0(VALU_DEP_1)
	v_cmpx_ne_u32_e32 0x7f800000, v23
	s_cbranch_execz .LBB6_8444
; %bb.8437:                             ;   in Loop: Header=BB6_8134 Depth=2
	v_mov_b32_e32 v112, 0
	s_mov_b32 s24, exec_lo
	v_cmpx_ne_u32_e32 0, v16
	s_cbranch_execz .LBB6_8443
; %bb.8438:                             ;   in Loop: Header=BB6_8134 Depth=2
	v_bfe_u32 v23, v16, 23, 8
	v_and_b32_e32 v25, 0x7fffff, v16
	s_delay_alu instid0(VALU_DEP_2) | instskip(SKIP_1) | instid1(VALU_DEP_3)
	v_sub_nc_u32_e32 v64, 0x78, v23
	v_cmp_gt_u32_e32 vcc_lo, 0x79, v23
	v_or_b32_e32 v65, 0x800000, v25
	s_delay_alu instid0(VALU_DEP_3) | instskip(SKIP_2) | instid1(VALU_DEP_4)
	v_cndmask_b32_e32 v64, 0, v64, vcc_lo
	v_cmp_eq_u32_e32 vcc_lo, 0, v23
	v_add_nc_u32_e32 v23, 0xffffff89, v23
	v_cndmask_b32_e32 v25, v65, v25, vcc_lo
	s_delay_alu instid0(VALU_DEP_4) | instskip(NEXT) | instid1(VALU_DEP_3)
	v_cndmask_b32_e64 v64, v64, 0x77, vcc_lo
	v_cndmask_b32_e64 v23, v23, 0xffffff8a, vcc_lo
	s_delay_alu instid0(VALU_DEP_2) | instskip(SKIP_2) | instid1(VALU_DEP_4)
	v_lshrrev_b32_e32 v66, v64, v25
	v_lshl_add_u32 v65, 0x100000, v64, -1
	v_lshlrev_b32_e64 v69, v64, 0x80000
	v_add_nc_u32_e32 v64, v64, v23
	s_delay_alu instid0(VALU_DEP_4) | instskip(NEXT) | instid1(VALU_DEP_4)
	v_bfe_u32 v68, v66, 20, 1
	v_and_b32_e32 v25, v65, v25
	s_delay_alu instid0(VALU_DEP_2) | instskip(NEXT) | instid1(VALU_DEP_2)
	v_add_nc_u32_e32 v65, -1, v68
	v_cmp_eq_u32_e64 s7, v25, v69
	s_delay_alu instid0(VALU_DEP_1) | instskip(SKIP_2) | instid1(VALU_DEP_2)
	v_cndmask_b32_e64 v25, 0, v65, s7
	v_lshrrev_b32_e32 v65, 23, v66
	s_mov_b32 s7, exec_lo
	v_add_nc_u32_e32 v25, v25, v66
	s_delay_alu instid0(VALU_DEP_2) | instskip(NEXT) | instid1(VALU_DEP_2)
	v_xor_b32_e32 v65, 1, v65
	v_and_b32_e32 v23, 0xfffff, v25
	s_delay_alu instid0(VALU_DEP_1) | instskip(NEXT) | instid1(VALU_DEP_3)
	v_add_nc_u32_e32 v25, v23, v66
                                        ; implicit-def: $vgpr23
	v_cmpx_ne_u32_e64 v64, v65
	s_xor_b32 s7, exec_lo, s7
; %bb.8439:                             ;   in Loop: Header=BB6_8134 Depth=2
	s_delay_alu instid0(VALU_DEP_2) | instskip(SKIP_2) | instid1(VALU_DEP_2)
	v_cmp_lt_u32_e32 vcc_lo, 0xffffff, v25
	v_sub_nc_u32_e32 v23, v64, v65
	v_cndmask_b32_e64 v64, 0, 1, vcc_lo
	v_add_co_ci_u32_e32 v23, vcc_lo, 0, v23, vcc_lo
	s_delay_alu instid0(VALU_DEP_2)
	v_lshrrev_b32_e32 v25, v64, v25
; %bb.8440:                             ;   in Loop: Header=BB6_8134 Depth=2
	s_and_not1_saveexec_b32 s7, s7
; %bb.8441:                             ;   in Loop: Header=BB6_8134 Depth=2
	s_delay_alu instid0(VALU_DEP_1)
	v_bfe_u32 v23, v25, 23, 1
; %bb.8442:                             ;   in Loop: Header=BB6_8134 Depth=2
	s_or_b32 exec_lo, exec_lo, s7
	v_lshrrev_b32_e32 v25, 20, v25
	s_delay_alu instid0(VALU_DEP_2) | instskip(SKIP_2) | instid1(VALU_DEP_2)
	v_cmp_gt_i32_e32 vcc_lo, 16, v23
	v_lshrrev_b32_e32 v16, 24, v16
	v_min_i32_e32 v64, 15, v23
	v_dual_cndmask_b32 v25, 7, v25 :: v_dual_and_b32 v16, 0x80, v16
	s_delay_alu instid0(VALU_DEP_2) | instskip(NEXT) | instid1(VALU_DEP_2)
	v_lshlrev_b32_e32 v64, 3, v64
	v_or_b32_e32 v23, v23, v25
	s_delay_alu instid0(VALU_DEP_1) | instskip(SKIP_1) | instid1(VALU_DEP_1)
	v_cmp_ne_u32_e32 vcc_lo, 0, v23
	v_and_b32_e32 v65, 7, v25
	v_or3_b32 v16, v64, v16, v65
	s_delay_alu instid0(VALU_DEP_1)
	v_cndmask_b32_e32 v112, 0, v16, vcc_lo
.LBB6_8443:                             ;   in Loop: Header=BB6_8134 Depth=2
	s_or_b32 exec_lo, exec_lo, s24
.LBB6_8444:                             ;   in Loop: Header=BB6_8134 Depth=2
	s_delay_alu instid0(SALU_CYCLE_1)
	s_or_b32 exec_lo, exec_lo, s23
	flat_load_u8 v16, v[10:11] offset:800 slc dlc
	s_mov_b32 s7, 0
	s_mov_b32 s24, exec_lo
                                        ; implicit-def: $sgpr23
	s_waitcnt vmcnt(0) lgkmcnt(0)
	v_cmpx_lt_i16_e32 0x7f, v16
	s_xor_b32 s24, exec_lo, s24
	s_cbranch_execnz .LBB6_9141
; %bb.8445:                             ;   in Loop: Header=BB6_8134 Depth=2
	s_or_saveexec_b32 s24, s24
	v_mov_b32_e32 v23, s23
	s_xor_b32 exec_lo, exec_lo, s24
	s_cbranch_execnz .LBB6_9144
.LBB6_8446:                             ;   in Loop: Header=BB6_8134 Depth=2
	s_or_b32 exec_lo, exec_lo, s24
	s_and_saveexec_b32 s23, s7
	s_cbranch_execz .LBB6_8448
.LBB6_8447:                             ;   in Loop: Header=BB6_8134 Depth=2
	v_and_b32_e32 v23, 0xffff, v16
	s_delay_alu instid0(VALU_DEP_1) | instskip(NEXT) | instid1(VALU_DEP_1)
	v_and_b32_e32 v25, 7, v23
	v_clz_i32_u32_e32 v64, v25
	s_delay_alu instid0(VALU_DEP_1) | instskip(NEXT) | instid1(VALU_DEP_1)
	v_min_u32_e32 v64, 32, v64
	v_subrev_nc_u32_e32 v65, 28, v64
	v_sub_nc_u32_e32 v64, 29, v64
	s_delay_alu instid0(VALU_DEP_2) | instskip(SKIP_1) | instid1(VALU_DEP_2)
	v_lshlrev_b32_e32 v65, v65, v23
	v_bfe_u32 v23, v23, 3, 4
	v_and_b32_e32 v65, 7, v65
	s_delay_alu instid0(VALU_DEP_2) | instskip(NEXT) | instid1(VALU_DEP_2)
	v_cmp_eq_u32_e32 vcc_lo, 0, v23
	v_dual_cndmask_b32 v25, v25, v65 :: v_dual_lshlrev_b32 v16, 24, v16
	v_cndmask_b32_e32 v23, v23, v64, vcc_lo
	s_delay_alu instid0(VALU_DEP_2) | instskip(NEXT) | instid1(VALU_DEP_3)
	v_and_b32_e32 v16, 0x80000000, v16
	v_lshlrev_b32_e32 v25, 20, v25
	s_delay_alu instid0(VALU_DEP_3) | instskip(NEXT) | instid1(VALU_DEP_1)
	v_lshl_add_u32 v23, v23, 23, 0x3b800000
	v_or3_b32 v23, v16, v23, v25
.LBB6_8448:                             ;   in Loop: Header=BB6_8134 Depth=2
	s_or_b32 exec_lo, exec_lo, s23
	s_delay_alu instid0(VALU_DEP_1) | instskip(SKIP_1) | instid1(VALU_DEP_1)
	v_dual_mul_f32 v16, v17, v23 :: v_dual_mov_b32 v103, 0x80
	s_mov_b32 s23, exec_lo
	v_and_b32_e32 v23, 0x7f800000, v16
	s_delay_alu instid0(VALU_DEP_1)
	v_cmpx_ne_u32_e32 0x7f800000, v23
	s_cbranch_execz .LBB6_8456
; %bb.8449:                             ;   in Loop: Header=BB6_8134 Depth=2
	v_mov_b32_e32 v103, 0
	s_mov_b32 s24, exec_lo
	v_cmpx_ne_u32_e32 0, v16
	s_cbranch_execz .LBB6_8455
; %bb.8450:                             ;   in Loop: Header=BB6_8134 Depth=2
	v_bfe_u32 v23, v16, 23, 8
	v_and_b32_e32 v25, 0x7fffff, v16
	s_delay_alu instid0(VALU_DEP_2) | instskip(SKIP_1) | instid1(VALU_DEP_3)
	v_sub_nc_u32_e32 v64, 0x78, v23
	v_cmp_gt_u32_e32 vcc_lo, 0x79, v23
	v_or_b32_e32 v65, 0x800000, v25
	s_delay_alu instid0(VALU_DEP_3) | instskip(SKIP_2) | instid1(VALU_DEP_4)
	v_cndmask_b32_e32 v64, 0, v64, vcc_lo
	v_cmp_eq_u32_e32 vcc_lo, 0, v23
	v_add_nc_u32_e32 v23, 0xffffff89, v23
	v_cndmask_b32_e32 v25, v65, v25, vcc_lo
	s_delay_alu instid0(VALU_DEP_4) | instskip(NEXT) | instid1(VALU_DEP_3)
	v_cndmask_b32_e64 v64, v64, 0x77, vcc_lo
	v_cndmask_b32_e64 v23, v23, 0xffffff8a, vcc_lo
	s_delay_alu instid0(VALU_DEP_2) | instskip(SKIP_2) | instid1(VALU_DEP_4)
	v_lshrrev_b32_e32 v66, v64, v25
	v_lshl_add_u32 v65, 0x100000, v64, -1
	v_lshlrev_b32_e64 v69, v64, 0x80000
	v_add_nc_u32_e32 v64, v64, v23
	s_delay_alu instid0(VALU_DEP_4) | instskip(NEXT) | instid1(VALU_DEP_4)
	v_bfe_u32 v68, v66, 20, 1
	v_and_b32_e32 v25, v65, v25
	s_delay_alu instid0(VALU_DEP_2) | instskip(NEXT) | instid1(VALU_DEP_2)
	v_add_nc_u32_e32 v65, -1, v68
	v_cmp_eq_u32_e64 s7, v25, v69
	s_delay_alu instid0(VALU_DEP_1) | instskip(SKIP_2) | instid1(VALU_DEP_2)
	v_cndmask_b32_e64 v25, 0, v65, s7
	v_lshrrev_b32_e32 v65, 23, v66
	s_mov_b32 s7, exec_lo
	v_add_nc_u32_e32 v25, v25, v66
	s_delay_alu instid0(VALU_DEP_2) | instskip(NEXT) | instid1(VALU_DEP_2)
	v_xor_b32_e32 v65, 1, v65
	v_and_b32_e32 v23, 0xfffff, v25
	s_delay_alu instid0(VALU_DEP_1) | instskip(NEXT) | instid1(VALU_DEP_3)
	v_add_nc_u32_e32 v25, v23, v66
                                        ; implicit-def: $vgpr23
	v_cmpx_ne_u32_e64 v64, v65
	s_xor_b32 s7, exec_lo, s7
; %bb.8451:                             ;   in Loop: Header=BB6_8134 Depth=2
	s_delay_alu instid0(VALU_DEP_2) | instskip(SKIP_2) | instid1(VALU_DEP_2)
	v_cmp_lt_u32_e32 vcc_lo, 0xffffff, v25
	v_sub_nc_u32_e32 v23, v64, v65
	v_cndmask_b32_e64 v64, 0, 1, vcc_lo
	v_add_co_ci_u32_e32 v23, vcc_lo, 0, v23, vcc_lo
	s_delay_alu instid0(VALU_DEP_2)
	v_lshrrev_b32_e32 v25, v64, v25
; %bb.8452:                             ;   in Loop: Header=BB6_8134 Depth=2
	s_and_not1_saveexec_b32 s7, s7
; %bb.8453:                             ;   in Loop: Header=BB6_8134 Depth=2
	s_delay_alu instid0(VALU_DEP_1)
	v_bfe_u32 v23, v25, 23, 1
; %bb.8454:                             ;   in Loop: Header=BB6_8134 Depth=2
	s_or_b32 exec_lo, exec_lo, s7
	v_lshrrev_b32_e32 v25, 20, v25
	s_delay_alu instid0(VALU_DEP_2) | instskip(SKIP_2) | instid1(VALU_DEP_2)
	v_cmp_gt_i32_e32 vcc_lo, 16, v23
	v_lshrrev_b32_e32 v16, 24, v16
	v_min_i32_e32 v64, 15, v23
	v_dual_cndmask_b32 v25, 7, v25 :: v_dual_and_b32 v16, 0x80, v16
	s_delay_alu instid0(VALU_DEP_2) | instskip(NEXT) | instid1(VALU_DEP_2)
	v_lshlrev_b32_e32 v64, 3, v64
	v_and_b32_e32 v65, 7, v25
	v_or_b32_e32 v23, v23, v25
	s_delay_alu instid0(VALU_DEP_2) | instskip(NEXT) | instid1(VALU_DEP_2)
	v_or3_b32 v16, v64, v16, v65
	v_cmp_ne_u32_e32 vcc_lo, 0, v23
	s_delay_alu instid0(VALU_DEP_2)
	v_cndmask_b32_e32 v103, 0, v16, vcc_lo
.LBB6_8455:                             ;   in Loop: Header=BB6_8134 Depth=2
	s_or_b32 exec_lo, exec_lo, s24
.LBB6_8456:                             ;   in Loop: Header=BB6_8134 Depth=2
	s_delay_alu instid0(SALU_CYCLE_1)
	s_or_b32 exec_lo, exec_lo, s23
	flat_load_u8 v16, v[10:11] offset:832 slc dlc
	s_mov_b32 s7, 0
	s_mov_b32 s24, exec_lo
                                        ; implicit-def: $sgpr23
	s_waitcnt vmcnt(0) lgkmcnt(0)
	v_cmpx_lt_i16_e32 0x7f, v16
	s_xor_b32 s24, exec_lo, s24
	s_cbranch_execnz .LBB6_9145
; %bb.8457:                             ;   in Loop: Header=BB6_8134 Depth=2
	s_or_saveexec_b32 s24, s24
	v_mov_b32_e32 v23, s23
	s_xor_b32 exec_lo, exec_lo, s24
	s_cbranch_execnz .LBB6_9148
.LBB6_8458:                             ;   in Loop: Header=BB6_8134 Depth=2
	s_or_b32 exec_lo, exec_lo, s24
	s_and_saveexec_b32 s23, s7
	s_cbranch_execz .LBB6_8460
.LBB6_8459:                             ;   in Loop: Header=BB6_8134 Depth=2
	v_and_b32_e32 v23, 0xffff, v16
	s_delay_alu instid0(VALU_DEP_1) | instskip(NEXT) | instid1(VALU_DEP_1)
	v_and_b32_e32 v25, 7, v23
	v_clz_i32_u32_e32 v64, v25
	s_delay_alu instid0(VALU_DEP_1) | instskip(NEXT) | instid1(VALU_DEP_1)
	v_min_u32_e32 v64, 32, v64
	v_subrev_nc_u32_e32 v65, 28, v64
	v_sub_nc_u32_e32 v64, 29, v64
	s_delay_alu instid0(VALU_DEP_2) | instskip(SKIP_1) | instid1(VALU_DEP_2)
	v_lshlrev_b32_e32 v65, v65, v23
	v_bfe_u32 v23, v23, 3, 4
	v_and_b32_e32 v65, 7, v65
	s_delay_alu instid0(VALU_DEP_2) | instskip(NEXT) | instid1(VALU_DEP_2)
	v_cmp_eq_u32_e32 vcc_lo, 0, v23
	v_dual_cndmask_b32 v25, v25, v65 :: v_dual_lshlrev_b32 v16, 24, v16
	v_cndmask_b32_e32 v23, v23, v64, vcc_lo
	s_delay_alu instid0(VALU_DEP_2) | instskip(NEXT) | instid1(VALU_DEP_3)
	v_and_b32_e32 v16, 0x80000000, v16
	v_lshlrev_b32_e32 v25, 20, v25
	s_delay_alu instid0(VALU_DEP_3) | instskip(NEXT) | instid1(VALU_DEP_1)
	v_lshl_add_u32 v23, v23, 23, 0x3b800000
	v_or3_b32 v23, v16, v23, v25
.LBB6_8460:                             ;   in Loop: Header=BB6_8134 Depth=2
	s_or_b32 exec_lo, exec_lo, s23
	s_delay_alu instid0(VALU_DEP_1) | instskip(SKIP_2) | instid1(VALU_DEP_2)
	v_mul_f32_e32 v16, v17, v23
	v_mov_b32_e32 v68, 0x80
	s_mov_b32 s23, exec_lo
	v_and_b32_e32 v23, 0x7f800000, v16
	s_delay_alu instid0(VALU_DEP_1)
	v_cmpx_ne_u32_e32 0x7f800000, v23
	s_cbranch_execz .LBB6_8468
; %bb.8461:                             ;   in Loop: Header=BB6_8134 Depth=2
	v_mov_b32_e32 v68, 0
	s_mov_b32 s24, exec_lo
	v_cmpx_ne_u32_e32 0, v16
	s_cbranch_execz .LBB6_8467
; %bb.8462:                             ;   in Loop: Header=BB6_8134 Depth=2
	v_bfe_u32 v23, v16, 23, 8
	v_and_b32_e32 v25, 0x7fffff, v16
	s_delay_alu instid0(VALU_DEP_2) | instskip(SKIP_1) | instid1(VALU_DEP_3)
	v_sub_nc_u32_e32 v64, 0x78, v23
	v_cmp_gt_u32_e32 vcc_lo, 0x79, v23
	v_or_b32_e32 v65, 0x800000, v25
	s_delay_alu instid0(VALU_DEP_3) | instskip(SKIP_2) | instid1(VALU_DEP_4)
	v_cndmask_b32_e32 v64, 0, v64, vcc_lo
	v_cmp_eq_u32_e32 vcc_lo, 0, v23
	v_add_nc_u32_e32 v23, 0xffffff89, v23
	v_cndmask_b32_e32 v25, v65, v25, vcc_lo
	s_delay_alu instid0(VALU_DEP_4) | instskip(NEXT) | instid1(VALU_DEP_3)
	v_cndmask_b32_e64 v64, v64, 0x77, vcc_lo
	v_cndmask_b32_e64 v23, v23, 0xffffff8a, vcc_lo
	s_delay_alu instid0(VALU_DEP_2) | instskip(SKIP_2) | instid1(VALU_DEP_4)
	v_lshrrev_b32_e32 v66, v64, v25
	v_lshl_add_u32 v65, 0x100000, v64, -1
	v_lshlrev_b32_e64 v69, v64, 0x80000
	v_add_nc_u32_e32 v64, v64, v23
	s_delay_alu instid0(VALU_DEP_4) | instskip(NEXT) | instid1(VALU_DEP_4)
	v_bfe_u32 v68, v66, 20, 1
	v_and_b32_e32 v25, v65, v25
	s_delay_alu instid0(VALU_DEP_2) | instskip(NEXT) | instid1(VALU_DEP_2)
	v_add_nc_u32_e32 v65, -1, v68
	v_cmp_eq_u32_e64 s7, v25, v69
	s_delay_alu instid0(VALU_DEP_1) | instskip(SKIP_2) | instid1(VALU_DEP_2)
	v_cndmask_b32_e64 v25, 0, v65, s7
	v_lshrrev_b32_e32 v65, 23, v66
	s_mov_b32 s7, exec_lo
	v_add_nc_u32_e32 v25, v25, v66
	s_delay_alu instid0(VALU_DEP_2) | instskip(NEXT) | instid1(VALU_DEP_2)
	v_xor_b32_e32 v65, 1, v65
	v_and_b32_e32 v23, 0xfffff, v25
	s_delay_alu instid0(VALU_DEP_1) | instskip(NEXT) | instid1(VALU_DEP_3)
	v_add_nc_u32_e32 v25, v23, v66
                                        ; implicit-def: $vgpr23
	v_cmpx_ne_u32_e64 v64, v65
	s_xor_b32 s7, exec_lo, s7
; %bb.8463:                             ;   in Loop: Header=BB6_8134 Depth=2
	s_delay_alu instid0(VALU_DEP_2) | instskip(SKIP_2) | instid1(VALU_DEP_2)
	v_cmp_lt_u32_e32 vcc_lo, 0xffffff, v25
	v_sub_nc_u32_e32 v23, v64, v65
	v_cndmask_b32_e64 v64, 0, 1, vcc_lo
	v_add_co_ci_u32_e32 v23, vcc_lo, 0, v23, vcc_lo
	s_delay_alu instid0(VALU_DEP_2)
	v_lshrrev_b32_e32 v25, v64, v25
; %bb.8464:                             ;   in Loop: Header=BB6_8134 Depth=2
	s_and_not1_saveexec_b32 s7, s7
; %bb.8465:                             ;   in Loop: Header=BB6_8134 Depth=2
	s_delay_alu instid0(VALU_DEP_1)
	v_bfe_u32 v23, v25, 23, 1
; %bb.8466:                             ;   in Loop: Header=BB6_8134 Depth=2
	s_or_b32 exec_lo, exec_lo, s7
	v_lshrrev_b32_e32 v25, 20, v25
	s_delay_alu instid0(VALU_DEP_2) | instskip(SKIP_2) | instid1(VALU_DEP_2)
	v_cmp_gt_i32_e32 vcc_lo, 16, v23
	v_lshrrev_b32_e32 v16, 24, v16
	v_min_i32_e32 v64, 15, v23
	v_dual_cndmask_b32 v25, 7, v25 :: v_dual_and_b32 v16, 0x80, v16
	s_delay_alu instid0(VALU_DEP_2) | instskip(NEXT) | instid1(VALU_DEP_2)
	v_lshlrev_b32_e32 v64, 3, v64
	v_or_b32_e32 v23, v23, v25
	s_delay_alu instid0(VALU_DEP_1) | instskip(SKIP_1) | instid1(VALU_DEP_1)
	v_cmp_ne_u32_e32 vcc_lo, 0, v23
	v_and_b32_e32 v65, 7, v25
	v_or3_b32 v16, v64, v16, v65
	s_delay_alu instid0(VALU_DEP_1)
	v_cndmask_b32_e32 v68, 0, v16, vcc_lo
.LBB6_8467:                             ;   in Loop: Header=BB6_8134 Depth=2
	s_or_b32 exec_lo, exec_lo, s24
.LBB6_8468:                             ;   in Loop: Header=BB6_8134 Depth=2
	s_delay_alu instid0(SALU_CYCLE_1)
	s_or_b32 exec_lo, exec_lo, s23
	flat_load_u8 v16, v[10:11] offset:864 slc dlc
	s_mov_b32 s7, 0
	s_mov_b32 s24, exec_lo
                                        ; implicit-def: $sgpr23
	s_waitcnt vmcnt(0) lgkmcnt(0)
	v_cmpx_lt_i16_e32 0x7f, v16
	s_xor_b32 s24, exec_lo, s24
	s_cbranch_execnz .LBB6_9149
; %bb.8469:                             ;   in Loop: Header=BB6_8134 Depth=2
	s_or_saveexec_b32 s24, s24
	v_mov_b32_e32 v23, s23
	s_xor_b32 exec_lo, exec_lo, s24
	s_cbranch_execnz .LBB6_9152
.LBB6_8470:                             ;   in Loop: Header=BB6_8134 Depth=2
	s_or_b32 exec_lo, exec_lo, s24
	s_and_saveexec_b32 s23, s7
	s_cbranch_execz .LBB6_8472
.LBB6_8471:                             ;   in Loop: Header=BB6_8134 Depth=2
	v_and_b32_e32 v23, 0xffff, v16
	s_delay_alu instid0(VALU_DEP_1) | instskip(NEXT) | instid1(VALU_DEP_1)
	v_and_b32_e32 v25, 7, v23
	v_clz_i32_u32_e32 v64, v25
	s_delay_alu instid0(VALU_DEP_1) | instskip(NEXT) | instid1(VALU_DEP_1)
	v_min_u32_e32 v64, 32, v64
	v_subrev_nc_u32_e32 v65, 28, v64
	v_sub_nc_u32_e32 v64, 29, v64
	s_delay_alu instid0(VALU_DEP_2) | instskip(SKIP_1) | instid1(VALU_DEP_2)
	v_lshlrev_b32_e32 v65, v65, v23
	v_bfe_u32 v23, v23, 3, 4
	v_and_b32_e32 v65, 7, v65
	s_delay_alu instid0(VALU_DEP_2) | instskip(NEXT) | instid1(VALU_DEP_2)
	v_cmp_eq_u32_e32 vcc_lo, 0, v23
	v_dual_cndmask_b32 v25, v25, v65 :: v_dual_lshlrev_b32 v16, 24, v16
	v_cndmask_b32_e32 v23, v23, v64, vcc_lo
	s_delay_alu instid0(VALU_DEP_2) | instskip(NEXT) | instid1(VALU_DEP_3)
	v_and_b32_e32 v16, 0x80000000, v16
	v_lshlrev_b32_e32 v25, 20, v25
	s_delay_alu instid0(VALU_DEP_3) | instskip(NEXT) | instid1(VALU_DEP_1)
	v_lshl_add_u32 v23, v23, 23, 0x3b800000
	v_or3_b32 v23, v16, v23, v25
.LBB6_8472:                             ;   in Loop: Header=BB6_8134 Depth=2
	s_or_b32 exec_lo, exec_lo, s23
	s_delay_alu instid0(VALU_DEP_1) | instskip(SKIP_2) | instid1(VALU_DEP_2)
	v_mul_f32_e32 v16, v17, v23
	v_mov_b32_e32 v66, 0x80
	s_mov_b32 s23, exec_lo
	v_and_b32_e32 v23, 0x7f800000, v16
	s_delay_alu instid0(VALU_DEP_1)
	v_cmpx_ne_u32_e32 0x7f800000, v23
	s_cbranch_execz .LBB6_8480
; %bb.8473:                             ;   in Loop: Header=BB6_8134 Depth=2
	v_mov_b32_e32 v66, 0
	s_mov_b32 s24, exec_lo
	v_cmpx_ne_u32_e32 0, v16
	s_cbranch_execz .LBB6_8479
; %bb.8474:                             ;   in Loop: Header=BB6_8134 Depth=2
	v_bfe_u32 v23, v16, 23, 8
	v_and_b32_e32 v25, 0x7fffff, v16
	s_delay_alu instid0(VALU_DEP_2) | instskip(SKIP_1) | instid1(VALU_DEP_3)
	v_sub_nc_u32_e32 v64, 0x78, v23
	v_cmp_gt_u32_e32 vcc_lo, 0x79, v23
	v_or_b32_e32 v65, 0x800000, v25
	s_delay_alu instid0(VALU_DEP_3) | instskip(SKIP_2) | instid1(VALU_DEP_4)
	v_cndmask_b32_e32 v64, 0, v64, vcc_lo
	v_cmp_eq_u32_e32 vcc_lo, 0, v23
	v_add_nc_u32_e32 v23, 0xffffff89, v23
	v_cndmask_b32_e32 v25, v65, v25, vcc_lo
	s_delay_alu instid0(VALU_DEP_4) | instskip(NEXT) | instid1(VALU_DEP_3)
	v_cndmask_b32_e64 v64, v64, 0x77, vcc_lo
	v_cndmask_b32_e64 v23, v23, 0xffffff8a, vcc_lo
	s_delay_alu instid0(VALU_DEP_2) | instskip(SKIP_2) | instid1(VALU_DEP_4)
	v_lshrrev_b32_e32 v66, v64, v25
	v_lshl_add_u32 v65, 0x100000, v64, -1
	v_lshlrev_b32_e64 v115, v64, 0x80000
	v_add_nc_u32_e32 v64, v64, v23
	s_delay_alu instid0(VALU_DEP_4) | instskip(NEXT) | instid1(VALU_DEP_4)
	v_bfe_u32 v69, v66, 20, 1
	v_and_b32_e32 v25, v65, v25
	s_delay_alu instid0(VALU_DEP_2) | instskip(NEXT) | instid1(VALU_DEP_2)
	v_add_nc_u32_e32 v65, -1, v69
	v_cmp_eq_u32_e64 s7, v25, v115
	s_delay_alu instid0(VALU_DEP_1) | instskip(SKIP_2) | instid1(VALU_DEP_2)
	v_cndmask_b32_e64 v25, 0, v65, s7
	v_lshrrev_b32_e32 v65, 23, v66
	s_mov_b32 s7, exec_lo
	v_add_nc_u32_e32 v25, v25, v66
	s_delay_alu instid0(VALU_DEP_2) | instskip(NEXT) | instid1(VALU_DEP_2)
	v_xor_b32_e32 v65, 1, v65
	v_and_b32_e32 v23, 0xfffff, v25
	s_delay_alu instid0(VALU_DEP_1) | instskip(NEXT) | instid1(VALU_DEP_3)
	v_add_nc_u32_e32 v25, v23, v66
                                        ; implicit-def: $vgpr23
	v_cmpx_ne_u32_e64 v64, v65
	s_xor_b32 s7, exec_lo, s7
; %bb.8475:                             ;   in Loop: Header=BB6_8134 Depth=2
	s_delay_alu instid0(VALU_DEP_2) | instskip(SKIP_2) | instid1(VALU_DEP_2)
	v_cmp_lt_u32_e32 vcc_lo, 0xffffff, v25
	v_sub_nc_u32_e32 v23, v64, v65
	v_cndmask_b32_e64 v64, 0, 1, vcc_lo
	v_add_co_ci_u32_e32 v23, vcc_lo, 0, v23, vcc_lo
	s_delay_alu instid0(VALU_DEP_2)
	v_lshrrev_b32_e32 v25, v64, v25
; %bb.8476:                             ;   in Loop: Header=BB6_8134 Depth=2
	s_and_not1_saveexec_b32 s7, s7
; %bb.8477:                             ;   in Loop: Header=BB6_8134 Depth=2
	s_delay_alu instid0(VALU_DEP_1)
	v_bfe_u32 v23, v25, 23, 1
; %bb.8478:                             ;   in Loop: Header=BB6_8134 Depth=2
	s_or_b32 exec_lo, exec_lo, s7
	v_lshrrev_b32_e32 v25, 20, v25
	s_delay_alu instid0(VALU_DEP_2) | instskip(SKIP_2) | instid1(VALU_DEP_2)
	v_cmp_gt_i32_e32 vcc_lo, 16, v23
	v_lshrrev_b32_e32 v16, 24, v16
	v_min_i32_e32 v64, 15, v23
	v_dual_cndmask_b32 v25, 7, v25 :: v_dual_and_b32 v16, 0x80, v16
	s_delay_alu instid0(VALU_DEP_2) | instskip(NEXT) | instid1(VALU_DEP_2)
	v_lshlrev_b32_e32 v64, 3, v64
	v_or_b32_e32 v23, v23, v25
	s_delay_alu instid0(VALU_DEP_1) | instskip(SKIP_1) | instid1(VALU_DEP_1)
	v_cmp_ne_u32_e32 vcc_lo, 0, v23
	v_and_b32_e32 v65, 7, v25
	v_or3_b32 v16, v64, v16, v65
	s_delay_alu instid0(VALU_DEP_1)
	v_cndmask_b32_e32 v66, 0, v16, vcc_lo
.LBB6_8479:                             ;   in Loop: Header=BB6_8134 Depth=2
	s_or_b32 exec_lo, exec_lo, s24
.LBB6_8480:                             ;   in Loop: Header=BB6_8134 Depth=2
	s_delay_alu instid0(SALU_CYCLE_1)
	s_or_b32 exec_lo, exec_lo, s23
	flat_load_u8 v16, v[10:11] offset:896 slc dlc
	s_mov_b32 s7, 0
	s_mov_b32 s24, exec_lo
                                        ; implicit-def: $sgpr23
	s_waitcnt vmcnt(0) lgkmcnt(0)
	v_cmpx_lt_i16_e32 0x7f, v16
	s_xor_b32 s24, exec_lo, s24
	s_cbranch_execnz .LBB6_9153
; %bb.8481:                             ;   in Loop: Header=BB6_8134 Depth=2
	s_or_saveexec_b32 s24, s24
	v_mov_b32_e32 v23, s23
	s_xor_b32 exec_lo, exec_lo, s24
	s_cbranch_execnz .LBB6_9156
.LBB6_8482:                             ;   in Loop: Header=BB6_8134 Depth=2
	s_or_b32 exec_lo, exec_lo, s24
	s_and_saveexec_b32 s23, s7
	s_cbranch_execz .LBB6_8484
.LBB6_8483:                             ;   in Loop: Header=BB6_8134 Depth=2
	v_and_b32_e32 v23, 0xffff, v16
	s_delay_alu instid0(VALU_DEP_1) | instskip(NEXT) | instid1(VALU_DEP_1)
	v_and_b32_e32 v25, 7, v23
	v_clz_i32_u32_e32 v64, v25
	s_delay_alu instid0(VALU_DEP_1) | instskip(NEXT) | instid1(VALU_DEP_1)
	v_min_u32_e32 v64, 32, v64
	v_subrev_nc_u32_e32 v65, 28, v64
	v_sub_nc_u32_e32 v64, 29, v64
	s_delay_alu instid0(VALU_DEP_2) | instskip(SKIP_1) | instid1(VALU_DEP_2)
	v_lshlrev_b32_e32 v65, v65, v23
	v_bfe_u32 v23, v23, 3, 4
	v_and_b32_e32 v65, 7, v65
	s_delay_alu instid0(VALU_DEP_2) | instskip(NEXT) | instid1(VALU_DEP_2)
	v_cmp_eq_u32_e32 vcc_lo, 0, v23
	v_dual_cndmask_b32 v25, v25, v65 :: v_dual_lshlrev_b32 v16, 24, v16
	v_cndmask_b32_e32 v23, v23, v64, vcc_lo
	s_delay_alu instid0(VALU_DEP_2) | instskip(NEXT) | instid1(VALU_DEP_3)
	v_and_b32_e32 v16, 0x80000000, v16
	v_lshlrev_b32_e32 v25, 20, v25
	s_delay_alu instid0(VALU_DEP_3) | instskip(NEXT) | instid1(VALU_DEP_1)
	v_lshl_add_u32 v23, v23, 23, 0x3b800000
	v_or3_b32 v23, v16, v23, v25
.LBB6_8484:                             ;   in Loop: Header=BB6_8134 Depth=2
	s_or_b32 exec_lo, exec_lo, s23
	s_delay_alu instid0(VALU_DEP_1) | instskip(SKIP_1) | instid1(VALU_DEP_1)
	v_dual_mul_f32 v16, v17, v23 :: v_dual_mov_b32 v65, 0x80
	s_mov_b32 s23, exec_lo
	v_and_b32_e32 v23, 0x7f800000, v16
	s_delay_alu instid0(VALU_DEP_1)
	v_cmpx_ne_u32_e32 0x7f800000, v23
	s_cbranch_execz .LBB6_8492
; %bb.8485:                             ;   in Loop: Header=BB6_8134 Depth=2
	v_mov_b32_e32 v65, 0
	s_mov_b32 s24, exec_lo
	v_cmpx_ne_u32_e32 0, v16
	s_cbranch_execz .LBB6_8491
; %bb.8486:                             ;   in Loop: Header=BB6_8134 Depth=2
	v_bfe_u32 v23, v16, 23, 8
	v_and_b32_e32 v25, 0x7fffff, v16
	s_delay_alu instid0(VALU_DEP_2) | instskip(SKIP_1) | instid1(VALU_DEP_3)
	v_sub_nc_u32_e32 v64, 0x78, v23
	v_cmp_gt_u32_e32 vcc_lo, 0x79, v23
	v_or_b32_e32 v65, 0x800000, v25
	s_delay_alu instid0(VALU_DEP_3) | instskip(SKIP_2) | instid1(VALU_DEP_4)
	v_cndmask_b32_e32 v64, 0, v64, vcc_lo
	v_cmp_eq_u32_e32 vcc_lo, 0, v23
	v_add_nc_u32_e32 v23, 0xffffff89, v23
	v_cndmask_b32_e32 v25, v65, v25, vcc_lo
	s_delay_alu instid0(VALU_DEP_4) | instskip(NEXT) | instid1(VALU_DEP_3)
	v_cndmask_b32_e64 v64, v64, 0x77, vcc_lo
	v_cndmask_b32_e64 v23, v23, 0xffffff8a, vcc_lo
	s_delay_alu instid0(VALU_DEP_2) | instskip(SKIP_2) | instid1(VALU_DEP_4)
	v_lshrrev_b32_e32 v69, v64, v25
	v_lshl_add_u32 v65, 0x100000, v64, -1
	v_lshlrev_b32_e64 v129, v64, 0x80000
	v_add_nc_u32_e32 v64, v64, v23
	s_delay_alu instid0(VALU_DEP_4) | instskip(NEXT) | instid1(VALU_DEP_4)
	v_bfe_u32 v115, v69, 20, 1
	v_and_b32_e32 v25, v65, v25
	s_delay_alu instid0(VALU_DEP_2) | instskip(NEXT) | instid1(VALU_DEP_2)
	v_add_nc_u32_e32 v65, -1, v115
	v_cmp_eq_u32_e64 s7, v25, v129
	s_delay_alu instid0(VALU_DEP_1) | instskip(SKIP_2) | instid1(VALU_DEP_2)
	v_cndmask_b32_e64 v25, 0, v65, s7
	v_lshrrev_b32_e32 v65, 23, v69
	s_mov_b32 s7, exec_lo
	v_add_nc_u32_e32 v25, v25, v69
	s_delay_alu instid0(VALU_DEP_2) | instskip(NEXT) | instid1(VALU_DEP_2)
	v_xor_b32_e32 v65, 1, v65
	v_and_b32_e32 v23, 0xfffff, v25
	s_delay_alu instid0(VALU_DEP_1) | instskip(NEXT) | instid1(VALU_DEP_3)
	v_add_nc_u32_e32 v25, v23, v69
                                        ; implicit-def: $vgpr23
	v_cmpx_ne_u32_e64 v64, v65
	s_xor_b32 s7, exec_lo, s7
; %bb.8487:                             ;   in Loop: Header=BB6_8134 Depth=2
	s_delay_alu instid0(VALU_DEP_2) | instskip(SKIP_2) | instid1(VALU_DEP_2)
	v_cmp_lt_u32_e32 vcc_lo, 0xffffff, v25
	v_sub_nc_u32_e32 v23, v64, v65
	v_cndmask_b32_e64 v64, 0, 1, vcc_lo
	v_add_co_ci_u32_e32 v23, vcc_lo, 0, v23, vcc_lo
	s_delay_alu instid0(VALU_DEP_2)
	v_lshrrev_b32_e32 v25, v64, v25
; %bb.8488:                             ;   in Loop: Header=BB6_8134 Depth=2
	s_and_not1_saveexec_b32 s7, s7
; %bb.8489:                             ;   in Loop: Header=BB6_8134 Depth=2
	s_delay_alu instid0(VALU_DEP_1)
	v_bfe_u32 v23, v25, 23, 1
; %bb.8490:                             ;   in Loop: Header=BB6_8134 Depth=2
	s_or_b32 exec_lo, exec_lo, s7
	v_lshrrev_b32_e32 v25, 20, v25
	s_delay_alu instid0(VALU_DEP_2) | instskip(SKIP_2) | instid1(VALU_DEP_2)
	v_cmp_gt_i32_e32 vcc_lo, 16, v23
	v_lshrrev_b32_e32 v16, 24, v16
	v_min_i32_e32 v64, 15, v23
	v_dual_cndmask_b32 v25, 7, v25 :: v_dual_and_b32 v16, 0x80, v16
	s_delay_alu instid0(VALU_DEP_2) | instskip(NEXT) | instid1(VALU_DEP_2)
	v_lshlrev_b32_e32 v64, 3, v64
	v_and_b32_e32 v65, 7, v25
	v_or_b32_e32 v23, v23, v25
	s_delay_alu instid0(VALU_DEP_2) | instskip(NEXT) | instid1(VALU_DEP_2)
	v_or3_b32 v16, v64, v16, v65
	v_cmp_ne_u32_e32 vcc_lo, 0, v23
	s_delay_alu instid0(VALU_DEP_2)
	v_cndmask_b32_e32 v65, 0, v16, vcc_lo
.LBB6_8491:                             ;   in Loop: Header=BB6_8134 Depth=2
	s_or_b32 exec_lo, exec_lo, s24
.LBB6_8492:                             ;   in Loop: Header=BB6_8134 Depth=2
	s_delay_alu instid0(SALU_CYCLE_1)
	s_or_b32 exec_lo, exec_lo, s23
	flat_load_u8 v16, v[10:11] offset:928 slc dlc
	s_mov_b32 s7, 0
	s_mov_b32 s24, exec_lo
                                        ; implicit-def: $sgpr23
	s_waitcnt vmcnt(0) lgkmcnt(0)
	v_cmpx_lt_i16_e32 0x7f, v16
	s_xor_b32 s24, exec_lo, s24
	s_cbranch_execnz .LBB6_9157
; %bb.8493:                             ;   in Loop: Header=BB6_8134 Depth=2
	s_or_saveexec_b32 s24, s24
	v_mov_b32_e32 v23, s23
	s_xor_b32 exec_lo, exec_lo, s24
	s_cbranch_execnz .LBB6_9160
.LBB6_8494:                             ;   in Loop: Header=BB6_8134 Depth=2
	s_or_b32 exec_lo, exec_lo, s24
	s_and_saveexec_b32 s23, s7
	s_cbranch_execz .LBB6_8496
.LBB6_8495:                             ;   in Loop: Header=BB6_8134 Depth=2
	v_and_b32_e32 v23, 0xffff, v16
	s_delay_alu instid0(VALU_DEP_1) | instskip(NEXT) | instid1(VALU_DEP_1)
	v_and_b32_e32 v25, 7, v23
	v_clz_i32_u32_e32 v64, v25
	s_delay_alu instid0(VALU_DEP_1) | instskip(NEXT) | instid1(VALU_DEP_1)
	v_min_u32_e32 v64, 32, v64
	v_subrev_nc_u32_e32 v69, 28, v64
	v_sub_nc_u32_e32 v64, 29, v64
	s_delay_alu instid0(VALU_DEP_2) | instskip(SKIP_1) | instid1(VALU_DEP_2)
	v_lshlrev_b32_e32 v69, v69, v23
	v_bfe_u32 v23, v23, 3, 4
	v_and_b32_e32 v69, 7, v69
	s_delay_alu instid0(VALU_DEP_2) | instskip(NEXT) | instid1(VALU_DEP_2)
	v_cmp_eq_u32_e32 vcc_lo, 0, v23
	v_dual_cndmask_b32 v25, v25, v69 :: v_dual_lshlrev_b32 v16, 24, v16
	v_cndmask_b32_e32 v23, v23, v64, vcc_lo
	s_delay_alu instid0(VALU_DEP_2) | instskip(NEXT) | instid1(VALU_DEP_3)
	v_and_b32_e32 v16, 0x80000000, v16
	v_lshlrev_b32_e32 v25, 20, v25
	s_delay_alu instid0(VALU_DEP_3) | instskip(NEXT) | instid1(VALU_DEP_1)
	v_lshl_add_u32 v23, v23, 23, 0x3b800000
	v_or3_b32 v23, v16, v23, v25
.LBB6_8496:                             ;   in Loop: Header=BB6_8134 Depth=2
	s_or_b32 exec_lo, exec_lo, s23
	s_delay_alu instid0(VALU_DEP_1) | instskip(SKIP_1) | instid1(VALU_DEP_1)
	v_dual_mul_f32 v16, v17, v23 :: v_dual_mov_b32 v25, 0x80
	s_mov_b32 s23, exec_lo
	v_and_b32_e32 v23, 0x7f800000, v16
	s_delay_alu instid0(VALU_DEP_1)
	v_cmpx_ne_u32_e32 0x7f800000, v23
	s_cbranch_execz .LBB6_8504
; %bb.8497:                             ;   in Loop: Header=BB6_8134 Depth=2
	v_mov_b32_e32 v25, 0
	s_mov_b32 s24, exec_lo
	v_cmpx_ne_u32_e32 0, v16
	s_cbranch_execz .LBB6_8503
; %bb.8498:                             ;   in Loop: Header=BB6_8134 Depth=2
	v_bfe_u32 v23, v16, 23, 8
	v_and_b32_e32 v25, 0x7fffff, v16
	s_delay_alu instid0(VALU_DEP_2) | instskip(SKIP_1) | instid1(VALU_DEP_3)
	v_sub_nc_u32_e32 v64, 0x78, v23
	v_cmp_gt_u32_e32 vcc_lo, 0x79, v23
	v_or_b32_e32 v69, 0x800000, v25
	s_delay_alu instid0(VALU_DEP_3) | instskip(SKIP_2) | instid1(VALU_DEP_4)
	v_cndmask_b32_e32 v64, 0, v64, vcc_lo
	v_cmp_eq_u32_e32 vcc_lo, 0, v23
	v_add_nc_u32_e32 v23, 0xffffff89, v23
	v_cndmask_b32_e32 v25, v69, v25, vcc_lo
	s_delay_alu instid0(VALU_DEP_4) | instskip(NEXT) | instid1(VALU_DEP_3)
	v_cndmask_b32_e64 v64, v64, 0x77, vcc_lo
	v_cndmask_b32_e64 v23, v23, 0xffffff8a, vcc_lo
	s_delay_alu instid0(VALU_DEP_2) | instskip(SKIP_2) | instid1(VALU_DEP_4)
	v_lshrrev_b32_e32 v115, v64, v25
	v_lshl_add_u32 v69, 0x100000, v64, -1
	v_lshlrev_b32_e64 v134, v64, 0x80000
	v_add_nc_u32_e32 v64, v64, v23
	s_delay_alu instid0(VALU_DEP_4) | instskip(NEXT) | instid1(VALU_DEP_4)
	v_bfe_u32 v129, v115, 20, 1
	v_and_b32_e32 v25, v69, v25
	s_delay_alu instid0(VALU_DEP_2) | instskip(NEXT) | instid1(VALU_DEP_2)
	v_add_nc_u32_e32 v69, -1, v129
	v_cmp_eq_u32_e64 s7, v25, v134
	s_delay_alu instid0(VALU_DEP_1) | instskip(SKIP_2) | instid1(VALU_DEP_2)
	v_cndmask_b32_e64 v25, 0, v69, s7
	v_lshrrev_b32_e32 v69, 23, v115
	s_mov_b32 s7, exec_lo
	v_add_nc_u32_e32 v25, v25, v115
	s_delay_alu instid0(VALU_DEP_2) | instskip(NEXT) | instid1(VALU_DEP_2)
	v_xor_b32_e32 v69, 1, v69
	v_and_b32_e32 v23, 0xfffff, v25
	s_delay_alu instid0(VALU_DEP_1) | instskip(NEXT) | instid1(VALU_DEP_3)
	v_add_nc_u32_e32 v25, v23, v115
                                        ; implicit-def: $vgpr23
	v_cmpx_ne_u32_e64 v64, v69
	s_xor_b32 s7, exec_lo, s7
; %bb.8499:                             ;   in Loop: Header=BB6_8134 Depth=2
	s_delay_alu instid0(VALU_DEP_2) | instskip(SKIP_2) | instid1(VALU_DEP_2)
	v_cmp_lt_u32_e32 vcc_lo, 0xffffff, v25
	v_sub_nc_u32_e32 v23, v64, v69
	v_cndmask_b32_e64 v64, 0, 1, vcc_lo
	v_add_co_ci_u32_e32 v23, vcc_lo, 0, v23, vcc_lo
	s_delay_alu instid0(VALU_DEP_2)
	v_lshrrev_b32_e32 v25, v64, v25
; %bb.8500:                             ;   in Loop: Header=BB6_8134 Depth=2
	s_and_not1_saveexec_b32 s7, s7
; %bb.8501:                             ;   in Loop: Header=BB6_8134 Depth=2
	s_delay_alu instid0(VALU_DEP_1)
	v_bfe_u32 v23, v25, 23, 1
; %bb.8502:                             ;   in Loop: Header=BB6_8134 Depth=2
	s_or_b32 exec_lo, exec_lo, s7
	v_lshrrev_b32_e32 v25, 20, v25
	s_delay_alu instid0(VALU_DEP_2) | instskip(SKIP_2) | instid1(VALU_DEP_2)
	v_cmp_gt_i32_e32 vcc_lo, 16, v23
	v_lshrrev_b32_e32 v16, 24, v16
	v_min_i32_e32 v64, 15, v23
	v_dual_cndmask_b32 v25, 7, v25 :: v_dual_and_b32 v16, 0x80, v16
	s_delay_alu instid0(VALU_DEP_2) | instskip(NEXT) | instid1(VALU_DEP_2)
	v_lshlrev_b32_e32 v64, 3, v64
	v_and_b32_e32 v69, 7, v25
	v_or_b32_e32 v23, v23, v25
	s_delay_alu instid0(VALU_DEP_2) | instskip(NEXT) | instid1(VALU_DEP_2)
	v_or3_b32 v16, v64, v16, v69
	v_cmp_ne_u32_e32 vcc_lo, 0, v23
	s_delay_alu instid0(VALU_DEP_2)
	v_cndmask_b32_e32 v25, 0, v16, vcc_lo
.LBB6_8503:                             ;   in Loop: Header=BB6_8134 Depth=2
	s_or_b32 exec_lo, exec_lo, s24
.LBB6_8504:                             ;   in Loop: Header=BB6_8134 Depth=2
	s_delay_alu instid0(SALU_CYCLE_1)
	s_or_b32 exec_lo, exec_lo, s23
	flat_load_u8 v16, v[10:11] offset:960 slc dlc
	s_mov_b32 s7, 0
	s_mov_b32 s24, exec_lo
                                        ; implicit-def: $sgpr23
	s_waitcnt vmcnt(0) lgkmcnt(0)
	v_cmpx_lt_i16_e32 0x7f, v16
	s_xor_b32 s24, exec_lo, s24
	s_cbranch_execnz .LBB6_9161
; %bb.8505:                             ;   in Loop: Header=BB6_8134 Depth=2
	s_or_saveexec_b32 s24, s24
	v_mov_b32_e32 v23, s23
	s_xor_b32 exec_lo, exec_lo, s24
	s_cbranch_execnz .LBB6_9164
.LBB6_8506:                             ;   in Loop: Header=BB6_8134 Depth=2
	s_or_b32 exec_lo, exec_lo, s24
	s_and_saveexec_b32 s23, s7
	s_cbranch_execz .LBB6_8508
.LBB6_8507:                             ;   in Loop: Header=BB6_8134 Depth=2
	v_and_b32_e32 v23, 0xffff, v16
	v_lshlrev_b32_e32 v16, 24, v16
	s_delay_alu instid0(VALU_DEP_2) | instskip(NEXT) | instid1(VALU_DEP_2)
	v_and_b32_e32 v64, 7, v23
	v_and_b32_e32 v16, 0x80000000, v16
	s_delay_alu instid0(VALU_DEP_2) | instskip(NEXT) | instid1(VALU_DEP_1)
	v_clz_i32_u32_e32 v69, v64
	v_min_u32_e32 v69, 32, v69
	s_delay_alu instid0(VALU_DEP_1) | instskip(SKIP_1) | instid1(VALU_DEP_2)
	v_subrev_nc_u32_e32 v115, 28, v69
	v_sub_nc_u32_e32 v69, 29, v69
	v_lshlrev_b32_e32 v115, v115, v23
	v_bfe_u32 v23, v23, 3, 4
	s_delay_alu instid0(VALU_DEP_2) | instskip(NEXT) | instid1(VALU_DEP_2)
	v_and_b32_e32 v115, 7, v115
	v_cmp_eq_u32_e32 vcc_lo, 0, v23
	s_delay_alu instid0(VALU_DEP_2) | instskip(NEXT) | instid1(VALU_DEP_1)
	v_dual_cndmask_b32 v23, v23, v69 :: v_dual_cndmask_b32 v64, v64, v115
	v_lshl_add_u32 v23, v23, 23, 0x3b800000
	s_delay_alu instid0(VALU_DEP_2) | instskip(NEXT) | instid1(VALU_DEP_1)
	v_lshlrev_b32_e32 v64, 20, v64
	v_or3_b32 v23, v16, v23, v64
.LBB6_8508:                             ;   in Loop: Header=BB6_8134 Depth=2
	s_or_b32 exec_lo, exec_lo, s23
	s_delay_alu instid0(VALU_DEP_1) | instskip(NEXT) | instid1(VALU_DEP_1)
	v_mul_f32_e32 v16, v17, v23
	v_and_b32_e32 v23, 0x7f800000, v16
	s_delay_alu instid0(VALU_DEP_1)
	v_cmp_ne_u32_e32 vcc_lo, 0x7f800000, v23
	v_mov_b32_e32 v23, 0x80
	s_and_saveexec_b32 s23, vcc_lo
	s_cbranch_execz .LBB6_8516
; %bb.8509:                             ;   in Loop: Header=BB6_8134 Depth=2
	v_mov_b32_e32 v23, 0
	s_mov_b32 s24, exec_lo
	v_cmpx_ne_u32_e32 0, v16
	s_cbranch_execz .LBB6_8515
; %bb.8510:                             ;   in Loop: Header=BB6_8134 Depth=2
	v_bfe_u32 v23, v16, 23, 8
	s_delay_alu instid0(VALU_DEP_1) | instskip(SKIP_1) | instid1(VALU_DEP_2)
	v_sub_nc_u32_e32 v69, 0x78, v23
	v_cmp_gt_u32_e32 vcc_lo, 0x79, v23
	v_dual_cndmask_b32 v69, 0, v69 :: v_dual_and_b32 v64, 0x7fffff, v16
	s_delay_alu instid0(VALU_DEP_1) | instskip(SKIP_2) | instid1(VALU_DEP_4)
	v_or_b32_e32 v115, 0x800000, v64
	v_cmp_eq_u32_e32 vcc_lo, 0, v23
	v_add_nc_u32_e32 v23, 0xffffff89, v23
	v_cndmask_b32_e64 v69, v69, 0x77, vcc_lo
	s_delay_alu instid0(VALU_DEP_4) | instskip(NEXT) | instid1(VALU_DEP_3)
	v_cndmask_b32_e32 v64, v115, v64, vcc_lo
	v_cndmask_b32_e64 v23, v23, 0xffffff8a, vcc_lo
	s_delay_alu instid0(VALU_DEP_3) | instskip(NEXT) | instid1(VALU_DEP_3)
	v_lshl_add_u32 v115, 0x100000, v69, -1
	v_lshrrev_b32_e32 v129, v69, v64
	v_lshlrev_b32_e64 v147, v69, 0x80000
	s_delay_alu instid0(VALU_DEP_4) | instskip(NEXT) | instid1(VALU_DEP_4)
	v_add_nc_u32_e32 v69, v69, v23
	v_and_b32_e32 v64, v115, v64
	s_delay_alu instid0(VALU_DEP_4) | instskip(NEXT) | instid1(VALU_DEP_2)
	v_bfe_u32 v134, v129, 20, 1
	v_cmp_eq_u32_e64 s7, v64, v147
	s_delay_alu instid0(VALU_DEP_2) | instskip(NEXT) | instid1(VALU_DEP_1)
	v_add_nc_u32_e32 v115, -1, v134
	v_cndmask_b32_e64 v64, 0, v115, s7
	v_lshrrev_b32_e32 v115, 23, v129
	s_mov_b32 s7, exec_lo
	s_delay_alu instid0(VALU_DEP_2) | instskip(NEXT) | instid1(VALU_DEP_2)
	v_add_nc_u32_e32 v64, v64, v129
	v_xor_b32_e32 v115, 1, v115
	s_delay_alu instid0(VALU_DEP_2) | instskip(NEXT) | instid1(VALU_DEP_1)
	v_and_b32_e32 v23, 0xfffff, v64
	v_add_nc_u32_e32 v64, v23, v129
                                        ; implicit-def: $vgpr23
	s_delay_alu instid0(VALU_DEP_3)
	v_cmpx_ne_u32_e64 v69, v115
	s_xor_b32 s7, exec_lo, s7
; %bb.8511:                             ;   in Loop: Header=BB6_8134 Depth=2
	s_delay_alu instid0(VALU_DEP_2) | instskip(SKIP_2) | instid1(VALU_DEP_2)
	v_cmp_lt_u32_e32 vcc_lo, 0xffffff, v64
	v_sub_nc_u32_e32 v23, v69, v115
	v_cndmask_b32_e64 v69, 0, 1, vcc_lo
	v_add_co_ci_u32_e32 v23, vcc_lo, 0, v23, vcc_lo
	s_delay_alu instid0(VALU_DEP_2)
	v_lshrrev_b32_e32 v64, v69, v64
; %bb.8512:                             ;   in Loop: Header=BB6_8134 Depth=2
	s_and_not1_saveexec_b32 s7, s7
; %bb.8513:                             ;   in Loop: Header=BB6_8134 Depth=2
	s_delay_alu instid0(VALU_DEP_1)
	v_bfe_u32 v23, v64, 23, 1
; %bb.8514:                             ;   in Loop: Header=BB6_8134 Depth=2
	s_or_b32 exec_lo, exec_lo, s7
	v_lshrrev_b32_e32 v64, 20, v64
	s_delay_alu instid0(VALU_DEP_2) | instskip(SKIP_2) | instid1(VALU_DEP_4)
	v_cmp_gt_i32_e32 vcc_lo, 16, v23
	v_lshrrev_b32_e32 v16, 24, v16
	v_min_i32_e32 v69, 15, v23
	v_cndmask_b32_e32 v64, 7, v64, vcc_lo
	s_delay_alu instid0(VALU_DEP_3) | instskip(NEXT) | instid1(VALU_DEP_3)
	v_and_b32_e32 v16, 0x80, v16
	v_lshlrev_b32_e32 v69, 3, v69
	s_delay_alu instid0(VALU_DEP_3) | instskip(SKIP_1) | instid1(VALU_DEP_2)
	v_and_b32_e32 v115, 7, v64
	v_or_b32_e32 v23, v23, v64
	v_or3_b32 v16, v69, v16, v115
	s_delay_alu instid0(VALU_DEP_2) | instskip(NEXT) | instid1(VALU_DEP_2)
	v_cmp_ne_u32_e32 vcc_lo, 0, v23
	v_cndmask_b32_e32 v23, 0, v16, vcc_lo
.LBB6_8515:                             ;   in Loop: Header=BB6_8134 Depth=2
	s_or_b32 exec_lo, exec_lo, s24
.LBB6_8516:                             ;   in Loop: Header=BB6_8134 Depth=2
	s_delay_alu instid0(SALU_CYCLE_1)
	s_or_b32 exec_lo, exec_lo, s23
	flat_load_u8 v16, v[10:11] offset:992 slc dlc
	s_mov_b32 s7, 0
	s_mov_b32 s24, exec_lo
                                        ; implicit-def: $sgpr23
	s_waitcnt vmcnt(0) lgkmcnt(0)
	v_cmpx_lt_i16_e32 0x7f, v16
	s_xor_b32 s24, exec_lo, s24
	s_cbranch_execnz .LBB6_9165
; %bb.8517:                             ;   in Loop: Header=BB6_8134 Depth=2
	s_or_saveexec_b32 s24, s24
	v_mov_b32_e32 v64, s23
	s_xor_b32 exec_lo, exec_lo, s24
	s_cbranch_execnz .LBB6_9168
.LBB6_8518:                             ;   in Loop: Header=BB6_8134 Depth=2
	s_or_b32 exec_lo, exec_lo, s24
	s_and_saveexec_b32 s23, s7
	s_cbranch_execz .LBB6_8520
.LBB6_8519:                             ;   in Loop: Header=BB6_8134 Depth=2
	v_and_b32_e32 v64, 0xffff, v16
	v_lshlrev_b32_e32 v16, 24, v16
	s_delay_alu instid0(VALU_DEP_2) | instskip(NEXT) | instid1(VALU_DEP_2)
	v_and_b32_e32 v69, 7, v64
	v_and_b32_e32 v16, 0x80000000, v16
	s_delay_alu instid0(VALU_DEP_2) | instskip(NEXT) | instid1(VALU_DEP_1)
	v_clz_i32_u32_e32 v115, v69
	v_min_u32_e32 v115, 32, v115
	s_delay_alu instid0(VALU_DEP_1) | instskip(SKIP_1) | instid1(VALU_DEP_2)
	v_subrev_nc_u32_e32 v129, 28, v115
	v_sub_nc_u32_e32 v115, 29, v115
	v_lshlrev_b32_e32 v129, v129, v64
	v_bfe_u32 v64, v64, 3, 4
	s_delay_alu instid0(VALU_DEP_2) | instskip(NEXT) | instid1(VALU_DEP_2)
	v_and_b32_e32 v129, 7, v129
	v_cmp_eq_u32_e32 vcc_lo, 0, v64
	s_delay_alu instid0(VALU_DEP_2) | instskip(NEXT) | instid1(VALU_DEP_1)
	v_dual_cndmask_b32 v64, v64, v115 :: v_dual_cndmask_b32 v69, v69, v129
	v_lshl_add_u32 v64, v64, 23, 0x3b800000
	s_delay_alu instid0(VALU_DEP_2) | instskip(NEXT) | instid1(VALU_DEP_1)
	v_lshlrev_b32_e32 v69, 20, v69
	v_or3_b32 v64, v16, v64, v69
.LBB6_8520:                             ;   in Loop: Header=BB6_8134 Depth=2
	s_or_b32 exec_lo, exec_lo, s23
	s_delay_alu instid0(VALU_DEP_1) | instskip(NEXT) | instid1(VALU_DEP_1)
	v_mul_f32_e32 v16, v17, v64
	v_and_b32_e32 v17, 0x7f800000, v16
	s_delay_alu instid0(VALU_DEP_1)
	v_cmp_ne_u32_e32 vcc_lo, 0x7f800000, v17
	v_mov_b32_e32 v17, 0x80
	s_and_saveexec_b32 s23, vcc_lo
	s_cbranch_execz .LBB6_8528
; %bb.8521:                             ;   in Loop: Header=BB6_8134 Depth=2
	v_mov_b32_e32 v17, 0
	s_mov_b32 s24, exec_lo
	v_cmpx_ne_u32_e32 0, v16
	s_cbranch_execz .LBB6_8527
; %bb.8522:                             ;   in Loop: Header=BB6_8134 Depth=2
	v_bfe_u32 v17, v16, 23, 8
	s_delay_alu instid0(VALU_DEP_1) | instskip(SKIP_1) | instid1(VALU_DEP_2)
	v_sub_nc_u32_e32 v69, 0x78, v17
	v_cmp_gt_u32_e32 vcc_lo, 0x79, v17
	v_dual_cndmask_b32 v69, 0, v69 :: v_dual_and_b32 v64, 0x7fffff, v16
	s_delay_alu instid0(VALU_DEP_1) | instskip(SKIP_2) | instid1(VALU_DEP_4)
	v_or_b32_e32 v115, 0x800000, v64
	v_cmp_eq_u32_e32 vcc_lo, 0, v17
	v_add_nc_u32_e32 v17, 0xffffff89, v17
	v_cndmask_b32_e64 v69, v69, 0x77, vcc_lo
	s_delay_alu instid0(VALU_DEP_4) | instskip(NEXT) | instid1(VALU_DEP_3)
	v_cndmask_b32_e32 v64, v115, v64, vcc_lo
	v_cndmask_b32_e64 v17, v17, 0xffffff8a, vcc_lo
	s_delay_alu instid0(VALU_DEP_3) | instskip(NEXT) | instid1(VALU_DEP_3)
	v_lshl_add_u32 v115, 0x100000, v69, -1
	v_lshrrev_b32_e32 v129, v69, v64
	v_lshlrev_b32_e64 v147, v69, 0x80000
	s_delay_alu instid0(VALU_DEP_4) | instskip(NEXT) | instid1(VALU_DEP_4)
	v_add_nc_u32_e32 v69, v69, v17
	v_and_b32_e32 v64, v115, v64
	s_delay_alu instid0(VALU_DEP_4) | instskip(NEXT) | instid1(VALU_DEP_2)
	v_bfe_u32 v134, v129, 20, 1
	v_cmp_eq_u32_e64 s7, v64, v147
	s_delay_alu instid0(VALU_DEP_2) | instskip(NEXT) | instid1(VALU_DEP_1)
	v_add_nc_u32_e32 v115, -1, v134
	v_cndmask_b32_e64 v64, 0, v115, s7
	v_lshrrev_b32_e32 v115, 23, v129
	s_mov_b32 s7, exec_lo
	s_delay_alu instid0(VALU_DEP_2) | instskip(NEXT) | instid1(VALU_DEP_2)
	v_add_nc_u32_e32 v64, v64, v129
	v_xor_b32_e32 v115, 1, v115
	s_delay_alu instid0(VALU_DEP_2) | instskip(NEXT) | instid1(VALU_DEP_1)
	v_and_b32_e32 v17, 0xfffff, v64
	v_add_nc_u32_e32 v64, v17, v129
                                        ; implicit-def: $vgpr17
	s_delay_alu instid0(VALU_DEP_3)
	v_cmpx_ne_u32_e64 v69, v115
	s_xor_b32 s7, exec_lo, s7
; %bb.8523:                             ;   in Loop: Header=BB6_8134 Depth=2
	s_delay_alu instid0(VALU_DEP_2) | instskip(SKIP_2) | instid1(VALU_DEP_2)
	v_cmp_lt_u32_e32 vcc_lo, 0xffffff, v64
	v_sub_nc_u32_e32 v17, v69, v115
	v_cndmask_b32_e64 v69, 0, 1, vcc_lo
	v_add_co_ci_u32_e32 v17, vcc_lo, 0, v17, vcc_lo
	s_delay_alu instid0(VALU_DEP_2)
	v_lshrrev_b32_e32 v64, v69, v64
; %bb.8524:                             ;   in Loop: Header=BB6_8134 Depth=2
	s_and_not1_saveexec_b32 s7, s7
; %bb.8525:                             ;   in Loop: Header=BB6_8134 Depth=2
	s_delay_alu instid0(VALU_DEP_1)
	v_bfe_u32 v17, v64, 23, 1
; %bb.8526:                             ;   in Loop: Header=BB6_8134 Depth=2
	s_or_b32 exec_lo, exec_lo, s7
	v_lshrrev_b32_e32 v64, 20, v64
	s_delay_alu instid0(VALU_DEP_2) | instskip(SKIP_2) | instid1(VALU_DEP_4)
	v_cmp_gt_i32_e32 vcc_lo, 16, v17
	v_lshrrev_b32_e32 v16, 24, v16
	v_min_i32_e32 v69, 15, v17
	v_cndmask_b32_e32 v64, 7, v64, vcc_lo
	s_delay_alu instid0(VALU_DEP_3) | instskip(NEXT) | instid1(VALU_DEP_3)
	v_and_b32_e32 v16, 0x80, v16
	v_lshlrev_b32_e32 v69, 3, v69
	s_delay_alu instid0(VALU_DEP_3) | instskip(SKIP_1) | instid1(VALU_DEP_2)
	v_and_b32_e32 v115, 7, v64
	v_or_b32_e32 v17, v17, v64
	v_or3_b32 v16, v69, v16, v115
	s_delay_alu instid0(VALU_DEP_2) | instskip(NEXT) | instid1(VALU_DEP_2)
	v_cmp_ne_u32_e32 vcc_lo, 0, v17
	v_cndmask_b32_e32 v17, 0, v16, vcc_lo
.LBB6_8527:                             ;   in Loop: Header=BB6_8134 Depth=2
	s_or_b32 exec_lo, exec_lo, s24
.LBB6_8528:                             ;   in Loop: Header=BB6_8134 Depth=2
	s_delay_alu instid0(SALU_CYCLE_1)
	s_or_b32 exec_lo, exec_lo, s23
	s_clause 0x1f
	flat_load_u8 v59, v[12:13] slc dlc
	flat_load_u8 v58, v[12:13] offset:32 slc dlc
	flat_load_u8 v57, v[12:13] offset:64 slc dlc
	;; [unrolled: 1-line block ×31, first 2 shown]
	v_and_b32_e32 v61, 0xff, v24
	s_mov_b32 s7, 0
	s_mov_b32 s24, exec_lo
                                        ; implicit-def: $sgpr23
	s_delay_alu instid0(VALU_DEP_1)
	v_cmpx_lt_i16_e32 0x7f, v61
	s_xor_b32 s24, exec_lo, s24
	s_cbranch_execnz .LBB6_9169
; %bb.8529:                             ;   in Loop: Header=BB6_8134 Depth=2
	s_or_saveexec_b32 s24, s24
	v_mov_b32_e32 v60, s23
	s_xor_b32 exec_lo, exec_lo, s24
	s_cbranch_execnz .LBB6_9172
.LBB6_8530:                             ;   in Loop: Header=BB6_8134 Depth=2
	s_or_b32 exec_lo, exec_lo, s24
	s_and_saveexec_b32 s23, s7
	s_cbranch_execz .LBB6_8532
.LBB6_8531:                             ;   in Loop: Header=BB6_8134 Depth=2
	v_lshrrev_b16 v63, 3, v24
	s_delay_alu instid0(VALU_DEP_1) | instskip(NEXT) | instid1(VALU_DEP_1)
	v_and_b32_e32 v63, 15, v63
	v_cmp_eq_u32_e32 vcc_lo, 0, v63
	v_and_b32_e32 v60, 7, v24
	s_delay_alu instid0(VALU_DEP_1) | instskip(NEXT) | instid1(VALU_DEP_1)
	v_clz_i32_u32_e32 v61, v60
	v_min_u32_e32 v61, 32, v61
	s_delay_alu instid0(VALU_DEP_1) | instskip(SKIP_1) | instid1(VALU_DEP_1)
	v_subrev_nc_u32_e32 v62, 28, v61
	v_sub_nc_u32_e32 v61, 29, v61
	v_dual_cndmask_b32 v61, v63, v61 :: v_dual_lshlrev_b32 v62, v62, v24
	v_lshlrev_b32_e32 v24, 24, v24
	s_delay_alu instid0(VALU_DEP_2) | instskip(NEXT) | instid1(VALU_DEP_3)
	v_and_b32_e32 v62, 7, v62
	v_lshl_add_u32 v61, v61, 23, 0x3b800000
	s_delay_alu instid0(VALU_DEP_3) | instskip(NEXT) | instid1(VALU_DEP_3)
	v_and_b32_e32 v24, 0x80000000, v24
	v_cndmask_b32_e32 v60, v60, v62, vcc_lo
	s_delay_alu instid0(VALU_DEP_1) | instskip(NEXT) | instid1(VALU_DEP_1)
	v_lshlrev_b32_e32 v60, 20, v60
	v_or3_b32 v60, v24, v61, v60
.LBB6_8532:                             ;   in Loop: Header=BB6_8134 Depth=2
	s_or_b32 exec_lo, exec_lo, s23
	s_waitcnt vmcnt(31) lgkmcnt(31)
	v_and_b32_e32 v61, 0xff, v59
	s_mov_b32 s7, 0
	s_mov_b32 s24, exec_lo
                                        ; implicit-def: $sgpr23
	s_delay_alu instid0(VALU_DEP_1)
	v_cmpx_lt_i16_e32 0x7f, v61
	s_xor_b32 s24, exec_lo, s24
	s_cbranch_execnz .LBB6_9173
; %bb.8533:                             ;   in Loop: Header=BB6_8134 Depth=2
	s_or_saveexec_b32 s24, s24
	v_mov_b32_e32 v24, s23
	s_xor_b32 exec_lo, exec_lo, s24
	s_cbranch_execnz .LBB6_9176
.LBB6_8534:                             ;   in Loop: Header=BB6_8134 Depth=2
	s_or_b32 exec_lo, exec_lo, s24
	s_and_saveexec_b32 s23, s7
	s_cbranch_execz .LBB6_8536
.LBB6_8535:                             ;   in Loop: Header=BB6_8134 Depth=2
	v_lshrrev_b16 v63, 3, v59
	s_delay_alu instid0(VALU_DEP_1) | instskip(NEXT) | instid1(VALU_DEP_1)
	v_and_b32_e32 v63, 15, v63
	v_cmp_eq_u32_e32 vcc_lo, 0, v63
	v_and_b32_e32 v24, 7, v59
	s_delay_alu instid0(VALU_DEP_1) | instskip(NEXT) | instid1(VALU_DEP_1)
	v_clz_i32_u32_e32 v61, v24
	v_min_u32_e32 v61, 32, v61
	s_delay_alu instid0(VALU_DEP_1) | instskip(SKIP_1) | instid1(VALU_DEP_1)
	v_subrev_nc_u32_e32 v62, 28, v61
	v_sub_nc_u32_e32 v61, 29, v61
	v_dual_cndmask_b32 v61, v63, v61 :: v_dual_lshlrev_b32 v62, v62, v59
	v_lshlrev_b32_e32 v59, 24, v59
	s_delay_alu instid0(VALU_DEP_2) | instskip(NEXT) | instid1(VALU_DEP_3)
	v_and_b32_e32 v62, 7, v62
	v_lshl_add_u32 v61, v61, 23, 0x3b800000
	s_delay_alu instid0(VALU_DEP_2) | instskip(NEXT) | instid1(VALU_DEP_1)
	v_dual_cndmask_b32 v24, v24, v62 :: v_dual_and_b32 v59, 0x80000000, v59
	v_lshlrev_b32_e32 v24, 20, v24
	s_delay_alu instid0(VALU_DEP_1)
	v_or3_b32 v24, v59, v61, v24
.LBB6_8536:                             ;   in Loop: Header=BB6_8134 Depth=2
	s_or_b32 exec_lo, exec_lo, s23
	s_delay_alu instid0(VALU_DEP_1) | instskip(NEXT) | instid1(VALU_DEP_1)
	v_add_f32_e32 v59, v60, v24
	v_and_b32_e32 v24, 0x7f800000, v59
	s_delay_alu instid0(VALU_DEP_1)
	v_cmp_ne_u32_e32 vcc_lo, 0x7f800000, v24
	v_mov_b32_e32 v24, 0x80
	s_and_saveexec_b32 s23, vcc_lo
	s_cbranch_execz .LBB6_8544
; %bb.8537:                             ;   in Loop: Header=BB6_8134 Depth=2
	v_mov_b32_e32 v24, 0
	s_mov_b32 s24, exec_lo
	v_cmpx_ne_u32_e32 0, v59
	s_cbranch_execz .LBB6_8543
; %bb.8538:                             ;   in Loop: Header=BB6_8134 Depth=2
	v_bfe_u32 v24, v59, 23, 8
	s_delay_alu instid0(VALU_DEP_1) | instskip(SKIP_1) | instid1(VALU_DEP_2)
	v_sub_nc_u32_e32 v61, 0x78, v24
	v_cmp_gt_u32_e32 vcc_lo, 0x79, v24
	v_dual_cndmask_b32 v61, 0, v61 :: v_dual_and_b32 v60, 0x7fffff, v59
	s_delay_alu instid0(VALU_DEP_1) | instskip(SKIP_2) | instid1(VALU_DEP_4)
	v_or_b32_e32 v62, 0x800000, v60
	v_cmp_eq_u32_e32 vcc_lo, 0, v24
	v_add_nc_u32_e32 v24, 0xffffff89, v24
	v_cndmask_b32_e64 v61, v61, 0x77, vcc_lo
	s_delay_alu instid0(VALU_DEP_4) | instskip(NEXT) | instid1(VALU_DEP_3)
	v_cndmask_b32_e32 v60, v62, v60, vcc_lo
	v_cndmask_b32_e64 v24, v24, 0xffffff8a, vcc_lo
	s_delay_alu instid0(VALU_DEP_3) | instskip(NEXT) | instid1(VALU_DEP_3)
	v_lshl_add_u32 v62, 0x100000, v61, -1
	v_lshrrev_b32_e32 v63, v61, v60
	v_lshlrev_b32_e64 v73, v61, 0x80000
	s_delay_alu instid0(VALU_DEP_4) | instskip(NEXT) | instid1(VALU_DEP_4)
	v_add_nc_u32_e32 v61, v61, v24
	v_and_b32_e32 v60, v62, v60
	s_delay_alu instid0(VALU_DEP_4) | instskip(NEXT) | instid1(VALU_DEP_2)
	v_bfe_u32 v72, v63, 20, 1
	v_cmp_eq_u32_e64 s7, v60, v73
	s_delay_alu instid0(VALU_DEP_2) | instskip(NEXT) | instid1(VALU_DEP_1)
	v_add_nc_u32_e32 v62, -1, v72
	v_cndmask_b32_e64 v60, 0, v62, s7
	v_lshrrev_b32_e32 v62, 23, v63
	s_mov_b32 s7, exec_lo
	s_delay_alu instid0(VALU_DEP_2) | instskip(NEXT) | instid1(VALU_DEP_2)
	v_add_nc_u32_e32 v60, v60, v63
	v_xor_b32_e32 v62, 1, v62
	s_delay_alu instid0(VALU_DEP_2) | instskip(NEXT) | instid1(VALU_DEP_1)
	v_and_b32_e32 v24, 0xfffff, v60
	v_add_nc_u32_e32 v60, v24, v63
                                        ; implicit-def: $vgpr24
	s_delay_alu instid0(VALU_DEP_3)
	v_cmpx_ne_u32_e64 v61, v62
	s_xor_b32 s7, exec_lo, s7
; %bb.8539:                             ;   in Loop: Header=BB6_8134 Depth=2
	s_delay_alu instid0(VALU_DEP_2) | instskip(SKIP_2) | instid1(VALU_DEP_2)
	v_cmp_lt_u32_e32 vcc_lo, 0xffffff, v60
	v_sub_nc_u32_e32 v24, v61, v62
	v_cndmask_b32_e64 v61, 0, 1, vcc_lo
	v_add_co_ci_u32_e32 v24, vcc_lo, 0, v24, vcc_lo
	s_delay_alu instid0(VALU_DEP_2)
	v_lshrrev_b32_e32 v60, v61, v60
; %bb.8540:                             ;   in Loop: Header=BB6_8134 Depth=2
	s_and_not1_saveexec_b32 s7, s7
; %bb.8541:                             ;   in Loop: Header=BB6_8134 Depth=2
	s_delay_alu instid0(VALU_DEP_1)
	v_bfe_u32 v24, v60, 23, 1
; %bb.8542:                             ;   in Loop: Header=BB6_8134 Depth=2
	s_or_b32 exec_lo, exec_lo, s7
	v_lshrrev_b32_e32 v60, 20, v60
	s_delay_alu instid0(VALU_DEP_2) | instskip(SKIP_2) | instid1(VALU_DEP_2)
	v_cmp_gt_i32_e32 vcc_lo, 16, v24
	v_lshrrev_b32_e32 v59, 24, v59
	v_min_i32_e32 v61, 15, v24
	v_dual_cndmask_b32 v60, 7, v60 :: v_dual_and_b32 v59, 0x80, v59
	s_delay_alu instid0(VALU_DEP_1) | instskip(SKIP_1) | instid1(VALU_DEP_2)
	v_or_b32_e32 v24, v24, v60
	v_and_b32_e32 v62, 7, v60
	v_cmp_ne_u32_e32 vcc_lo, 0, v24
	v_lshlrev_b32_e32 v61, 3, v61
	s_delay_alu instid0(VALU_DEP_1) | instskip(NEXT) | instid1(VALU_DEP_1)
	v_or3_b32 v59, v61, v59, v62
	v_cndmask_b32_e32 v24, 0, v59, vcc_lo
.LBB6_8543:                             ;   in Loop: Header=BB6_8134 Depth=2
	s_or_b32 exec_lo, exec_lo, s24
.LBB6_8544:                             ;   in Loop: Header=BB6_8134 Depth=2
	s_delay_alu instid0(SALU_CYCLE_1) | instskip(SKIP_3) | instid1(VALU_DEP_1)
	s_or_b32 exec_lo, exec_lo, s23
	v_and_b32_e32 v60, 0xff, v67
	s_mov_b32 s7, 0
	s_mov_b32 s24, exec_lo
                                        ; implicit-def: $sgpr23
	v_cmpx_lt_i16_e32 0x7f, v60
	s_xor_b32 s24, exec_lo, s24
	s_cbranch_execnz .LBB6_9177
; %bb.8545:                             ;   in Loop: Header=BB6_8134 Depth=2
	s_or_saveexec_b32 s24, s24
	v_mov_b32_e32 v59, s23
	s_xor_b32 exec_lo, exec_lo, s24
	s_cbranch_execnz .LBB6_9180
.LBB6_8546:                             ;   in Loop: Header=BB6_8134 Depth=2
	s_or_b32 exec_lo, exec_lo, s24
	s_and_saveexec_b32 s23, s7
	s_cbranch_execz .LBB6_8548
.LBB6_8547:                             ;   in Loop: Header=BB6_8134 Depth=2
	v_lshrrev_b16 v62, 3, v67
	s_delay_alu instid0(VALU_DEP_1) | instskip(NEXT) | instid1(VALU_DEP_1)
	v_and_b32_e32 v62, 15, v62
	v_cmp_eq_u32_e32 vcc_lo, 0, v62
	v_and_b32_e32 v59, 7, v67
	s_delay_alu instid0(VALU_DEP_1) | instskip(NEXT) | instid1(VALU_DEP_1)
	v_clz_i32_u32_e32 v60, v59
	v_min_u32_e32 v60, 32, v60
	s_delay_alu instid0(VALU_DEP_1) | instskip(SKIP_1) | instid1(VALU_DEP_1)
	v_subrev_nc_u32_e32 v61, 28, v60
	v_sub_nc_u32_e32 v60, 29, v60
	v_dual_cndmask_b32 v60, v62, v60 :: v_dual_lshlrev_b32 v61, v61, v67
	v_lshlrev_b32_e32 v67, 24, v67
	s_delay_alu instid0(VALU_DEP_2) | instskip(NEXT) | instid1(VALU_DEP_3)
	v_and_b32_e32 v61, 7, v61
	v_lshl_add_u32 v60, v60, 23, 0x3b800000
	s_delay_alu instid0(VALU_DEP_3) | instskip(NEXT) | instid1(VALU_DEP_3)
	v_and_b32_e32 v67, 0x80000000, v67
	v_cndmask_b32_e32 v59, v59, v61, vcc_lo
	s_delay_alu instid0(VALU_DEP_1) | instskip(NEXT) | instid1(VALU_DEP_1)
	v_lshlrev_b32_e32 v59, 20, v59
	v_or3_b32 v59, v67, v60, v59
.LBB6_8548:                             ;   in Loop: Header=BB6_8134 Depth=2
	s_or_b32 exec_lo, exec_lo, s23
	s_waitcnt vmcnt(30) lgkmcnt(30)
	v_and_b32_e32 v60, 0xff, v58
	s_mov_b32 s7, 0
	s_mov_b32 s24, exec_lo
                                        ; implicit-def: $sgpr23
	s_delay_alu instid0(VALU_DEP_1)
	v_cmpx_lt_i16_e32 0x7f, v60
	s_xor_b32 s24, exec_lo, s24
	s_cbranch_execnz .LBB6_9181
; %bb.8549:                             ;   in Loop: Header=BB6_8134 Depth=2
	s_or_saveexec_b32 s24, s24
	v_mov_b32_e32 v67, s23
	s_xor_b32 exec_lo, exec_lo, s24
	s_cbranch_execnz .LBB6_9184
.LBB6_8550:                             ;   in Loop: Header=BB6_8134 Depth=2
	s_or_b32 exec_lo, exec_lo, s24
	s_and_saveexec_b32 s23, s7
	s_cbranch_execz .LBB6_8552
.LBB6_8551:                             ;   in Loop: Header=BB6_8134 Depth=2
	v_lshrrev_b16 v62, 3, v58
	s_delay_alu instid0(VALU_DEP_1) | instskip(NEXT) | instid1(VALU_DEP_1)
	v_and_b32_e32 v62, 15, v62
	v_cmp_eq_u32_e32 vcc_lo, 0, v62
	v_and_b32_e32 v67, 7, v58
	s_delay_alu instid0(VALU_DEP_1) | instskip(NEXT) | instid1(VALU_DEP_1)
	v_clz_i32_u32_e32 v60, v67
	v_min_u32_e32 v60, 32, v60
	s_delay_alu instid0(VALU_DEP_1) | instskip(SKIP_1) | instid1(VALU_DEP_1)
	v_subrev_nc_u32_e32 v61, 28, v60
	v_sub_nc_u32_e32 v60, 29, v60
	v_dual_cndmask_b32 v60, v62, v60 :: v_dual_lshlrev_b32 v61, v61, v58
	v_lshlrev_b32_e32 v58, 24, v58
	s_delay_alu instid0(VALU_DEP_2) | instskip(NEXT) | instid1(VALU_DEP_3)
	v_and_b32_e32 v61, 7, v61
	v_lshl_add_u32 v60, v60, 23, 0x3b800000
	s_delay_alu instid0(VALU_DEP_2) | instskip(NEXT) | instid1(VALU_DEP_1)
	v_dual_cndmask_b32 v67, v67, v61 :: v_dual_and_b32 v58, 0x80000000, v58
	v_lshlrev_b32_e32 v67, 20, v67
	s_delay_alu instid0(VALU_DEP_1)
	v_or3_b32 v67, v58, v60, v67
.LBB6_8552:                             ;   in Loop: Header=BB6_8134 Depth=2
	s_or_b32 exec_lo, exec_lo, s23
	s_delay_alu instid0(VALU_DEP_1) | instskip(NEXT) | instid1(VALU_DEP_1)
	v_add_f32_e32 v58, v59, v67
	v_and_b32_e32 v67, 0x7f800000, v58
	s_delay_alu instid0(VALU_DEP_1)
	v_cmp_ne_u32_e32 vcc_lo, 0x7f800000, v67
	v_mov_b32_e32 v67, 0x80
	s_and_saveexec_b32 s23, vcc_lo
	s_cbranch_execz .LBB6_8560
; %bb.8553:                             ;   in Loop: Header=BB6_8134 Depth=2
	v_mov_b32_e32 v67, 0
	s_mov_b32 s24, exec_lo
	v_cmpx_ne_u32_e32 0, v58
	s_cbranch_execz .LBB6_8559
; %bb.8554:                             ;   in Loop: Header=BB6_8134 Depth=2
	v_bfe_u32 v67, v58, 23, 8
	s_delay_alu instid0(VALU_DEP_1) | instskip(SKIP_1) | instid1(VALU_DEP_2)
	v_sub_nc_u32_e32 v60, 0x78, v67
	v_cmp_gt_u32_e32 vcc_lo, 0x79, v67
	v_dual_cndmask_b32 v60, 0, v60 :: v_dual_and_b32 v59, 0x7fffff, v58
	s_delay_alu instid0(VALU_DEP_1) | instskip(SKIP_2) | instid1(VALU_DEP_4)
	v_or_b32_e32 v61, 0x800000, v59
	v_cmp_eq_u32_e32 vcc_lo, 0, v67
	v_add_nc_u32_e32 v67, 0xffffff89, v67
	v_cndmask_b32_e64 v60, v60, 0x77, vcc_lo
	s_delay_alu instid0(VALU_DEP_4) | instskip(NEXT) | instid1(VALU_DEP_3)
	v_cndmask_b32_e32 v59, v61, v59, vcc_lo
	v_cndmask_b32_e64 v67, v67, 0xffffff8a, vcc_lo
	s_delay_alu instid0(VALU_DEP_3) | instskip(NEXT) | instid1(VALU_DEP_3)
	v_lshl_add_u32 v61, 0x100000, v60, -1
	v_lshrrev_b32_e32 v62, v60, v59
	v_lshlrev_b32_e64 v72, v60, 0x80000
	s_delay_alu instid0(VALU_DEP_4) | instskip(NEXT) | instid1(VALU_DEP_4)
	v_add_nc_u32_e32 v60, v60, v67
	v_and_b32_e32 v59, v61, v59
	s_delay_alu instid0(VALU_DEP_4) | instskip(NEXT) | instid1(VALU_DEP_2)
	v_bfe_u32 v63, v62, 20, 1
	v_cmp_eq_u32_e64 s7, v59, v72
	s_delay_alu instid0(VALU_DEP_2) | instskip(NEXT) | instid1(VALU_DEP_1)
	v_add_nc_u32_e32 v61, -1, v63
	v_cndmask_b32_e64 v59, 0, v61, s7
	v_lshrrev_b32_e32 v61, 23, v62
	s_mov_b32 s7, exec_lo
	s_delay_alu instid0(VALU_DEP_2) | instskip(NEXT) | instid1(VALU_DEP_2)
	v_add_nc_u32_e32 v59, v59, v62
	v_xor_b32_e32 v61, 1, v61
	s_delay_alu instid0(VALU_DEP_2) | instskip(NEXT) | instid1(VALU_DEP_1)
	v_and_b32_e32 v67, 0xfffff, v59
	v_add_nc_u32_e32 v59, v67, v62
                                        ; implicit-def: $vgpr67
	s_delay_alu instid0(VALU_DEP_3)
	v_cmpx_ne_u32_e64 v60, v61
	s_xor_b32 s7, exec_lo, s7
; %bb.8555:                             ;   in Loop: Header=BB6_8134 Depth=2
	s_delay_alu instid0(VALU_DEP_2) | instskip(SKIP_2) | instid1(VALU_DEP_2)
	v_cmp_lt_u32_e32 vcc_lo, 0xffffff, v59
	v_sub_nc_u32_e32 v67, v60, v61
	v_cndmask_b32_e64 v60, 0, 1, vcc_lo
	v_add_co_ci_u32_e32 v67, vcc_lo, 0, v67, vcc_lo
	s_delay_alu instid0(VALU_DEP_2)
	v_lshrrev_b32_e32 v59, v60, v59
; %bb.8556:                             ;   in Loop: Header=BB6_8134 Depth=2
	s_and_not1_saveexec_b32 s7, s7
; %bb.8557:                             ;   in Loop: Header=BB6_8134 Depth=2
	s_delay_alu instid0(VALU_DEP_1)
	v_bfe_u32 v67, v59, 23, 1
; %bb.8558:                             ;   in Loop: Header=BB6_8134 Depth=2
	s_or_b32 exec_lo, exec_lo, s7
	v_lshrrev_b32_e32 v59, 20, v59
	s_delay_alu instid0(VALU_DEP_2) | instskip(SKIP_2) | instid1(VALU_DEP_2)
	v_cmp_gt_i32_e32 vcc_lo, 16, v67
	v_lshrrev_b32_e32 v58, 24, v58
	v_min_i32_e32 v60, 15, v67
	v_dual_cndmask_b32 v59, 7, v59 :: v_dual_and_b32 v58, 0x80, v58
	s_delay_alu instid0(VALU_DEP_1) | instskip(SKIP_1) | instid1(VALU_DEP_2)
	v_or_b32_e32 v67, v67, v59
	v_and_b32_e32 v61, 7, v59
	v_cmp_ne_u32_e32 vcc_lo, 0, v67
	v_lshlrev_b32_e32 v60, 3, v60
	s_delay_alu instid0(VALU_DEP_1) | instskip(NEXT) | instid1(VALU_DEP_1)
	v_or3_b32 v58, v60, v58, v61
	v_cndmask_b32_e32 v67, 0, v58, vcc_lo
.LBB6_8559:                             ;   in Loop: Header=BB6_8134 Depth=2
	s_or_b32 exec_lo, exec_lo, s24
.LBB6_8560:                             ;   in Loop: Header=BB6_8134 Depth=2
	s_delay_alu instid0(SALU_CYCLE_1) | instskip(SKIP_3) | instid1(VALU_DEP_1)
	s_or_b32 exec_lo, exec_lo, s23
	v_and_b32_e32 v59, 0xff, v113
	s_mov_b32 s7, 0
	s_mov_b32 s24, exec_lo
                                        ; implicit-def: $sgpr23
	v_cmpx_lt_i16_e32 0x7f, v59
	s_xor_b32 s24, exec_lo, s24
	s_cbranch_execnz .LBB6_9185
; %bb.8561:                             ;   in Loop: Header=BB6_8134 Depth=2
	s_or_saveexec_b32 s24, s24
	v_mov_b32_e32 v58, s23
	s_xor_b32 exec_lo, exec_lo, s24
	s_cbranch_execnz .LBB6_9188
.LBB6_8562:                             ;   in Loop: Header=BB6_8134 Depth=2
	s_or_b32 exec_lo, exec_lo, s24
	s_and_saveexec_b32 s23, s7
	s_cbranch_execz .LBB6_8564
.LBB6_8563:                             ;   in Loop: Header=BB6_8134 Depth=2
	v_lshrrev_b16 v61, 3, v113
	s_delay_alu instid0(VALU_DEP_1) | instskip(NEXT) | instid1(VALU_DEP_1)
	v_and_b32_e32 v61, 15, v61
	v_cmp_eq_u32_e32 vcc_lo, 0, v61
	v_and_b32_e32 v58, 7, v113
	s_delay_alu instid0(VALU_DEP_1) | instskip(NEXT) | instid1(VALU_DEP_1)
	v_clz_i32_u32_e32 v59, v58
	v_min_u32_e32 v59, 32, v59
	s_delay_alu instid0(VALU_DEP_1) | instskip(SKIP_1) | instid1(VALU_DEP_1)
	v_subrev_nc_u32_e32 v60, 28, v59
	v_sub_nc_u32_e32 v59, 29, v59
	v_dual_cndmask_b32 v59, v61, v59 :: v_dual_lshlrev_b32 v60, v60, v113
	v_lshlrev_b32_e32 v113, 24, v113
	s_delay_alu instid0(VALU_DEP_2) | instskip(NEXT) | instid1(VALU_DEP_3)
	v_and_b32_e32 v60, 7, v60
	v_lshl_add_u32 v59, v59, 23, 0x3b800000
	s_delay_alu instid0(VALU_DEP_2) | instskip(NEXT) | instid1(VALU_DEP_1)
	v_dual_cndmask_b32 v58, v58, v60 :: v_dual_and_b32 v113, 0x80000000, v113
	v_lshlrev_b32_e32 v58, 20, v58
	s_delay_alu instid0(VALU_DEP_1)
	v_or3_b32 v58, v113, v59, v58
.LBB6_8564:                             ;   in Loop: Header=BB6_8134 Depth=2
	s_or_b32 exec_lo, exec_lo, s23
	s_waitcnt vmcnt(29) lgkmcnt(29)
	v_and_b32_e32 v59, 0xff, v57
	s_mov_b32 s7, 0
	s_mov_b32 s24, exec_lo
                                        ; implicit-def: $sgpr23
	s_delay_alu instid0(VALU_DEP_1)
	v_cmpx_lt_i16_e32 0x7f, v59
	s_xor_b32 s24, exec_lo, s24
	s_cbranch_execnz .LBB6_9189
; %bb.8565:                             ;   in Loop: Header=BB6_8134 Depth=2
	s_or_saveexec_b32 s24, s24
	v_mov_b32_e32 v113, s23
	s_xor_b32 exec_lo, exec_lo, s24
	s_cbranch_execnz .LBB6_9192
.LBB6_8566:                             ;   in Loop: Header=BB6_8134 Depth=2
	s_or_b32 exec_lo, exec_lo, s24
	s_and_saveexec_b32 s23, s7
	s_cbranch_execz .LBB6_8568
.LBB6_8567:                             ;   in Loop: Header=BB6_8134 Depth=2
	v_and_b32_e32 v113, 7, v57
	v_lshrrev_b16 v61, 3, v57
	s_delay_alu instid0(VALU_DEP_2) | instskip(NEXT) | instid1(VALU_DEP_2)
	v_clz_i32_u32_e32 v59, v113
	v_and_b32_e32 v61, 15, v61
	s_delay_alu instid0(VALU_DEP_2) | instskip(NEXT) | instid1(VALU_DEP_2)
	v_min_u32_e32 v59, 32, v59
	v_cmp_eq_u32_e32 vcc_lo, 0, v61
	s_delay_alu instid0(VALU_DEP_2) | instskip(SKIP_1) | instid1(VALU_DEP_1)
	v_subrev_nc_u32_e32 v60, 28, v59
	v_sub_nc_u32_e32 v59, 29, v59
	v_dual_cndmask_b32 v59, v61, v59 :: v_dual_lshlrev_b32 v60, v60, v57
	v_lshlrev_b32_e32 v57, 24, v57
	s_delay_alu instid0(VALU_DEP_2) | instskip(NEXT) | instid1(VALU_DEP_3)
	v_and_b32_e32 v60, 7, v60
	v_lshl_add_u32 v59, v59, 23, 0x3b800000
	s_delay_alu instid0(VALU_DEP_3) | instskip(NEXT) | instid1(VALU_DEP_3)
	v_and_b32_e32 v57, 0x80000000, v57
	v_cndmask_b32_e32 v113, v113, v60, vcc_lo
	s_delay_alu instid0(VALU_DEP_1) | instskip(NEXT) | instid1(VALU_DEP_1)
	v_lshlrev_b32_e32 v113, 20, v113
	v_or3_b32 v113, v57, v59, v113
.LBB6_8568:                             ;   in Loop: Header=BB6_8134 Depth=2
	s_or_b32 exec_lo, exec_lo, s23
	s_delay_alu instid0(VALU_DEP_1) | instskip(NEXT) | instid1(VALU_DEP_1)
	v_add_f32_e32 v57, v58, v113
	v_and_b32_e32 v113, 0x7f800000, v57
	s_delay_alu instid0(VALU_DEP_1)
	v_cmp_ne_u32_e32 vcc_lo, 0x7f800000, v113
	v_mov_b32_e32 v113, 0x80
	s_and_saveexec_b32 s23, vcc_lo
	s_cbranch_execz .LBB6_8576
; %bb.8569:                             ;   in Loop: Header=BB6_8134 Depth=2
	v_mov_b32_e32 v113, 0
	s_mov_b32 s24, exec_lo
	v_cmpx_ne_u32_e32 0, v57
	s_cbranch_execz .LBB6_8575
; %bb.8570:                             ;   in Loop: Header=BB6_8134 Depth=2
	v_bfe_u32 v113, v57, 23, 8
	s_delay_alu instid0(VALU_DEP_1) | instskip(SKIP_1) | instid1(VALU_DEP_2)
	v_sub_nc_u32_e32 v59, 0x78, v113
	v_cmp_gt_u32_e32 vcc_lo, 0x79, v113
	v_dual_cndmask_b32 v59, 0, v59 :: v_dual_and_b32 v58, 0x7fffff, v57
	s_delay_alu instid0(VALU_DEP_1) | instskip(SKIP_2) | instid1(VALU_DEP_4)
	v_or_b32_e32 v60, 0x800000, v58
	v_cmp_eq_u32_e32 vcc_lo, 0, v113
	v_add_nc_u32_e32 v113, 0xffffff89, v113
	v_cndmask_b32_e64 v59, v59, 0x77, vcc_lo
	s_delay_alu instid0(VALU_DEP_4) | instskip(NEXT) | instid1(VALU_DEP_3)
	v_cndmask_b32_e32 v58, v60, v58, vcc_lo
	v_cndmask_b32_e64 v113, v113, 0xffffff8a, vcc_lo
	s_delay_alu instid0(VALU_DEP_3) | instskip(NEXT) | instid1(VALU_DEP_3)
	v_lshl_add_u32 v60, 0x100000, v59, -1
	v_lshrrev_b32_e32 v61, v59, v58
	v_lshlrev_b32_e64 v63, v59, 0x80000
	s_delay_alu instid0(VALU_DEP_4) | instskip(NEXT) | instid1(VALU_DEP_4)
	v_add_nc_u32_e32 v59, v59, v113
	v_and_b32_e32 v58, v60, v58
	s_delay_alu instid0(VALU_DEP_4) | instskip(NEXT) | instid1(VALU_DEP_2)
	v_bfe_u32 v62, v61, 20, 1
	v_cmp_eq_u32_e64 s7, v58, v63
	s_delay_alu instid0(VALU_DEP_2) | instskip(NEXT) | instid1(VALU_DEP_1)
	v_add_nc_u32_e32 v60, -1, v62
	v_cndmask_b32_e64 v58, 0, v60, s7
	v_lshrrev_b32_e32 v60, 23, v61
	s_mov_b32 s7, exec_lo
	s_delay_alu instid0(VALU_DEP_2) | instskip(NEXT) | instid1(VALU_DEP_2)
	v_add_nc_u32_e32 v58, v58, v61
	v_xor_b32_e32 v60, 1, v60
	s_delay_alu instid0(VALU_DEP_2) | instskip(NEXT) | instid1(VALU_DEP_1)
	v_and_b32_e32 v113, 0xfffff, v58
	v_add_nc_u32_e32 v58, v113, v61
                                        ; implicit-def: $vgpr113
	s_delay_alu instid0(VALU_DEP_3)
	v_cmpx_ne_u32_e64 v59, v60
	s_xor_b32 s7, exec_lo, s7
; %bb.8571:                             ;   in Loop: Header=BB6_8134 Depth=2
	s_delay_alu instid0(VALU_DEP_2) | instskip(SKIP_2) | instid1(VALU_DEP_2)
	v_cmp_lt_u32_e32 vcc_lo, 0xffffff, v58
	v_sub_nc_u32_e32 v113, v59, v60
	v_cndmask_b32_e64 v59, 0, 1, vcc_lo
	v_add_co_ci_u32_e32 v113, vcc_lo, 0, v113, vcc_lo
	s_delay_alu instid0(VALU_DEP_2)
	v_lshrrev_b32_e32 v58, v59, v58
; %bb.8572:                             ;   in Loop: Header=BB6_8134 Depth=2
	s_and_not1_saveexec_b32 s7, s7
; %bb.8573:                             ;   in Loop: Header=BB6_8134 Depth=2
	s_delay_alu instid0(VALU_DEP_1)
	v_bfe_u32 v113, v58, 23, 1
; %bb.8574:                             ;   in Loop: Header=BB6_8134 Depth=2
	s_or_b32 exec_lo, exec_lo, s7
	v_lshrrev_b32_e32 v58, 20, v58
	s_delay_alu instid0(VALU_DEP_2) | instskip(SKIP_2) | instid1(VALU_DEP_2)
	v_cmp_gt_i32_e32 vcc_lo, 16, v113
	v_lshrrev_b32_e32 v57, 24, v57
	v_min_i32_e32 v59, 15, v113
	v_dual_cndmask_b32 v58, 7, v58 :: v_dual_and_b32 v57, 0x80, v57
	s_delay_alu instid0(VALU_DEP_2) | instskip(NEXT) | instid1(VALU_DEP_2)
	v_lshlrev_b32_e32 v59, 3, v59
	v_or_b32_e32 v113, v113, v58
	s_delay_alu instid0(VALU_DEP_1) | instskip(SKIP_1) | instid1(VALU_DEP_1)
	v_cmp_ne_u32_e32 vcc_lo, 0, v113
	v_and_b32_e32 v60, 7, v58
	v_or3_b32 v57, v59, v57, v60
	s_delay_alu instid0(VALU_DEP_1)
	v_cndmask_b32_e32 v113, 0, v57, vcc_lo
.LBB6_8575:                             ;   in Loop: Header=BB6_8134 Depth=2
	s_or_b32 exec_lo, exec_lo, s24
.LBB6_8576:                             ;   in Loop: Header=BB6_8134 Depth=2
	s_delay_alu instid0(SALU_CYCLE_1) | instskip(SKIP_3) | instid1(VALU_DEP_1)
	s_or_b32 exec_lo, exec_lo, s23
	v_and_b32_e32 v58, 0xff, v118
	s_mov_b32 s7, 0
	s_mov_b32 s24, exec_lo
                                        ; implicit-def: $sgpr23
	v_cmpx_lt_i16_e32 0x7f, v58
	s_xor_b32 s24, exec_lo, s24
	s_cbranch_execnz .LBB6_9193
; %bb.8577:                             ;   in Loop: Header=BB6_8134 Depth=2
	s_or_saveexec_b32 s24, s24
	v_mov_b32_e32 v57, s23
	s_xor_b32 exec_lo, exec_lo, s24
	s_cbranch_execnz .LBB6_9196
.LBB6_8578:                             ;   in Loop: Header=BB6_8134 Depth=2
	s_or_b32 exec_lo, exec_lo, s24
	s_and_saveexec_b32 s23, s7
	s_cbranch_execz .LBB6_8580
.LBB6_8579:                             ;   in Loop: Header=BB6_8134 Depth=2
	v_and_b32_e32 v57, 7, v118
	v_lshrrev_b16 v60, 3, v118
	s_delay_alu instid0(VALU_DEP_2) | instskip(NEXT) | instid1(VALU_DEP_1)
	v_clz_i32_u32_e32 v58, v57
	v_min_u32_e32 v58, 32, v58
	s_delay_alu instid0(VALU_DEP_1) | instskip(SKIP_1) | instid1(VALU_DEP_2)
	v_subrev_nc_u32_e32 v59, 28, v58
	v_sub_nc_u32_e32 v58, 29, v58
	v_lshlrev_b32_e32 v59, v59, v118
	v_lshlrev_b32_e32 v118, 24, v118
	s_delay_alu instid0(VALU_DEP_2) | instskip(SKIP_1) | instid1(VALU_DEP_3)
	v_and_b32_e32 v59, 7, v59
	v_and_b32_e32 v60, 15, v60
	;; [unrolled: 1-line block ×3, first 2 shown]
	s_delay_alu instid0(VALU_DEP_2) | instskip(NEXT) | instid1(VALU_DEP_4)
	v_cmp_eq_u32_e32 vcc_lo, 0, v60
	v_dual_cndmask_b32 v57, v57, v59 :: v_dual_cndmask_b32 v58, v60, v58
	s_delay_alu instid0(VALU_DEP_1) | instskip(NEXT) | instid1(VALU_DEP_2)
	v_lshlrev_b32_e32 v57, 20, v57
	v_lshl_add_u32 v58, v58, 23, 0x3b800000
	s_delay_alu instid0(VALU_DEP_1)
	v_or3_b32 v57, v118, v58, v57
.LBB6_8580:                             ;   in Loop: Header=BB6_8134 Depth=2
	s_or_b32 exec_lo, exec_lo, s23
	s_waitcnt vmcnt(28) lgkmcnt(28)
	v_and_b32_e32 v58, 0xff, v56
	s_mov_b32 s7, 0
	s_mov_b32 s24, exec_lo
                                        ; implicit-def: $sgpr23
	s_delay_alu instid0(VALU_DEP_1)
	v_cmpx_lt_i16_e32 0x7f, v58
	s_xor_b32 s24, exec_lo, s24
	s_cbranch_execnz .LBB6_9197
; %bb.8581:                             ;   in Loop: Header=BB6_8134 Depth=2
	s_or_saveexec_b32 s24, s24
	v_mov_b32_e32 v118, s23
	s_xor_b32 exec_lo, exec_lo, s24
	s_cbranch_execnz .LBB6_9200
.LBB6_8582:                             ;   in Loop: Header=BB6_8134 Depth=2
	s_or_b32 exec_lo, exec_lo, s24
	s_and_saveexec_b32 s23, s7
	s_cbranch_execz .LBB6_8584
.LBB6_8583:                             ;   in Loop: Header=BB6_8134 Depth=2
	v_and_b32_e32 v118, 7, v56
	v_lshrrev_b16 v60, 3, v56
	s_delay_alu instid0(VALU_DEP_2) | instskip(NEXT) | instid1(VALU_DEP_2)
	v_clz_i32_u32_e32 v58, v118
	v_and_b32_e32 v60, 15, v60
	s_delay_alu instid0(VALU_DEP_2) | instskip(NEXT) | instid1(VALU_DEP_2)
	v_min_u32_e32 v58, 32, v58
	v_cmp_eq_u32_e32 vcc_lo, 0, v60
	s_delay_alu instid0(VALU_DEP_2) | instskip(SKIP_1) | instid1(VALU_DEP_1)
	v_subrev_nc_u32_e32 v59, 28, v58
	v_sub_nc_u32_e32 v58, 29, v58
	v_dual_cndmask_b32 v58, v60, v58 :: v_dual_lshlrev_b32 v59, v59, v56
	v_lshlrev_b32_e32 v56, 24, v56
	s_delay_alu instid0(VALU_DEP_2) | instskip(NEXT) | instid1(VALU_DEP_3)
	v_and_b32_e32 v59, 7, v59
	v_lshl_add_u32 v58, v58, 23, 0x3b800000
	s_delay_alu instid0(VALU_DEP_3) | instskip(NEXT) | instid1(VALU_DEP_3)
	v_and_b32_e32 v56, 0x80000000, v56
	v_cndmask_b32_e32 v118, v118, v59, vcc_lo
	s_delay_alu instid0(VALU_DEP_1) | instskip(NEXT) | instid1(VALU_DEP_1)
	v_lshlrev_b32_e32 v118, 20, v118
	v_or3_b32 v118, v56, v58, v118
.LBB6_8584:                             ;   in Loop: Header=BB6_8134 Depth=2
	s_or_b32 exec_lo, exec_lo, s23
	s_delay_alu instid0(VALU_DEP_1) | instskip(NEXT) | instid1(VALU_DEP_1)
	v_add_f32_e32 v56, v57, v118
	v_and_b32_e32 v118, 0x7f800000, v56
	s_delay_alu instid0(VALU_DEP_1)
	v_cmp_ne_u32_e32 vcc_lo, 0x7f800000, v118
	v_mov_b32_e32 v118, 0x80
	s_and_saveexec_b32 s23, vcc_lo
	s_cbranch_execz .LBB6_8592
; %bb.8585:                             ;   in Loop: Header=BB6_8134 Depth=2
	v_mov_b32_e32 v118, 0
	s_mov_b32 s24, exec_lo
	v_cmpx_ne_u32_e32 0, v56
	s_cbranch_execz .LBB6_8591
; %bb.8586:                             ;   in Loop: Header=BB6_8134 Depth=2
	v_bfe_u32 v118, v56, 23, 8
	s_delay_alu instid0(VALU_DEP_1) | instskip(SKIP_1) | instid1(VALU_DEP_2)
	v_sub_nc_u32_e32 v58, 0x78, v118
	v_cmp_gt_u32_e32 vcc_lo, 0x79, v118
	v_dual_cndmask_b32 v58, 0, v58 :: v_dual_and_b32 v57, 0x7fffff, v56
	s_delay_alu instid0(VALU_DEP_1) | instskip(SKIP_2) | instid1(VALU_DEP_4)
	v_or_b32_e32 v59, 0x800000, v57
	v_cmp_eq_u32_e32 vcc_lo, 0, v118
	v_add_nc_u32_e32 v118, 0xffffff89, v118
	v_cndmask_b32_e64 v58, v58, 0x77, vcc_lo
	s_delay_alu instid0(VALU_DEP_4) | instskip(NEXT) | instid1(VALU_DEP_3)
	v_cndmask_b32_e32 v57, v59, v57, vcc_lo
	v_cndmask_b32_e64 v118, v118, 0xffffff8a, vcc_lo
	s_delay_alu instid0(VALU_DEP_3) | instskip(NEXT) | instid1(VALU_DEP_3)
	v_lshl_add_u32 v59, 0x100000, v58, -1
	v_lshrrev_b32_e32 v60, v58, v57
	v_lshlrev_b32_e64 v62, v58, 0x80000
	s_delay_alu instid0(VALU_DEP_4) | instskip(NEXT) | instid1(VALU_DEP_4)
	v_add_nc_u32_e32 v58, v58, v118
	v_and_b32_e32 v57, v59, v57
	s_delay_alu instid0(VALU_DEP_4) | instskip(NEXT) | instid1(VALU_DEP_2)
	v_bfe_u32 v61, v60, 20, 1
	v_cmp_eq_u32_e64 s7, v57, v62
	s_delay_alu instid0(VALU_DEP_2) | instskip(NEXT) | instid1(VALU_DEP_1)
	v_add_nc_u32_e32 v59, -1, v61
	v_cndmask_b32_e64 v57, 0, v59, s7
	v_lshrrev_b32_e32 v59, 23, v60
	s_mov_b32 s7, exec_lo
	s_delay_alu instid0(VALU_DEP_2) | instskip(NEXT) | instid1(VALU_DEP_2)
	v_add_nc_u32_e32 v57, v57, v60
	v_xor_b32_e32 v59, 1, v59
	s_delay_alu instid0(VALU_DEP_2) | instskip(NEXT) | instid1(VALU_DEP_1)
	v_and_b32_e32 v118, 0xfffff, v57
	v_add_nc_u32_e32 v57, v118, v60
                                        ; implicit-def: $vgpr118
	s_delay_alu instid0(VALU_DEP_3)
	v_cmpx_ne_u32_e64 v58, v59
	s_xor_b32 s7, exec_lo, s7
; %bb.8587:                             ;   in Loop: Header=BB6_8134 Depth=2
	s_delay_alu instid0(VALU_DEP_2) | instskip(SKIP_2) | instid1(VALU_DEP_2)
	v_cmp_lt_u32_e32 vcc_lo, 0xffffff, v57
	v_sub_nc_u32_e32 v118, v58, v59
	v_cndmask_b32_e64 v58, 0, 1, vcc_lo
	v_add_co_ci_u32_e32 v118, vcc_lo, 0, v118, vcc_lo
	s_delay_alu instid0(VALU_DEP_2)
	v_lshrrev_b32_e32 v57, v58, v57
; %bb.8588:                             ;   in Loop: Header=BB6_8134 Depth=2
	s_and_not1_saveexec_b32 s7, s7
; %bb.8589:                             ;   in Loop: Header=BB6_8134 Depth=2
	s_delay_alu instid0(VALU_DEP_1)
	v_bfe_u32 v118, v57, 23, 1
; %bb.8590:                             ;   in Loop: Header=BB6_8134 Depth=2
	s_or_b32 exec_lo, exec_lo, s7
	v_lshrrev_b32_e32 v57, 20, v57
	s_delay_alu instid0(VALU_DEP_2) | instskip(SKIP_2) | instid1(VALU_DEP_2)
	v_cmp_gt_i32_e32 vcc_lo, 16, v118
	v_lshrrev_b32_e32 v56, 24, v56
	v_min_i32_e32 v58, 15, v118
	v_dual_cndmask_b32 v57, 7, v57 :: v_dual_and_b32 v56, 0x80, v56
	s_delay_alu instid0(VALU_DEP_2) | instskip(NEXT) | instid1(VALU_DEP_2)
	v_lshlrev_b32_e32 v58, 3, v58
	v_or_b32_e32 v118, v118, v57
	s_delay_alu instid0(VALU_DEP_1) | instskip(SKIP_1) | instid1(VALU_DEP_1)
	v_cmp_ne_u32_e32 vcc_lo, 0, v118
	v_and_b32_e32 v59, 7, v57
	v_or3_b32 v56, v58, v56, v59
	s_delay_alu instid0(VALU_DEP_1)
	v_cndmask_b32_e32 v118, 0, v56, vcc_lo
.LBB6_8591:                             ;   in Loop: Header=BB6_8134 Depth=2
	s_or_b32 exec_lo, exec_lo, s24
.LBB6_8592:                             ;   in Loop: Header=BB6_8134 Depth=2
	s_delay_alu instid0(SALU_CYCLE_1) | instskip(SKIP_3) | instid1(VALU_DEP_1)
	s_or_b32 exec_lo, exec_lo, s23
	v_and_b32_e32 v57, 0xff, v131
	s_mov_b32 s7, 0
	s_mov_b32 s24, exec_lo
                                        ; implicit-def: $sgpr23
	v_cmpx_lt_i16_e32 0x7f, v57
	s_xor_b32 s24, exec_lo, s24
	s_cbranch_execnz .LBB6_9201
; %bb.8593:                             ;   in Loop: Header=BB6_8134 Depth=2
	s_or_saveexec_b32 s24, s24
	v_mov_b32_e32 v56, s23
	s_xor_b32 exec_lo, exec_lo, s24
	s_cbranch_execnz .LBB6_9204
.LBB6_8594:                             ;   in Loop: Header=BB6_8134 Depth=2
	s_or_b32 exec_lo, exec_lo, s24
	s_and_saveexec_b32 s23, s7
	s_cbranch_execz .LBB6_8596
.LBB6_8595:                             ;   in Loop: Header=BB6_8134 Depth=2
	v_lshrrev_b16 v59, 3, v131
	s_delay_alu instid0(VALU_DEP_1) | instskip(NEXT) | instid1(VALU_DEP_1)
	v_and_b32_e32 v59, 15, v59
	v_cmp_eq_u32_e32 vcc_lo, 0, v59
	v_and_b32_e32 v56, 7, v131
	s_delay_alu instid0(VALU_DEP_1) | instskip(NEXT) | instid1(VALU_DEP_1)
	v_clz_i32_u32_e32 v57, v56
	v_min_u32_e32 v57, 32, v57
	s_delay_alu instid0(VALU_DEP_1) | instskip(SKIP_1) | instid1(VALU_DEP_1)
	v_subrev_nc_u32_e32 v58, 28, v57
	v_sub_nc_u32_e32 v57, 29, v57
	v_dual_cndmask_b32 v57, v59, v57 :: v_dual_lshlrev_b32 v58, v58, v131
	v_lshlrev_b32_e32 v131, 24, v131
	s_delay_alu instid0(VALU_DEP_2) | instskip(NEXT) | instid1(VALU_DEP_3)
	v_and_b32_e32 v58, 7, v58
	v_lshl_add_u32 v57, v57, 23, 0x3b800000
	s_delay_alu instid0(VALU_DEP_2) | instskip(NEXT) | instid1(VALU_DEP_1)
	v_dual_cndmask_b32 v56, v56, v58 :: v_dual_and_b32 v131, 0x80000000, v131
	v_lshlrev_b32_e32 v56, 20, v56
	s_delay_alu instid0(VALU_DEP_1)
	v_or3_b32 v56, v131, v57, v56
.LBB6_8596:                             ;   in Loop: Header=BB6_8134 Depth=2
	s_or_b32 exec_lo, exec_lo, s23
	s_waitcnt vmcnt(27) lgkmcnt(27)
	v_and_b32_e32 v57, 0xff, v47
	s_mov_b32 s7, 0
	s_mov_b32 s24, exec_lo
                                        ; implicit-def: $sgpr23
	s_delay_alu instid0(VALU_DEP_1)
	v_cmpx_lt_i16_e32 0x7f, v57
	s_xor_b32 s24, exec_lo, s24
	s_cbranch_execnz .LBB6_9205
; %bb.8597:                             ;   in Loop: Header=BB6_8134 Depth=2
	s_or_saveexec_b32 s24, s24
	v_mov_b32_e32 v131, s23
	s_xor_b32 exec_lo, exec_lo, s24
	s_cbranch_execnz .LBB6_9208
.LBB6_8598:                             ;   in Loop: Header=BB6_8134 Depth=2
	s_or_b32 exec_lo, exec_lo, s24
	s_and_saveexec_b32 s23, s7
	s_cbranch_execz .LBB6_8600
.LBB6_8599:                             ;   in Loop: Header=BB6_8134 Depth=2
	v_and_b32_e32 v131, 7, v47
	v_lshrrev_b16 v59, 3, v47
	s_delay_alu instid0(VALU_DEP_2) | instskip(NEXT) | instid1(VALU_DEP_2)
	v_clz_i32_u32_e32 v57, v131
	v_and_b32_e32 v59, 15, v59
	s_delay_alu instid0(VALU_DEP_2) | instskip(NEXT) | instid1(VALU_DEP_2)
	v_min_u32_e32 v57, 32, v57
	v_cmp_eq_u32_e32 vcc_lo, 0, v59
	s_delay_alu instid0(VALU_DEP_2) | instskip(SKIP_1) | instid1(VALU_DEP_1)
	v_subrev_nc_u32_e32 v58, 28, v57
	v_sub_nc_u32_e32 v57, 29, v57
	v_dual_cndmask_b32 v57, v59, v57 :: v_dual_lshlrev_b32 v58, v58, v47
	v_lshlrev_b32_e32 v47, 24, v47
	s_delay_alu instid0(VALU_DEP_2) | instskip(NEXT) | instid1(VALU_DEP_3)
	v_and_b32_e32 v58, 7, v58
	v_lshl_add_u32 v57, v57, 23, 0x3b800000
	s_delay_alu instid0(VALU_DEP_3) | instskip(NEXT) | instid1(VALU_DEP_3)
	v_and_b32_e32 v47, 0x80000000, v47
	v_cndmask_b32_e32 v131, v131, v58, vcc_lo
	s_delay_alu instid0(VALU_DEP_1) | instskip(NEXT) | instid1(VALU_DEP_1)
	v_lshlrev_b32_e32 v131, 20, v131
	v_or3_b32 v131, v47, v57, v131
.LBB6_8600:                             ;   in Loop: Header=BB6_8134 Depth=2
	s_or_b32 exec_lo, exec_lo, s23
	s_delay_alu instid0(VALU_DEP_1) | instskip(NEXT) | instid1(VALU_DEP_1)
	v_add_f32_e32 v47, v56, v131
	v_and_b32_e32 v131, 0x7f800000, v47
	s_delay_alu instid0(VALU_DEP_1)
	v_cmp_ne_u32_e32 vcc_lo, 0x7f800000, v131
	v_mov_b32_e32 v131, 0x80
	s_and_saveexec_b32 s23, vcc_lo
	s_cbranch_execz .LBB6_8608
; %bb.8601:                             ;   in Loop: Header=BB6_8134 Depth=2
	v_mov_b32_e32 v131, 0
	s_mov_b32 s24, exec_lo
	v_cmpx_ne_u32_e32 0, v47
	s_cbranch_execz .LBB6_8607
; %bb.8602:                             ;   in Loop: Header=BB6_8134 Depth=2
	v_bfe_u32 v131, v47, 23, 8
	s_delay_alu instid0(VALU_DEP_1) | instskip(SKIP_1) | instid1(VALU_DEP_2)
	v_sub_nc_u32_e32 v57, 0x78, v131
	v_cmp_gt_u32_e32 vcc_lo, 0x79, v131
	v_dual_cndmask_b32 v57, 0, v57 :: v_dual_and_b32 v56, 0x7fffff, v47
	s_delay_alu instid0(VALU_DEP_1) | instskip(SKIP_2) | instid1(VALU_DEP_4)
	v_or_b32_e32 v58, 0x800000, v56
	v_cmp_eq_u32_e32 vcc_lo, 0, v131
	v_add_nc_u32_e32 v131, 0xffffff89, v131
	v_cndmask_b32_e64 v57, v57, 0x77, vcc_lo
	s_delay_alu instid0(VALU_DEP_4) | instskip(NEXT) | instid1(VALU_DEP_3)
	v_cndmask_b32_e32 v56, v58, v56, vcc_lo
	v_cndmask_b32_e64 v131, v131, 0xffffff8a, vcc_lo
	s_delay_alu instid0(VALU_DEP_3) | instskip(NEXT) | instid1(VALU_DEP_3)
	v_lshl_add_u32 v58, 0x100000, v57, -1
	v_lshrrev_b32_e32 v59, v57, v56
	v_lshlrev_b32_e64 v61, v57, 0x80000
	s_delay_alu instid0(VALU_DEP_4) | instskip(NEXT) | instid1(VALU_DEP_4)
	v_add_nc_u32_e32 v57, v57, v131
	v_and_b32_e32 v56, v58, v56
	s_delay_alu instid0(VALU_DEP_4) | instskip(NEXT) | instid1(VALU_DEP_2)
	v_bfe_u32 v60, v59, 20, 1
	v_cmp_eq_u32_e64 s7, v56, v61
	s_delay_alu instid0(VALU_DEP_2) | instskip(NEXT) | instid1(VALU_DEP_1)
	v_add_nc_u32_e32 v58, -1, v60
	v_cndmask_b32_e64 v56, 0, v58, s7
	v_lshrrev_b32_e32 v58, 23, v59
	s_mov_b32 s7, exec_lo
	s_delay_alu instid0(VALU_DEP_2) | instskip(NEXT) | instid1(VALU_DEP_2)
	v_add_nc_u32_e32 v56, v56, v59
	v_xor_b32_e32 v58, 1, v58
	s_delay_alu instid0(VALU_DEP_2) | instskip(NEXT) | instid1(VALU_DEP_1)
	v_and_b32_e32 v131, 0xfffff, v56
	v_add_nc_u32_e32 v56, v131, v59
                                        ; implicit-def: $vgpr131
	s_delay_alu instid0(VALU_DEP_3)
	v_cmpx_ne_u32_e64 v57, v58
	s_xor_b32 s7, exec_lo, s7
; %bb.8603:                             ;   in Loop: Header=BB6_8134 Depth=2
	s_delay_alu instid0(VALU_DEP_2) | instskip(SKIP_2) | instid1(VALU_DEP_2)
	v_cmp_lt_u32_e32 vcc_lo, 0xffffff, v56
	v_sub_nc_u32_e32 v131, v57, v58
	v_cndmask_b32_e64 v57, 0, 1, vcc_lo
	v_add_co_ci_u32_e32 v131, vcc_lo, 0, v131, vcc_lo
	s_delay_alu instid0(VALU_DEP_2)
	v_lshrrev_b32_e32 v56, v57, v56
; %bb.8604:                             ;   in Loop: Header=BB6_8134 Depth=2
	s_and_not1_saveexec_b32 s7, s7
; %bb.8605:                             ;   in Loop: Header=BB6_8134 Depth=2
	s_delay_alu instid0(VALU_DEP_1)
	v_bfe_u32 v131, v56, 23, 1
; %bb.8606:                             ;   in Loop: Header=BB6_8134 Depth=2
	s_or_b32 exec_lo, exec_lo, s7
	v_lshrrev_b32_e32 v56, 20, v56
	s_delay_alu instid0(VALU_DEP_2) | instskip(SKIP_2) | instid1(VALU_DEP_2)
	v_cmp_gt_i32_e32 vcc_lo, 16, v131
	v_lshrrev_b32_e32 v47, 24, v47
	v_min_i32_e32 v57, 15, v131
	v_dual_cndmask_b32 v56, 7, v56 :: v_dual_and_b32 v47, 0x80, v47
	s_delay_alu instid0(VALU_DEP_2) | instskip(NEXT) | instid1(VALU_DEP_2)
	v_lshlrev_b32_e32 v57, 3, v57
	v_or_b32_e32 v131, v131, v56
	s_delay_alu instid0(VALU_DEP_1) | instskip(SKIP_1) | instid1(VALU_DEP_1)
	v_cmp_ne_u32_e32 vcc_lo, 0, v131
	v_and_b32_e32 v58, 7, v56
	v_or3_b32 v47, v57, v47, v58
	s_delay_alu instid0(VALU_DEP_1)
	v_cndmask_b32_e32 v131, 0, v47, vcc_lo
.LBB6_8607:                             ;   in Loop: Header=BB6_8134 Depth=2
	s_or_b32 exec_lo, exec_lo, s24
.LBB6_8608:                             ;   in Loop: Header=BB6_8134 Depth=2
	s_delay_alu instid0(SALU_CYCLE_1) | instskip(SKIP_3) | instid1(VALU_DEP_1)
	s_or_b32 exec_lo, exec_lo, s23
	v_and_b32_e32 v56, 0xff, v144
	s_mov_b32 s7, 0
	s_mov_b32 s24, exec_lo
                                        ; implicit-def: $sgpr23
	v_cmpx_lt_i16_e32 0x7f, v56
	s_xor_b32 s24, exec_lo, s24
	s_cbranch_execnz .LBB6_9209
; %bb.8609:                             ;   in Loop: Header=BB6_8134 Depth=2
	s_or_saveexec_b32 s24, s24
	v_mov_b32_e32 v47, s23
	s_xor_b32 exec_lo, exec_lo, s24
	s_cbranch_execnz .LBB6_9212
.LBB6_8610:                             ;   in Loop: Header=BB6_8134 Depth=2
	s_or_b32 exec_lo, exec_lo, s24
	s_and_saveexec_b32 s23, s7
	s_cbranch_execz .LBB6_8612
.LBB6_8611:                             ;   in Loop: Header=BB6_8134 Depth=2
	v_and_b32_e32 v47, 7, v144
	v_lshrrev_b16 v58, 3, v144
	s_delay_alu instid0(VALU_DEP_2) | instskip(NEXT) | instid1(VALU_DEP_1)
	v_clz_i32_u32_e32 v56, v47
	v_min_u32_e32 v56, 32, v56
	s_delay_alu instid0(VALU_DEP_1) | instskip(SKIP_1) | instid1(VALU_DEP_2)
	v_subrev_nc_u32_e32 v57, 28, v56
	v_sub_nc_u32_e32 v56, 29, v56
	v_lshlrev_b32_e32 v57, v57, v144
	v_lshlrev_b32_e32 v144, 24, v144
	s_delay_alu instid0(VALU_DEP_2) | instskip(SKIP_1) | instid1(VALU_DEP_3)
	v_and_b32_e32 v57, 7, v57
	v_and_b32_e32 v58, 15, v58
	;; [unrolled: 1-line block ×3, first 2 shown]
	s_delay_alu instid0(VALU_DEP_2) | instskip(NEXT) | instid1(VALU_DEP_4)
	v_cmp_eq_u32_e32 vcc_lo, 0, v58
	v_dual_cndmask_b32 v47, v47, v57 :: v_dual_cndmask_b32 v56, v58, v56
	s_delay_alu instid0(VALU_DEP_1) | instskip(NEXT) | instid1(VALU_DEP_2)
	v_lshlrev_b32_e32 v47, 20, v47
	v_lshl_add_u32 v56, v56, 23, 0x3b800000
	s_delay_alu instid0(VALU_DEP_1)
	v_or3_b32 v47, v144, v56, v47
.LBB6_8612:                             ;   in Loop: Header=BB6_8134 Depth=2
	s_or_b32 exec_lo, exec_lo, s23
	s_waitcnt vmcnt(26) lgkmcnt(26)
	v_and_b32_e32 v56, 0xff, v46
	s_mov_b32 s7, 0
	s_mov_b32 s24, exec_lo
                                        ; implicit-def: $sgpr23
	s_delay_alu instid0(VALU_DEP_1)
	v_cmpx_lt_i16_e32 0x7f, v56
	s_xor_b32 s24, exec_lo, s24
	s_cbranch_execnz .LBB6_9213
; %bb.8613:                             ;   in Loop: Header=BB6_8134 Depth=2
	s_or_saveexec_b32 s24, s24
	v_mov_b32_e32 v144, s23
	s_xor_b32 exec_lo, exec_lo, s24
	s_cbranch_execnz .LBB6_9216
.LBB6_8614:                             ;   in Loop: Header=BB6_8134 Depth=2
	s_or_b32 exec_lo, exec_lo, s24
	s_and_saveexec_b32 s23, s7
	s_cbranch_execz .LBB6_8616
.LBB6_8615:                             ;   in Loop: Header=BB6_8134 Depth=2
	v_and_b32_e32 v144, 7, v46
	v_lshrrev_b16 v58, 3, v46
	s_delay_alu instid0(VALU_DEP_2) | instskip(NEXT) | instid1(VALU_DEP_2)
	v_clz_i32_u32_e32 v56, v144
	v_and_b32_e32 v58, 15, v58
	s_delay_alu instid0(VALU_DEP_2) | instskip(NEXT) | instid1(VALU_DEP_2)
	v_min_u32_e32 v56, 32, v56
	v_cmp_eq_u32_e32 vcc_lo, 0, v58
	s_delay_alu instid0(VALU_DEP_2) | instskip(SKIP_1) | instid1(VALU_DEP_1)
	v_subrev_nc_u32_e32 v57, 28, v56
	v_sub_nc_u32_e32 v56, 29, v56
	v_dual_cndmask_b32 v56, v58, v56 :: v_dual_lshlrev_b32 v57, v57, v46
	v_lshlrev_b32_e32 v46, 24, v46
	s_delay_alu instid0(VALU_DEP_2) | instskip(NEXT) | instid1(VALU_DEP_3)
	v_and_b32_e32 v57, 7, v57
	v_lshl_add_u32 v56, v56, 23, 0x3b800000
	s_delay_alu instid0(VALU_DEP_3) | instskip(NEXT) | instid1(VALU_DEP_3)
	v_and_b32_e32 v46, 0x80000000, v46
	v_cndmask_b32_e32 v144, v144, v57, vcc_lo
	s_delay_alu instid0(VALU_DEP_1) | instskip(NEXT) | instid1(VALU_DEP_1)
	v_lshlrev_b32_e32 v144, 20, v144
	v_or3_b32 v144, v46, v56, v144
.LBB6_8616:                             ;   in Loop: Header=BB6_8134 Depth=2
	s_or_b32 exec_lo, exec_lo, s23
	s_delay_alu instid0(VALU_DEP_1) | instskip(NEXT) | instid1(VALU_DEP_1)
	v_add_f32_e32 v46, v47, v144
	v_and_b32_e32 v144, 0x7f800000, v46
	s_delay_alu instid0(VALU_DEP_1)
	v_cmp_ne_u32_e32 vcc_lo, 0x7f800000, v144
	v_mov_b32_e32 v144, 0x80
	s_and_saveexec_b32 s23, vcc_lo
	s_cbranch_execz .LBB6_8624
; %bb.8617:                             ;   in Loop: Header=BB6_8134 Depth=2
	v_mov_b32_e32 v144, 0
	s_mov_b32 s24, exec_lo
	v_cmpx_ne_u32_e32 0, v46
	s_cbranch_execz .LBB6_8623
; %bb.8618:                             ;   in Loop: Header=BB6_8134 Depth=2
	v_bfe_u32 v144, v46, 23, 8
	s_delay_alu instid0(VALU_DEP_1) | instskip(SKIP_1) | instid1(VALU_DEP_2)
	v_sub_nc_u32_e32 v56, 0x78, v144
	v_cmp_gt_u32_e32 vcc_lo, 0x79, v144
	v_dual_cndmask_b32 v56, 0, v56 :: v_dual_and_b32 v47, 0x7fffff, v46
	s_delay_alu instid0(VALU_DEP_1) | instskip(SKIP_2) | instid1(VALU_DEP_4)
	v_or_b32_e32 v57, 0x800000, v47
	v_cmp_eq_u32_e32 vcc_lo, 0, v144
	v_add_nc_u32_e32 v144, 0xffffff89, v144
	v_cndmask_b32_e64 v56, v56, 0x77, vcc_lo
	s_delay_alu instid0(VALU_DEP_4) | instskip(NEXT) | instid1(VALU_DEP_3)
	v_cndmask_b32_e32 v47, v57, v47, vcc_lo
	v_cndmask_b32_e64 v144, v144, 0xffffff8a, vcc_lo
	s_delay_alu instid0(VALU_DEP_3) | instskip(NEXT) | instid1(VALU_DEP_3)
	v_lshl_add_u32 v57, 0x100000, v56, -1
	v_lshrrev_b32_e32 v58, v56, v47
	v_lshlrev_b32_e64 v60, v56, 0x80000
	s_delay_alu instid0(VALU_DEP_4) | instskip(NEXT) | instid1(VALU_DEP_4)
	v_add_nc_u32_e32 v56, v56, v144
	v_and_b32_e32 v47, v57, v47
	s_delay_alu instid0(VALU_DEP_4) | instskip(NEXT) | instid1(VALU_DEP_2)
	v_bfe_u32 v59, v58, 20, 1
	v_cmp_eq_u32_e64 s7, v47, v60
	s_delay_alu instid0(VALU_DEP_2) | instskip(NEXT) | instid1(VALU_DEP_1)
	v_add_nc_u32_e32 v57, -1, v59
	v_cndmask_b32_e64 v47, 0, v57, s7
	v_lshrrev_b32_e32 v57, 23, v58
	s_mov_b32 s7, exec_lo
	s_delay_alu instid0(VALU_DEP_2) | instskip(NEXT) | instid1(VALU_DEP_2)
	v_add_nc_u32_e32 v47, v47, v58
	v_xor_b32_e32 v57, 1, v57
	s_delay_alu instid0(VALU_DEP_2) | instskip(NEXT) | instid1(VALU_DEP_1)
	v_and_b32_e32 v144, 0xfffff, v47
	v_add_nc_u32_e32 v47, v144, v58
                                        ; implicit-def: $vgpr144
	s_delay_alu instid0(VALU_DEP_3)
	v_cmpx_ne_u32_e64 v56, v57
	s_xor_b32 s7, exec_lo, s7
; %bb.8619:                             ;   in Loop: Header=BB6_8134 Depth=2
	s_delay_alu instid0(VALU_DEP_2) | instskip(SKIP_2) | instid1(VALU_DEP_2)
	v_cmp_lt_u32_e32 vcc_lo, 0xffffff, v47
	v_sub_nc_u32_e32 v144, v56, v57
	v_cndmask_b32_e64 v56, 0, 1, vcc_lo
	v_add_co_ci_u32_e32 v144, vcc_lo, 0, v144, vcc_lo
	s_delay_alu instid0(VALU_DEP_2)
	v_lshrrev_b32_e32 v47, v56, v47
; %bb.8620:                             ;   in Loop: Header=BB6_8134 Depth=2
	s_and_not1_saveexec_b32 s7, s7
; %bb.8621:                             ;   in Loop: Header=BB6_8134 Depth=2
	s_delay_alu instid0(VALU_DEP_1)
	v_bfe_u32 v144, v47, 23, 1
; %bb.8622:                             ;   in Loop: Header=BB6_8134 Depth=2
	s_or_b32 exec_lo, exec_lo, s7
	v_lshrrev_b32_e32 v47, 20, v47
	s_delay_alu instid0(VALU_DEP_2) | instskip(SKIP_2) | instid1(VALU_DEP_2)
	v_cmp_gt_i32_e32 vcc_lo, 16, v144
	v_lshrrev_b32_e32 v46, 24, v46
	v_min_i32_e32 v56, 15, v144
	v_dual_cndmask_b32 v47, 7, v47 :: v_dual_and_b32 v46, 0x80, v46
	s_delay_alu instid0(VALU_DEP_2) | instskip(NEXT) | instid1(VALU_DEP_2)
	v_lshlrev_b32_e32 v56, 3, v56
	v_or_b32_e32 v144, v144, v47
	s_delay_alu instid0(VALU_DEP_1) | instskip(SKIP_1) | instid1(VALU_DEP_1)
	v_cmp_ne_u32_e32 vcc_lo, 0, v144
	v_and_b32_e32 v57, 7, v47
	v_or3_b32 v46, v56, v46, v57
	s_delay_alu instid0(VALU_DEP_1)
	v_cndmask_b32_e32 v144, 0, v46, vcc_lo
.LBB6_8623:                             ;   in Loop: Header=BB6_8134 Depth=2
	s_or_b32 exec_lo, exec_lo, s24
.LBB6_8624:                             ;   in Loop: Header=BB6_8134 Depth=2
	s_delay_alu instid0(SALU_CYCLE_1) | instskip(SKIP_3) | instid1(VALU_DEP_1)
	s_or_b32 exec_lo, exec_lo, s23
	v_and_b32_e32 v47, 0xff, v149
	s_mov_b32 s7, 0
	s_mov_b32 s24, exec_lo
                                        ; implicit-def: $sgpr23
	v_cmpx_lt_i16_e32 0x7f, v47
	s_xor_b32 s24, exec_lo, s24
	s_cbranch_execnz .LBB6_9217
; %bb.8625:                             ;   in Loop: Header=BB6_8134 Depth=2
	s_or_saveexec_b32 s24, s24
	v_mov_b32_e32 v46, s23
	s_xor_b32 exec_lo, exec_lo, s24
	s_cbranch_execnz .LBB6_9220
.LBB6_8626:                             ;   in Loop: Header=BB6_8134 Depth=2
	s_or_b32 exec_lo, exec_lo, s24
	s_and_saveexec_b32 s23, s7
	s_cbranch_execz .LBB6_8628
.LBB6_8627:                             ;   in Loop: Header=BB6_8134 Depth=2
	v_lshrrev_b16 v57, 3, v149
	s_delay_alu instid0(VALU_DEP_1) | instskip(NEXT) | instid1(VALU_DEP_1)
	v_and_b32_e32 v57, 15, v57
	v_cmp_eq_u32_e32 vcc_lo, 0, v57
	v_and_b32_e32 v46, 7, v149
	s_delay_alu instid0(VALU_DEP_1) | instskip(NEXT) | instid1(VALU_DEP_1)
	v_clz_i32_u32_e32 v47, v46
	v_min_u32_e32 v47, 32, v47
	s_delay_alu instid0(VALU_DEP_1) | instskip(SKIP_1) | instid1(VALU_DEP_1)
	v_subrev_nc_u32_e32 v56, 28, v47
	v_sub_nc_u32_e32 v47, 29, v47
	v_dual_cndmask_b32 v47, v57, v47 :: v_dual_lshlrev_b32 v56, v56, v149
	v_lshlrev_b32_e32 v149, 24, v149
	s_delay_alu instid0(VALU_DEP_2) | instskip(NEXT) | instid1(VALU_DEP_3)
	v_and_b32_e32 v56, 7, v56
	v_lshl_add_u32 v47, v47, 23, 0x3b800000
	s_delay_alu instid0(VALU_DEP_2) | instskip(NEXT) | instid1(VALU_DEP_1)
	v_dual_cndmask_b32 v46, v46, v56 :: v_dual_and_b32 v149, 0x80000000, v149
	v_lshlrev_b32_e32 v46, 20, v46
	s_delay_alu instid0(VALU_DEP_1)
	v_or3_b32 v46, v149, v47, v46
.LBB6_8628:                             ;   in Loop: Header=BB6_8134 Depth=2
	s_or_b32 exec_lo, exec_lo, s23
	s_waitcnt vmcnt(25) lgkmcnt(25)
	v_and_b32_e32 v47, 0xff, v45
	s_mov_b32 s7, 0
	s_mov_b32 s24, exec_lo
                                        ; implicit-def: $sgpr23
	s_delay_alu instid0(VALU_DEP_1)
	v_cmpx_lt_i16_e32 0x7f, v47
	s_xor_b32 s24, exec_lo, s24
	s_cbranch_execnz .LBB6_9221
; %bb.8629:                             ;   in Loop: Header=BB6_8134 Depth=2
	s_or_saveexec_b32 s24, s24
	v_mov_b32_e32 v149, s23
	s_xor_b32 exec_lo, exec_lo, s24
	s_cbranch_execnz .LBB6_9224
.LBB6_8630:                             ;   in Loop: Header=BB6_8134 Depth=2
	s_or_b32 exec_lo, exec_lo, s24
	s_and_saveexec_b32 s23, s7
	s_cbranch_execz .LBB6_8632
.LBB6_8631:                             ;   in Loop: Header=BB6_8134 Depth=2
	v_and_b32_e32 v149, 7, v45
	v_lshrrev_b16 v57, 3, v45
	s_delay_alu instid0(VALU_DEP_2) | instskip(NEXT) | instid1(VALU_DEP_2)
	v_clz_i32_u32_e32 v47, v149
	v_and_b32_e32 v57, 15, v57
	s_delay_alu instid0(VALU_DEP_2) | instskip(NEXT) | instid1(VALU_DEP_2)
	v_min_u32_e32 v47, 32, v47
	v_cmp_eq_u32_e32 vcc_lo, 0, v57
	s_delay_alu instid0(VALU_DEP_2) | instskip(SKIP_1) | instid1(VALU_DEP_1)
	v_subrev_nc_u32_e32 v56, 28, v47
	v_sub_nc_u32_e32 v47, 29, v47
	v_dual_cndmask_b32 v47, v57, v47 :: v_dual_lshlrev_b32 v56, v56, v45
	v_lshlrev_b32_e32 v45, 24, v45
	s_delay_alu instid0(VALU_DEP_2) | instskip(NEXT) | instid1(VALU_DEP_3)
	v_and_b32_e32 v56, 7, v56
	v_lshl_add_u32 v47, v47, 23, 0x3b800000
	s_delay_alu instid0(VALU_DEP_3) | instskip(NEXT) | instid1(VALU_DEP_3)
	v_and_b32_e32 v45, 0x80000000, v45
	v_cndmask_b32_e32 v149, v149, v56, vcc_lo
	s_delay_alu instid0(VALU_DEP_1) | instskip(NEXT) | instid1(VALU_DEP_1)
	v_lshlrev_b32_e32 v149, 20, v149
	v_or3_b32 v149, v45, v47, v149
.LBB6_8632:                             ;   in Loop: Header=BB6_8134 Depth=2
	s_or_b32 exec_lo, exec_lo, s23
	s_delay_alu instid0(VALU_DEP_1) | instskip(NEXT) | instid1(VALU_DEP_1)
	v_add_f32_e32 v45, v46, v149
	v_and_b32_e32 v149, 0x7f800000, v45
	s_delay_alu instid0(VALU_DEP_1)
	v_cmp_ne_u32_e32 vcc_lo, 0x7f800000, v149
	v_mov_b32_e32 v149, 0x80
	s_and_saveexec_b32 s23, vcc_lo
	s_cbranch_execz .LBB6_8640
; %bb.8633:                             ;   in Loop: Header=BB6_8134 Depth=2
	v_mov_b32_e32 v149, 0
	s_mov_b32 s24, exec_lo
	v_cmpx_ne_u32_e32 0, v45
	s_cbranch_execz .LBB6_8639
; %bb.8634:                             ;   in Loop: Header=BB6_8134 Depth=2
	v_bfe_u32 v149, v45, 23, 8
	s_delay_alu instid0(VALU_DEP_1) | instskip(SKIP_1) | instid1(VALU_DEP_2)
	v_sub_nc_u32_e32 v47, 0x78, v149
	v_cmp_gt_u32_e32 vcc_lo, 0x79, v149
	v_dual_cndmask_b32 v47, 0, v47 :: v_dual_and_b32 v46, 0x7fffff, v45
	s_delay_alu instid0(VALU_DEP_1) | instskip(SKIP_2) | instid1(VALU_DEP_4)
	v_or_b32_e32 v56, 0x800000, v46
	v_cmp_eq_u32_e32 vcc_lo, 0, v149
	v_add_nc_u32_e32 v149, 0xffffff89, v149
	v_cndmask_b32_e64 v47, v47, 0x77, vcc_lo
	s_delay_alu instid0(VALU_DEP_4) | instskip(NEXT) | instid1(VALU_DEP_3)
	v_cndmask_b32_e32 v46, v56, v46, vcc_lo
	v_cndmask_b32_e64 v149, v149, 0xffffff8a, vcc_lo
	s_delay_alu instid0(VALU_DEP_3) | instskip(NEXT) | instid1(VALU_DEP_3)
	v_lshl_add_u32 v56, 0x100000, v47, -1
	v_lshrrev_b32_e32 v57, v47, v46
	v_lshlrev_b32_e64 v59, v47, 0x80000
	s_delay_alu instid0(VALU_DEP_4) | instskip(NEXT) | instid1(VALU_DEP_4)
	v_add_nc_u32_e32 v47, v47, v149
	v_and_b32_e32 v46, v56, v46
	s_delay_alu instid0(VALU_DEP_4) | instskip(NEXT) | instid1(VALU_DEP_2)
	v_bfe_u32 v58, v57, 20, 1
	v_cmp_eq_u32_e64 s7, v46, v59
	s_delay_alu instid0(VALU_DEP_2) | instskip(NEXT) | instid1(VALU_DEP_1)
	v_add_nc_u32_e32 v56, -1, v58
	v_cndmask_b32_e64 v46, 0, v56, s7
	v_lshrrev_b32_e32 v56, 23, v57
	s_mov_b32 s7, exec_lo
	s_delay_alu instid0(VALU_DEP_2) | instskip(NEXT) | instid1(VALU_DEP_2)
	v_add_nc_u32_e32 v46, v46, v57
	v_xor_b32_e32 v56, 1, v56
	s_delay_alu instid0(VALU_DEP_2) | instskip(NEXT) | instid1(VALU_DEP_1)
	v_and_b32_e32 v149, 0xfffff, v46
	v_add_nc_u32_e32 v46, v149, v57
                                        ; implicit-def: $vgpr149
	s_delay_alu instid0(VALU_DEP_3)
	v_cmpx_ne_u32_e64 v47, v56
	s_xor_b32 s7, exec_lo, s7
; %bb.8635:                             ;   in Loop: Header=BB6_8134 Depth=2
	s_delay_alu instid0(VALU_DEP_2) | instskip(SKIP_2) | instid1(VALU_DEP_2)
	v_cmp_lt_u32_e32 vcc_lo, 0xffffff, v46
	v_sub_nc_u32_e32 v149, v47, v56
	v_cndmask_b32_e64 v47, 0, 1, vcc_lo
	v_add_co_ci_u32_e32 v149, vcc_lo, 0, v149, vcc_lo
	s_delay_alu instid0(VALU_DEP_2)
	v_lshrrev_b32_e32 v46, v47, v46
; %bb.8636:                             ;   in Loop: Header=BB6_8134 Depth=2
	s_and_not1_saveexec_b32 s7, s7
; %bb.8637:                             ;   in Loop: Header=BB6_8134 Depth=2
	s_delay_alu instid0(VALU_DEP_1)
	v_bfe_u32 v149, v46, 23, 1
; %bb.8638:                             ;   in Loop: Header=BB6_8134 Depth=2
	s_or_b32 exec_lo, exec_lo, s7
	v_lshrrev_b32_e32 v46, 20, v46
	s_delay_alu instid0(VALU_DEP_2) | instskip(SKIP_2) | instid1(VALU_DEP_2)
	v_cmp_gt_i32_e32 vcc_lo, 16, v149
	v_lshrrev_b32_e32 v45, 24, v45
	v_min_i32_e32 v47, 15, v149
	v_dual_cndmask_b32 v46, 7, v46 :: v_dual_and_b32 v45, 0x80, v45
	s_delay_alu instid0(VALU_DEP_2) | instskip(NEXT) | instid1(VALU_DEP_2)
	v_lshlrev_b32_e32 v47, 3, v47
	v_or_b32_e32 v149, v149, v46
	s_delay_alu instid0(VALU_DEP_1) | instskip(SKIP_1) | instid1(VALU_DEP_1)
	v_cmp_ne_u32_e32 vcc_lo, 0, v149
	v_and_b32_e32 v56, 7, v46
	v_or3_b32 v45, v47, v45, v56
	s_delay_alu instid0(VALU_DEP_1)
	v_cndmask_b32_e32 v149, 0, v45, vcc_lo
.LBB6_8639:                             ;   in Loop: Header=BB6_8134 Depth=2
	s_or_b32 exec_lo, exec_lo, s24
.LBB6_8640:                             ;   in Loop: Header=BB6_8134 Depth=2
	s_delay_alu instid0(SALU_CYCLE_1) | instskip(SKIP_3) | instid1(VALU_DEP_1)
	s_or_b32 exec_lo, exec_lo, s23
	v_and_b32_e32 v46, 0xff, v162
	s_mov_b32 s7, 0
	s_mov_b32 s24, exec_lo
                                        ; implicit-def: $sgpr23
	v_cmpx_lt_i16_e32 0x7f, v46
	s_xor_b32 s24, exec_lo, s24
	s_cbranch_execnz .LBB6_9225
; %bb.8641:                             ;   in Loop: Header=BB6_8134 Depth=2
	s_or_saveexec_b32 s24, s24
	v_mov_b32_e32 v45, s23
	s_xor_b32 exec_lo, exec_lo, s24
	s_cbranch_execnz .LBB6_9228
.LBB6_8642:                             ;   in Loop: Header=BB6_8134 Depth=2
	s_or_b32 exec_lo, exec_lo, s24
	s_and_saveexec_b32 s23, s7
	s_cbranch_execz .LBB6_8644
.LBB6_8643:                             ;   in Loop: Header=BB6_8134 Depth=2
	v_and_b32_e32 v45, 7, v162
	v_lshrrev_b16 v56, 3, v162
	s_delay_alu instid0(VALU_DEP_2) | instskip(NEXT) | instid1(VALU_DEP_1)
	v_clz_i32_u32_e32 v46, v45
	v_min_u32_e32 v46, 32, v46
	s_delay_alu instid0(VALU_DEP_1) | instskip(SKIP_1) | instid1(VALU_DEP_2)
	v_subrev_nc_u32_e32 v47, 28, v46
	v_sub_nc_u32_e32 v46, 29, v46
	v_lshlrev_b32_e32 v47, v47, v162
	v_lshlrev_b32_e32 v162, 24, v162
	s_delay_alu instid0(VALU_DEP_2) | instskip(SKIP_1) | instid1(VALU_DEP_3)
	v_and_b32_e32 v47, 7, v47
	v_and_b32_e32 v56, 15, v56
	v_and_b32_e32 v162, 0x80000000, v162
	s_delay_alu instid0(VALU_DEP_2) | instskip(NEXT) | instid1(VALU_DEP_4)
	v_cmp_eq_u32_e32 vcc_lo, 0, v56
	v_dual_cndmask_b32 v45, v45, v47 :: v_dual_cndmask_b32 v46, v56, v46
	s_delay_alu instid0(VALU_DEP_1) | instskip(NEXT) | instid1(VALU_DEP_2)
	v_lshlrev_b32_e32 v45, 20, v45
	v_lshl_add_u32 v46, v46, 23, 0x3b800000
	s_delay_alu instid0(VALU_DEP_1)
	v_or3_b32 v45, v162, v46, v45
.LBB6_8644:                             ;   in Loop: Header=BB6_8134 Depth=2
	s_or_b32 exec_lo, exec_lo, s23
	s_waitcnt vmcnt(24) lgkmcnt(24)
	v_and_b32_e32 v46, 0xff, v44
	s_mov_b32 s7, 0
	s_mov_b32 s24, exec_lo
                                        ; implicit-def: $sgpr23
	s_delay_alu instid0(VALU_DEP_1)
	v_cmpx_lt_i16_e32 0x7f, v46
	s_xor_b32 s24, exec_lo, s24
	s_cbranch_execnz .LBB6_9229
; %bb.8645:                             ;   in Loop: Header=BB6_8134 Depth=2
	s_or_saveexec_b32 s24, s24
	v_mov_b32_e32 v162, s23
	s_xor_b32 exec_lo, exec_lo, s24
	s_cbranch_execnz .LBB6_9232
.LBB6_8646:                             ;   in Loop: Header=BB6_8134 Depth=2
	s_or_b32 exec_lo, exec_lo, s24
	s_and_saveexec_b32 s23, s7
	s_cbranch_execz .LBB6_8648
.LBB6_8647:                             ;   in Loop: Header=BB6_8134 Depth=2
	v_and_b32_e32 v162, 7, v44
	v_lshrrev_b16 v56, 3, v44
	s_delay_alu instid0(VALU_DEP_2) | instskip(NEXT) | instid1(VALU_DEP_2)
	v_clz_i32_u32_e32 v46, v162
	v_and_b32_e32 v56, 15, v56
	s_delay_alu instid0(VALU_DEP_2) | instskip(NEXT) | instid1(VALU_DEP_2)
	v_min_u32_e32 v46, 32, v46
	v_cmp_eq_u32_e32 vcc_lo, 0, v56
	s_delay_alu instid0(VALU_DEP_2) | instskip(SKIP_1) | instid1(VALU_DEP_1)
	v_subrev_nc_u32_e32 v47, 28, v46
	v_sub_nc_u32_e32 v46, 29, v46
	v_dual_cndmask_b32 v46, v56, v46 :: v_dual_lshlrev_b32 v47, v47, v44
	v_lshlrev_b32_e32 v44, 24, v44
	s_delay_alu instid0(VALU_DEP_2) | instskip(NEXT) | instid1(VALU_DEP_3)
	v_and_b32_e32 v47, 7, v47
	v_lshl_add_u32 v46, v46, 23, 0x3b800000
	s_delay_alu instid0(VALU_DEP_3) | instskip(NEXT) | instid1(VALU_DEP_3)
	v_and_b32_e32 v44, 0x80000000, v44
	v_cndmask_b32_e32 v162, v162, v47, vcc_lo
	s_delay_alu instid0(VALU_DEP_1) | instskip(NEXT) | instid1(VALU_DEP_1)
	v_lshlrev_b32_e32 v162, 20, v162
	v_or3_b32 v162, v44, v46, v162
.LBB6_8648:                             ;   in Loop: Header=BB6_8134 Depth=2
	s_or_b32 exec_lo, exec_lo, s23
	s_delay_alu instid0(VALU_DEP_1) | instskip(NEXT) | instid1(VALU_DEP_1)
	v_add_f32_e32 v44, v45, v162
	v_and_b32_e32 v162, 0x7f800000, v44
	s_delay_alu instid0(VALU_DEP_1)
	v_cmp_ne_u32_e32 vcc_lo, 0x7f800000, v162
	v_mov_b32_e32 v162, 0x80
	s_and_saveexec_b32 s23, vcc_lo
	s_cbranch_execz .LBB6_8656
; %bb.8649:                             ;   in Loop: Header=BB6_8134 Depth=2
	v_mov_b32_e32 v162, 0
	s_mov_b32 s24, exec_lo
	v_cmpx_ne_u32_e32 0, v44
	s_cbranch_execz .LBB6_8655
; %bb.8650:                             ;   in Loop: Header=BB6_8134 Depth=2
	v_bfe_u32 v162, v44, 23, 8
	s_delay_alu instid0(VALU_DEP_1) | instskip(SKIP_1) | instid1(VALU_DEP_2)
	v_sub_nc_u32_e32 v46, 0x78, v162
	v_cmp_gt_u32_e32 vcc_lo, 0x79, v162
	v_dual_cndmask_b32 v46, 0, v46 :: v_dual_and_b32 v45, 0x7fffff, v44
	s_delay_alu instid0(VALU_DEP_1) | instskip(SKIP_2) | instid1(VALU_DEP_4)
	v_or_b32_e32 v47, 0x800000, v45
	v_cmp_eq_u32_e32 vcc_lo, 0, v162
	v_add_nc_u32_e32 v162, 0xffffff89, v162
	v_cndmask_b32_e64 v46, v46, 0x77, vcc_lo
	s_delay_alu instid0(VALU_DEP_4) | instskip(NEXT) | instid1(VALU_DEP_3)
	v_cndmask_b32_e32 v45, v47, v45, vcc_lo
	v_cndmask_b32_e64 v162, v162, 0xffffff8a, vcc_lo
	s_delay_alu instid0(VALU_DEP_3) | instskip(NEXT) | instid1(VALU_DEP_3)
	v_lshl_add_u32 v47, 0x100000, v46, -1
	v_lshrrev_b32_e32 v56, v46, v45
	v_lshlrev_b32_e64 v58, v46, 0x80000
	s_delay_alu instid0(VALU_DEP_4) | instskip(NEXT) | instid1(VALU_DEP_4)
	v_add_nc_u32_e32 v46, v46, v162
	v_and_b32_e32 v45, v47, v45
	s_delay_alu instid0(VALU_DEP_4) | instskip(NEXT) | instid1(VALU_DEP_2)
	v_bfe_u32 v57, v56, 20, 1
	v_cmp_eq_u32_e64 s7, v45, v58
	s_delay_alu instid0(VALU_DEP_2) | instskip(NEXT) | instid1(VALU_DEP_1)
	v_add_nc_u32_e32 v47, -1, v57
	v_cndmask_b32_e64 v45, 0, v47, s7
	v_lshrrev_b32_e32 v47, 23, v56
	s_mov_b32 s7, exec_lo
	s_delay_alu instid0(VALU_DEP_2) | instskip(NEXT) | instid1(VALU_DEP_2)
	v_add_nc_u32_e32 v45, v45, v56
	v_xor_b32_e32 v47, 1, v47
	s_delay_alu instid0(VALU_DEP_2) | instskip(NEXT) | instid1(VALU_DEP_1)
	v_and_b32_e32 v162, 0xfffff, v45
	v_add_nc_u32_e32 v45, v162, v56
                                        ; implicit-def: $vgpr162
	s_delay_alu instid0(VALU_DEP_3)
	v_cmpx_ne_u32_e64 v46, v47
	s_xor_b32 s7, exec_lo, s7
; %bb.8651:                             ;   in Loop: Header=BB6_8134 Depth=2
	s_delay_alu instid0(VALU_DEP_2) | instskip(SKIP_2) | instid1(VALU_DEP_2)
	v_cmp_lt_u32_e32 vcc_lo, 0xffffff, v45
	v_sub_nc_u32_e32 v162, v46, v47
	v_cndmask_b32_e64 v46, 0, 1, vcc_lo
	v_add_co_ci_u32_e32 v162, vcc_lo, 0, v162, vcc_lo
	s_delay_alu instid0(VALU_DEP_2)
	v_lshrrev_b32_e32 v45, v46, v45
; %bb.8652:                             ;   in Loop: Header=BB6_8134 Depth=2
	s_and_not1_saveexec_b32 s7, s7
; %bb.8653:                             ;   in Loop: Header=BB6_8134 Depth=2
	s_delay_alu instid0(VALU_DEP_1)
	v_bfe_u32 v162, v45, 23, 1
; %bb.8654:                             ;   in Loop: Header=BB6_8134 Depth=2
	s_or_b32 exec_lo, exec_lo, s7
	v_lshrrev_b32_e32 v45, 20, v45
	s_delay_alu instid0(VALU_DEP_2) | instskip(SKIP_2) | instid1(VALU_DEP_2)
	v_cmp_gt_i32_e32 vcc_lo, 16, v162
	v_lshrrev_b32_e32 v44, 24, v44
	v_min_i32_e32 v46, 15, v162
	v_dual_cndmask_b32 v45, 7, v45 :: v_dual_and_b32 v44, 0x80, v44
	s_delay_alu instid0(VALU_DEP_2) | instskip(NEXT) | instid1(VALU_DEP_2)
	v_lshlrev_b32_e32 v46, 3, v46
	v_or_b32_e32 v162, v162, v45
	s_delay_alu instid0(VALU_DEP_1) | instskip(SKIP_1) | instid1(VALU_DEP_1)
	v_cmp_ne_u32_e32 vcc_lo, 0, v162
	v_and_b32_e32 v47, 7, v45
	v_or3_b32 v44, v46, v44, v47
	s_delay_alu instid0(VALU_DEP_1)
	v_cndmask_b32_e32 v162, 0, v44, vcc_lo
.LBB6_8655:                             ;   in Loop: Header=BB6_8134 Depth=2
	s_or_b32 exec_lo, exec_lo, s24
.LBB6_8656:                             ;   in Loop: Header=BB6_8134 Depth=2
	s_delay_alu instid0(SALU_CYCLE_1) | instskip(SKIP_3) | instid1(VALU_DEP_1)
	s_or_b32 exec_lo, exec_lo, s23
	v_and_b32_e32 v45, 0xff, v163
	s_mov_b32 s7, 0
	s_mov_b32 s24, exec_lo
                                        ; implicit-def: $sgpr23
	v_cmpx_lt_i16_e32 0x7f, v45
	s_xor_b32 s24, exec_lo, s24
	s_cbranch_execnz .LBB6_9233
; %bb.8657:                             ;   in Loop: Header=BB6_8134 Depth=2
	s_or_saveexec_b32 s24, s24
	v_mov_b32_e32 v44, s23
	s_xor_b32 exec_lo, exec_lo, s24
	s_cbranch_execnz .LBB6_9236
.LBB6_8658:                             ;   in Loop: Header=BB6_8134 Depth=2
	s_or_b32 exec_lo, exec_lo, s24
	s_and_saveexec_b32 s23, s7
	s_cbranch_execz .LBB6_8660
.LBB6_8659:                             ;   in Loop: Header=BB6_8134 Depth=2
	v_lshrrev_b16 v47, 3, v163
	s_delay_alu instid0(VALU_DEP_1) | instskip(NEXT) | instid1(VALU_DEP_1)
	v_and_b32_e32 v47, 15, v47
	v_cmp_eq_u32_e32 vcc_lo, 0, v47
	v_and_b32_e32 v44, 7, v163
	s_delay_alu instid0(VALU_DEP_1) | instskip(NEXT) | instid1(VALU_DEP_1)
	v_clz_i32_u32_e32 v45, v44
	v_min_u32_e32 v45, 32, v45
	s_delay_alu instid0(VALU_DEP_1) | instskip(SKIP_1) | instid1(VALU_DEP_1)
	v_subrev_nc_u32_e32 v46, 28, v45
	v_sub_nc_u32_e32 v45, 29, v45
	v_dual_cndmask_b32 v45, v47, v45 :: v_dual_lshlrev_b32 v46, v46, v163
	v_lshlrev_b32_e32 v163, 24, v163
	s_delay_alu instid0(VALU_DEP_2) | instskip(NEXT) | instid1(VALU_DEP_3)
	v_and_b32_e32 v46, 7, v46
	v_lshl_add_u32 v45, v45, 23, 0x3b800000
	s_delay_alu instid0(VALU_DEP_2) | instskip(NEXT) | instid1(VALU_DEP_1)
	v_dual_cndmask_b32 v44, v44, v46 :: v_dual_and_b32 v163, 0x80000000, v163
	v_lshlrev_b32_e32 v44, 20, v44
	s_delay_alu instid0(VALU_DEP_1)
	v_or3_b32 v44, v163, v45, v44
.LBB6_8660:                             ;   in Loop: Header=BB6_8134 Depth=2
	s_or_b32 exec_lo, exec_lo, s23
	s_waitcnt vmcnt(23) lgkmcnt(23)
	v_and_b32_e32 v45, 0xff, v43
	s_mov_b32 s7, 0
	s_mov_b32 s24, exec_lo
                                        ; implicit-def: $sgpr23
	s_delay_alu instid0(VALU_DEP_1)
	v_cmpx_lt_i16_e32 0x7f, v45
	s_xor_b32 s24, exec_lo, s24
	s_cbranch_execnz .LBB6_9237
; %bb.8661:                             ;   in Loop: Header=BB6_8134 Depth=2
	s_or_saveexec_b32 s24, s24
	v_mov_b32_e32 v163, s23
	s_xor_b32 exec_lo, exec_lo, s24
	s_cbranch_execnz .LBB6_9240
.LBB6_8662:                             ;   in Loop: Header=BB6_8134 Depth=2
	s_or_b32 exec_lo, exec_lo, s24
	s_and_saveexec_b32 s23, s7
	s_cbranch_execz .LBB6_8664
.LBB6_8663:                             ;   in Loop: Header=BB6_8134 Depth=2
	v_and_b32_e32 v163, 7, v43
	v_lshrrev_b16 v47, 3, v43
	s_delay_alu instid0(VALU_DEP_2) | instskip(NEXT) | instid1(VALU_DEP_2)
	v_clz_i32_u32_e32 v45, v163
	v_and_b32_e32 v47, 15, v47
	s_delay_alu instid0(VALU_DEP_2) | instskip(NEXT) | instid1(VALU_DEP_2)
	v_min_u32_e32 v45, 32, v45
	v_cmp_eq_u32_e32 vcc_lo, 0, v47
	s_delay_alu instid0(VALU_DEP_2) | instskip(SKIP_1) | instid1(VALU_DEP_1)
	v_subrev_nc_u32_e32 v46, 28, v45
	v_sub_nc_u32_e32 v45, 29, v45
	v_dual_cndmask_b32 v45, v47, v45 :: v_dual_lshlrev_b32 v46, v46, v43
	v_lshlrev_b32_e32 v43, 24, v43
	s_delay_alu instid0(VALU_DEP_2) | instskip(NEXT) | instid1(VALU_DEP_3)
	v_and_b32_e32 v46, 7, v46
	v_lshl_add_u32 v45, v45, 23, 0x3b800000
	s_delay_alu instid0(VALU_DEP_3) | instskip(NEXT) | instid1(VALU_DEP_3)
	v_and_b32_e32 v43, 0x80000000, v43
	v_cndmask_b32_e32 v163, v163, v46, vcc_lo
	s_delay_alu instid0(VALU_DEP_1) | instskip(NEXT) | instid1(VALU_DEP_1)
	v_lshlrev_b32_e32 v163, 20, v163
	v_or3_b32 v163, v43, v45, v163
.LBB6_8664:                             ;   in Loop: Header=BB6_8134 Depth=2
	s_or_b32 exec_lo, exec_lo, s23
	s_delay_alu instid0(VALU_DEP_1) | instskip(NEXT) | instid1(VALU_DEP_1)
	v_add_f32_e32 v43, v44, v163
	v_and_b32_e32 v163, 0x7f800000, v43
	s_delay_alu instid0(VALU_DEP_1)
	v_cmp_ne_u32_e32 vcc_lo, 0x7f800000, v163
	v_mov_b32_e32 v163, 0x80
	s_and_saveexec_b32 s23, vcc_lo
	s_cbranch_execz .LBB6_8672
; %bb.8665:                             ;   in Loop: Header=BB6_8134 Depth=2
	v_mov_b32_e32 v163, 0
	s_mov_b32 s24, exec_lo
	v_cmpx_ne_u32_e32 0, v43
	s_cbranch_execz .LBB6_8671
; %bb.8666:                             ;   in Loop: Header=BB6_8134 Depth=2
	v_bfe_u32 v163, v43, 23, 8
	s_delay_alu instid0(VALU_DEP_1) | instskip(SKIP_1) | instid1(VALU_DEP_2)
	v_sub_nc_u32_e32 v45, 0x78, v163
	v_cmp_gt_u32_e32 vcc_lo, 0x79, v163
	v_dual_cndmask_b32 v45, 0, v45 :: v_dual_and_b32 v44, 0x7fffff, v43
	s_delay_alu instid0(VALU_DEP_1) | instskip(SKIP_2) | instid1(VALU_DEP_4)
	v_or_b32_e32 v46, 0x800000, v44
	v_cmp_eq_u32_e32 vcc_lo, 0, v163
	v_add_nc_u32_e32 v163, 0xffffff89, v163
	v_cndmask_b32_e64 v45, v45, 0x77, vcc_lo
	s_delay_alu instid0(VALU_DEP_4) | instskip(NEXT) | instid1(VALU_DEP_3)
	v_cndmask_b32_e32 v44, v46, v44, vcc_lo
	v_cndmask_b32_e64 v163, v163, 0xffffff8a, vcc_lo
	s_delay_alu instid0(VALU_DEP_3) | instskip(NEXT) | instid1(VALU_DEP_3)
	v_lshl_add_u32 v46, 0x100000, v45, -1
	v_lshrrev_b32_e32 v47, v45, v44
	v_lshlrev_b32_e64 v57, v45, 0x80000
	s_delay_alu instid0(VALU_DEP_4) | instskip(NEXT) | instid1(VALU_DEP_4)
	v_add_nc_u32_e32 v45, v45, v163
	v_and_b32_e32 v44, v46, v44
	s_delay_alu instid0(VALU_DEP_4) | instskip(NEXT) | instid1(VALU_DEP_2)
	v_bfe_u32 v56, v47, 20, 1
	v_cmp_eq_u32_e64 s7, v44, v57
	s_delay_alu instid0(VALU_DEP_2) | instskip(NEXT) | instid1(VALU_DEP_1)
	v_add_nc_u32_e32 v46, -1, v56
	v_cndmask_b32_e64 v44, 0, v46, s7
	v_lshrrev_b32_e32 v46, 23, v47
	s_mov_b32 s7, exec_lo
	s_delay_alu instid0(VALU_DEP_2) | instskip(NEXT) | instid1(VALU_DEP_2)
	v_add_nc_u32_e32 v44, v44, v47
	v_xor_b32_e32 v46, 1, v46
	s_delay_alu instid0(VALU_DEP_2) | instskip(NEXT) | instid1(VALU_DEP_1)
	v_and_b32_e32 v163, 0xfffff, v44
	v_add_nc_u32_e32 v44, v163, v47
                                        ; implicit-def: $vgpr163
	s_delay_alu instid0(VALU_DEP_3)
	v_cmpx_ne_u32_e64 v45, v46
	s_xor_b32 s7, exec_lo, s7
; %bb.8667:                             ;   in Loop: Header=BB6_8134 Depth=2
	s_delay_alu instid0(VALU_DEP_2) | instskip(SKIP_2) | instid1(VALU_DEP_2)
	v_cmp_lt_u32_e32 vcc_lo, 0xffffff, v44
	v_sub_nc_u32_e32 v163, v45, v46
	v_cndmask_b32_e64 v45, 0, 1, vcc_lo
	v_add_co_ci_u32_e32 v163, vcc_lo, 0, v163, vcc_lo
	s_delay_alu instid0(VALU_DEP_2)
	v_lshrrev_b32_e32 v44, v45, v44
; %bb.8668:                             ;   in Loop: Header=BB6_8134 Depth=2
	s_and_not1_saveexec_b32 s7, s7
; %bb.8669:                             ;   in Loop: Header=BB6_8134 Depth=2
	s_delay_alu instid0(VALU_DEP_1)
	v_bfe_u32 v163, v44, 23, 1
; %bb.8670:                             ;   in Loop: Header=BB6_8134 Depth=2
	s_or_b32 exec_lo, exec_lo, s7
	v_lshrrev_b32_e32 v44, 20, v44
	s_delay_alu instid0(VALU_DEP_2) | instskip(SKIP_2) | instid1(VALU_DEP_2)
	v_cmp_gt_i32_e32 vcc_lo, 16, v163
	v_lshrrev_b32_e32 v43, 24, v43
	v_min_i32_e32 v45, 15, v163
	v_dual_cndmask_b32 v44, 7, v44 :: v_dual_and_b32 v43, 0x80, v43
	s_delay_alu instid0(VALU_DEP_2) | instskip(NEXT) | instid1(VALU_DEP_2)
	v_lshlrev_b32_e32 v45, 3, v45
	v_or_b32_e32 v163, v163, v44
	s_delay_alu instid0(VALU_DEP_1) | instskip(SKIP_1) | instid1(VALU_DEP_1)
	v_cmp_ne_u32_e32 vcc_lo, 0, v163
	v_and_b32_e32 v46, 7, v44
	v_or3_b32 v43, v45, v43, v46
	s_delay_alu instid0(VALU_DEP_1)
	v_cndmask_b32_e32 v163, 0, v43, vcc_lo
.LBB6_8671:                             ;   in Loop: Header=BB6_8134 Depth=2
	s_or_b32 exec_lo, exec_lo, s24
.LBB6_8672:                             ;   in Loop: Header=BB6_8134 Depth=2
	s_delay_alu instid0(SALU_CYCLE_1) | instskip(SKIP_3) | instid1(VALU_DEP_1)
	s_or_b32 exec_lo, exec_lo, s23
	v_and_b32_e32 v44, 0xff, v161
	s_mov_b32 s7, 0
	s_mov_b32 s24, exec_lo
                                        ; implicit-def: $sgpr23
	v_cmpx_lt_i16_e32 0x7f, v44
	s_xor_b32 s24, exec_lo, s24
	s_cbranch_execnz .LBB6_9241
; %bb.8673:                             ;   in Loop: Header=BB6_8134 Depth=2
	s_or_saveexec_b32 s24, s24
	v_mov_b32_e32 v43, s23
	s_xor_b32 exec_lo, exec_lo, s24
	s_cbranch_execnz .LBB6_9244
.LBB6_8674:                             ;   in Loop: Header=BB6_8134 Depth=2
	s_or_b32 exec_lo, exec_lo, s24
	s_and_saveexec_b32 s23, s7
	s_cbranch_execz .LBB6_8676
.LBB6_8675:                             ;   in Loop: Header=BB6_8134 Depth=2
	v_lshrrev_b16 v46, 3, v161
	s_delay_alu instid0(VALU_DEP_1) | instskip(NEXT) | instid1(VALU_DEP_1)
	v_and_b32_e32 v46, 15, v46
	v_cmp_eq_u32_e32 vcc_lo, 0, v46
	v_and_b32_e32 v43, 7, v161
	s_delay_alu instid0(VALU_DEP_1) | instskip(NEXT) | instid1(VALU_DEP_1)
	v_clz_i32_u32_e32 v44, v43
	v_min_u32_e32 v44, 32, v44
	s_delay_alu instid0(VALU_DEP_1) | instskip(SKIP_1) | instid1(VALU_DEP_1)
	v_subrev_nc_u32_e32 v45, 28, v44
	v_sub_nc_u32_e32 v44, 29, v44
	v_dual_cndmask_b32 v44, v46, v44 :: v_dual_lshlrev_b32 v45, v45, v161
	v_lshlrev_b32_e32 v161, 24, v161
	s_delay_alu instid0(VALU_DEP_2) | instskip(NEXT) | instid1(VALU_DEP_3)
	v_and_b32_e32 v45, 7, v45
	v_lshl_add_u32 v44, v44, 23, 0x3b800000
	s_delay_alu instid0(VALU_DEP_3) | instskip(NEXT) | instid1(VALU_DEP_3)
	v_and_b32_e32 v161, 0x80000000, v161
	v_cndmask_b32_e32 v43, v43, v45, vcc_lo
	s_delay_alu instid0(VALU_DEP_1) | instskip(NEXT) | instid1(VALU_DEP_1)
	v_lshlrev_b32_e32 v43, 20, v43
	v_or3_b32 v43, v161, v44, v43
.LBB6_8676:                             ;   in Loop: Header=BB6_8134 Depth=2
	s_or_b32 exec_lo, exec_lo, s23
	s_waitcnt vmcnt(22) lgkmcnt(22)
	v_and_b32_e32 v44, 0xff, v42
	s_mov_b32 s7, 0
	s_mov_b32 s24, exec_lo
                                        ; implicit-def: $sgpr23
	s_delay_alu instid0(VALU_DEP_1)
	v_cmpx_lt_i16_e32 0x7f, v44
	s_xor_b32 s24, exec_lo, s24
	s_cbranch_execnz .LBB6_9245
; %bb.8677:                             ;   in Loop: Header=BB6_8134 Depth=2
	s_or_saveexec_b32 s24, s24
	v_mov_b32_e32 v161, s23
	s_xor_b32 exec_lo, exec_lo, s24
	s_cbranch_execnz .LBB6_9248
.LBB6_8678:                             ;   in Loop: Header=BB6_8134 Depth=2
	s_or_b32 exec_lo, exec_lo, s24
	s_and_saveexec_b32 s23, s7
	s_cbranch_execz .LBB6_8680
.LBB6_8679:                             ;   in Loop: Header=BB6_8134 Depth=2
	v_lshrrev_b16 v46, 3, v42
	s_delay_alu instid0(VALU_DEP_1) | instskip(NEXT) | instid1(VALU_DEP_1)
	v_and_b32_e32 v46, 15, v46
	v_cmp_eq_u32_e32 vcc_lo, 0, v46
	v_and_b32_e32 v161, 7, v42
	s_delay_alu instid0(VALU_DEP_1) | instskip(NEXT) | instid1(VALU_DEP_1)
	v_clz_i32_u32_e32 v44, v161
	v_min_u32_e32 v44, 32, v44
	s_delay_alu instid0(VALU_DEP_1) | instskip(SKIP_1) | instid1(VALU_DEP_1)
	v_subrev_nc_u32_e32 v45, 28, v44
	v_sub_nc_u32_e32 v44, 29, v44
	v_dual_cndmask_b32 v44, v46, v44 :: v_dual_lshlrev_b32 v45, v45, v42
	v_lshlrev_b32_e32 v42, 24, v42
	s_delay_alu instid0(VALU_DEP_2) | instskip(NEXT) | instid1(VALU_DEP_3)
	v_and_b32_e32 v45, 7, v45
	v_lshl_add_u32 v44, v44, 23, 0x3b800000
	s_delay_alu instid0(VALU_DEP_2) | instskip(NEXT) | instid1(VALU_DEP_1)
	v_dual_cndmask_b32 v161, v161, v45 :: v_dual_and_b32 v42, 0x80000000, v42
	v_lshlrev_b32_e32 v161, 20, v161
	s_delay_alu instid0(VALU_DEP_1)
	v_or3_b32 v161, v42, v44, v161
.LBB6_8680:                             ;   in Loop: Header=BB6_8134 Depth=2
	s_or_b32 exec_lo, exec_lo, s23
	s_delay_alu instid0(VALU_DEP_1) | instskip(NEXT) | instid1(VALU_DEP_1)
	v_add_f32_e32 v42, v43, v161
	v_and_b32_e32 v161, 0x7f800000, v42
	s_delay_alu instid0(VALU_DEP_1)
	v_cmp_ne_u32_e32 vcc_lo, 0x7f800000, v161
	v_mov_b32_e32 v161, 0x80
	s_and_saveexec_b32 s23, vcc_lo
	s_cbranch_execz .LBB6_8688
; %bb.8681:                             ;   in Loop: Header=BB6_8134 Depth=2
	v_mov_b32_e32 v161, 0
	s_mov_b32 s24, exec_lo
	v_cmpx_ne_u32_e32 0, v42
	s_cbranch_execz .LBB6_8687
; %bb.8682:                             ;   in Loop: Header=BB6_8134 Depth=2
	v_bfe_u32 v161, v42, 23, 8
	s_delay_alu instid0(VALU_DEP_1) | instskip(SKIP_1) | instid1(VALU_DEP_2)
	v_sub_nc_u32_e32 v44, 0x78, v161
	v_cmp_gt_u32_e32 vcc_lo, 0x79, v161
	v_dual_cndmask_b32 v44, 0, v44 :: v_dual_and_b32 v43, 0x7fffff, v42
	s_delay_alu instid0(VALU_DEP_1) | instskip(SKIP_2) | instid1(VALU_DEP_4)
	v_or_b32_e32 v45, 0x800000, v43
	v_cmp_eq_u32_e32 vcc_lo, 0, v161
	v_add_nc_u32_e32 v161, 0xffffff89, v161
	v_cndmask_b32_e64 v44, v44, 0x77, vcc_lo
	s_delay_alu instid0(VALU_DEP_2) | instskip(SKIP_1) | instid1(VALU_DEP_3)
	v_cndmask_b32_e64 v161, v161, 0xffffff8a, vcc_lo
	v_cndmask_b32_e32 v43, v45, v43, vcc_lo
	v_lshl_add_u32 v45, 0x100000, v44, -1
	v_lshlrev_b32_e64 v56, v44, 0x80000
	s_delay_alu instid0(VALU_DEP_3) | instskip(SKIP_1) | instid1(VALU_DEP_4)
	v_lshrrev_b32_e32 v46, v44, v43
	v_add_nc_u32_e32 v44, v44, v161
	v_and_b32_e32 v43, v45, v43
	s_delay_alu instid0(VALU_DEP_3) | instskip(NEXT) | instid1(VALU_DEP_2)
	v_bfe_u32 v47, v46, 20, 1
	v_cmp_eq_u32_e64 s7, v43, v56
	s_delay_alu instid0(VALU_DEP_2) | instskip(NEXT) | instid1(VALU_DEP_1)
	v_add_nc_u32_e32 v45, -1, v47
	v_cndmask_b32_e64 v43, 0, v45, s7
	v_lshrrev_b32_e32 v45, 23, v46
	s_mov_b32 s7, exec_lo
	s_delay_alu instid0(VALU_DEP_2) | instskip(NEXT) | instid1(VALU_DEP_2)
	v_add_nc_u32_e32 v43, v43, v46
	v_xor_b32_e32 v45, 1, v45
	s_delay_alu instid0(VALU_DEP_2) | instskip(NEXT) | instid1(VALU_DEP_1)
	v_and_b32_e32 v161, 0xfffff, v43
	v_add_nc_u32_e32 v43, v161, v46
                                        ; implicit-def: $vgpr161
	s_delay_alu instid0(VALU_DEP_3)
	v_cmpx_ne_u32_e64 v44, v45
	s_xor_b32 s7, exec_lo, s7
; %bb.8683:                             ;   in Loop: Header=BB6_8134 Depth=2
	s_delay_alu instid0(VALU_DEP_2) | instskip(SKIP_2) | instid1(VALU_DEP_2)
	v_cmp_lt_u32_e32 vcc_lo, 0xffffff, v43
	v_sub_nc_u32_e32 v161, v44, v45
	v_cndmask_b32_e64 v44, 0, 1, vcc_lo
	v_add_co_ci_u32_e32 v161, vcc_lo, 0, v161, vcc_lo
	s_delay_alu instid0(VALU_DEP_2)
	v_lshrrev_b32_e32 v43, v44, v43
; %bb.8684:                             ;   in Loop: Header=BB6_8134 Depth=2
	s_and_not1_saveexec_b32 s7, s7
; %bb.8685:                             ;   in Loop: Header=BB6_8134 Depth=2
	s_delay_alu instid0(VALU_DEP_1)
	v_bfe_u32 v161, v43, 23, 1
; %bb.8686:                             ;   in Loop: Header=BB6_8134 Depth=2
	s_or_b32 exec_lo, exec_lo, s7
	v_lshrrev_b32_e32 v43, 20, v43
	s_delay_alu instid0(VALU_DEP_2) | instskip(SKIP_2) | instid1(VALU_DEP_2)
	v_cmp_gt_i32_e32 vcc_lo, 16, v161
	v_lshrrev_b32_e32 v42, 24, v42
	v_min_i32_e32 v44, 15, v161
	v_dual_cndmask_b32 v43, 7, v43 :: v_dual_and_b32 v42, 0x80, v42
	s_delay_alu instid0(VALU_DEP_1) | instskip(SKIP_1) | instid1(VALU_DEP_2)
	v_or_b32_e32 v161, v161, v43
	v_and_b32_e32 v45, 7, v43
	v_cmp_ne_u32_e32 vcc_lo, 0, v161
	v_lshlrev_b32_e32 v44, 3, v44
	s_delay_alu instid0(VALU_DEP_1) | instskip(NEXT) | instid1(VALU_DEP_1)
	v_or3_b32 v42, v44, v42, v45
	v_cndmask_b32_e32 v161, 0, v42, vcc_lo
.LBB6_8687:                             ;   in Loop: Header=BB6_8134 Depth=2
	s_or_b32 exec_lo, exec_lo, s24
.LBB6_8688:                             ;   in Loop: Header=BB6_8134 Depth=2
	s_delay_alu instid0(SALU_CYCLE_1) | instskip(SKIP_3) | instid1(VALU_DEP_1)
	s_or_b32 exec_lo, exec_lo, s23
	v_and_b32_e32 v43, 0xff, v151
	s_mov_b32 s7, 0
	s_mov_b32 s24, exec_lo
                                        ; implicit-def: $sgpr23
	v_cmpx_lt_i16_e32 0x7f, v43
	s_xor_b32 s24, exec_lo, s24
	s_cbranch_execnz .LBB6_9249
; %bb.8689:                             ;   in Loop: Header=BB6_8134 Depth=2
	s_or_saveexec_b32 s24, s24
	v_mov_b32_e32 v42, s23
	s_xor_b32 exec_lo, exec_lo, s24
	s_cbranch_execnz .LBB6_9252
.LBB6_8690:                             ;   in Loop: Header=BB6_8134 Depth=2
	s_or_b32 exec_lo, exec_lo, s24
	s_and_saveexec_b32 s23, s7
	s_cbranch_execz .LBB6_8692
.LBB6_8691:                             ;   in Loop: Header=BB6_8134 Depth=2
	v_and_b32_e32 v42, 7, v151
	v_lshrrev_b16 v45, 3, v151
	s_delay_alu instid0(VALU_DEP_2) | instskip(NEXT) | instid1(VALU_DEP_1)
	v_clz_i32_u32_e32 v43, v42
	v_min_u32_e32 v43, 32, v43
	s_delay_alu instid0(VALU_DEP_1) | instskip(SKIP_1) | instid1(VALU_DEP_2)
	v_subrev_nc_u32_e32 v44, 28, v43
	v_sub_nc_u32_e32 v43, 29, v43
	v_lshlrev_b32_e32 v44, v44, v151
	v_lshlrev_b32_e32 v151, 24, v151
	s_delay_alu instid0(VALU_DEP_2) | instskip(SKIP_1) | instid1(VALU_DEP_3)
	v_and_b32_e32 v44, 7, v44
	v_and_b32_e32 v45, 15, v45
	;; [unrolled: 1-line block ×3, first 2 shown]
	s_delay_alu instid0(VALU_DEP_2) | instskip(NEXT) | instid1(VALU_DEP_4)
	v_cmp_eq_u32_e32 vcc_lo, 0, v45
	v_dual_cndmask_b32 v42, v42, v44 :: v_dual_cndmask_b32 v43, v45, v43
	s_delay_alu instid0(VALU_DEP_1) | instskip(NEXT) | instid1(VALU_DEP_2)
	v_lshlrev_b32_e32 v42, 20, v42
	v_lshl_add_u32 v43, v43, 23, 0x3b800000
	s_delay_alu instid0(VALU_DEP_1)
	v_or3_b32 v42, v151, v43, v42
.LBB6_8692:                             ;   in Loop: Header=BB6_8134 Depth=2
	s_or_b32 exec_lo, exec_lo, s23
	s_waitcnt vmcnt(21) lgkmcnt(21)
	v_and_b32_e32 v43, 0xff, v41
	s_mov_b32 s7, 0
	s_mov_b32 s24, exec_lo
                                        ; implicit-def: $sgpr23
	s_delay_alu instid0(VALU_DEP_1)
	v_cmpx_lt_i16_e32 0x7f, v43
	s_xor_b32 s24, exec_lo, s24
	s_cbranch_execnz .LBB6_9253
; %bb.8693:                             ;   in Loop: Header=BB6_8134 Depth=2
	s_or_saveexec_b32 s24, s24
	v_mov_b32_e32 v151, s23
	s_xor_b32 exec_lo, exec_lo, s24
	s_cbranch_execnz .LBB6_9256
.LBB6_8694:                             ;   in Loop: Header=BB6_8134 Depth=2
	s_or_b32 exec_lo, exec_lo, s24
	s_and_saveexec_b32 s23, s7
	s_cbranch_execz .LBB6_8696
.LBB6_8695:                             ;   in Loop: Header=BB6_8134 Depth=2
	v_and_b32_e32 v151, 7, v41
	v_lshrrev_b16 v45, 3, v41
	s_delay_alu instid0(VALU_DEP_2) | instskip(NEXT) | instid1(VALU_DEP_2)
	v_clz_i32_u32_e32 v43, v151
	v_and_b32_e32 v45, 15, v45
	s_delay_alu instid0(VALU_DEP_2) | instskip(NEXT) | instid1(VALU_DEP_2)
	v_min_u32_e32 v43, 32, v43
	v_cmp_eq_u32_e32 vcc_lo, 0, v45
	s_delay_alu instid0(VALU_DEP_2) | instskip(SKIP_1) | instid1(VALU_DEP_1)
	v_subrev_nc_u32_e32 v44, 28, v43
	v_sub_nc_u32_e32 v43, 29, v43
	v_dual_cndmask_b32 v43, v45, v43 :: v_dual_lshlrev_b32 v44, v44, v41
	v_lshlrev_b32_e32 v41, 24, v41
	s_delay_alu instid0(VALU_DEP_2) | instskip(NEXT) | instid1(VALU_DEP_3)
	v_and_b32_e32 v44, 7, v44
	v_lshl_add_u32 v43, v43, 23, 0x3b800000
	s_delay_alu instid0(VALU_DEP_3) | instskip(NEXT) | instid1(VALU_DEP_3)
	v_and_b32_e32 v41, 0x80000000, v41
	v_cndmask_b32_e32 v151, v151, v44, vcc_lo
	s_delay_alu instid0(VALU_DEP_1) | instskip(NEXT) | instid1(VALU_DEP_1)
	v_lshlrev_b32_e32 v151, 20, v151
	v_or3_b32 v151, v41, v43, v151
.LBB6_8696:                             ;   in Loop: Header=BB6_8134 Depth=2
	s_or_b32 exec_lo, exec_lo, s23
	s_delay_alu instid0(VALU_DEP_1) | instskip(NEXT) | instid1(VALU_DEP_1)
	v_add_f32_e32 v41, v42, v151
	v_and_b32_e32 v151, 0x7f800000, v41
	s_delay_alu instid0(VALU_DEP_1)
	v_cmp_ne_u32_e32 vcc_lo, 0x7f800000, v151
	v_mov_b32_e32 v151, 0x80
	s_and_saveexec_b32 s23, vcc_lo
	s_cbranch_execz .LBB6_8704
; %bb.8697:                             ;   in Loop: Header=BB6_8134 Depth=2
	v_mov_b32_e32 v151, 0
	s_mov_b32 s24, exec_lo
	v_cmpx_ne_u32_e32 0, v41
	s_cbranch_execz .LBB6_8703
; %bb.8698:                             ;   in Loop: Header=BB6_8134 Depth=2
	v_bfe_u32 v151, v41, 23, 8
	s_delay_alu instid0(VALU_DEP_1) | instskip(SKIP_1) | instid1(VALU_DEP_2)
	v_sub_nc_u32_e32 v43, 0x78, v151
	v_cmp_gt_u32_e32 vcc_lo, 0x79, v151
	v_dual_cndmask_b32 v43, 0, v43 :: v_dual_and_b32 v42, 0x7fffff, v41
	s_delay_alu instid0(VALU_DEP_1) | instskip(SKIP_2) | instid1(VALU_DEP_4)
	v_or_b32_e32 v44, 0x800000, v42
	v_cmp_eq_u32_e32 vcc_lo, 0, v151
	v_add_nc_u32_e32 v151, 0xffffff89, v151
	v_cndmask_b32_e64 v43, v43, 0x77, vcc_lo
	s_delay_alu instid0(VALU_DEP_4) | instskip(NEXT) | instid1(VALU_DEP_3)
	v_cndmask_b32_e32 v42, v44, v42, vcc_lo
	v_cndmask_b32_e64 v151, v151, 0xffffff8a, vcc_lo
	s_delay_alu instid0(VALU_DEP_3) | instskip(NEXT) | instid1(VALU_DEP_3)
	v_lshl_add_u32 v44, 0x100000, v43, -1
	v_lshrrev_b32_e32 v45, v43, v42
	v_lshlrev_b32_e64 v47, v43, 0x80000
	s_delay_alu instid0(VALU_DEP_4) | instskip(NEXT) | instid1(VALU_DEP_4)
	v_add_nc_u32_e32 v43, v43, v151
	v_and_b32_e32 v42, v44, v42
	s_delay_alu instid0(VALU_DEP_4) | instskip(NEXT) | instid1(VALU_DEP_2)
	v_bfe_u32 v46, v45, 20, 1
	v_cmp_eq_u32_e64 s7, v42, v47
	s_delay_alu instid0(VALU_DEP_2) | instskip(NEXT) | instid1(VALU_DEP_1)
	v_add_nc_u32_e32 v44, -1, v46
	v_cndmask_b32_e64 v42, 0, v44, s7
	v_lshrrev_b32_e32 v44, 23, v45
	s_mov_b32 s7, exec_lo
	s_delay_alu instid0(VALU_DEP_2) | instskip(NEXT) | instid1(VALU_DEP_2)
	v_add_nc_u32_e32 v42, v42, v45
	v_xor_b32_e32 v44, 1, v44
	s_delay_alu instid0(VALU_DEP_2) | instskip(NEXT) | instid1(VALU_DEP_1)
	v_and_b32_e32 v151, 0xfffff, v42
	v_add_nc_u32_e32 v42, v151, v45
                                        ; implicit-def: $vgpr151
	s_delay_alu instid0(VALU_DEP_3)
	v_cmpx_ne_u32_e64 v43, v44
	s_xor_b32 s7, exec_lo, s7
; %bb.8699:                             ;   in Loop: Header=BB6_8134 Depth=2
	s_delay_alu instid0(VALU_DEP_2) | instskip(SKIP_2) | instid1(VALU_DEP_2)
	v_cmp_lt_u32_e32 vcc_lo, 0xffffff, v42
	v_sub_nc_u32_e32 v151, v43, v44
	v_cndmask_b32_e64 v43, 0, 1, vcc_lo
	v_add_co_ci_u32_e32 v151, vcc_lo, 0, v151, vcc_lo
	s_delay_alu instid0(VALU_DEP_2)
	v_lshrrev_b32_e32 v42, v43, v42
; %bb.8700:                             ;   in Loop: Header=BB6_8134 Depth=2
	s_and_not1_saveexec_b32 s7, s7
; %bb.8701:                             ;   in Loop: Header=BB6_8134 Depth=2
	s_delay_alu instid0(VALU_DEP_1)
	v_bfe_u32 v151, v42, 23, 1
; %bb.8702:                             ;   in Loop: Header=BB6_8134 Depth=2
	s_or_b32 exec_lo, exec_lo, s7
	v_lshrrev_b32_e32 v42, 20, v42
	s_delay_alu instid0(VALU_DEP_2) | instskip(SKIP_2) | instid1(VALU_DEP_2)
	v_cmp_gt_i32_e32 vcc_lo, 16, v151
	v_lshrrev_b32_e32 v41, 24, v41
	v_min_i32_e32 v43, 15, v151
	v_dual_cndmask_b32 v42, 7, v42 :: v_dual_and_b32 v41, 0x80, v41
	s_delay_alu instid0(VALU_DEP_2) | instskip(NEXT) | instid1(VALU_DEP_2)
	v_lshlrev_b32_e32 v43, 3, v43
	v_or_b32_e32 v151, v151, v42
	s_delay_alu instid0(VALU_DEP_1) | instskip(SKIP_1) | instid1(VALU_DEP_1)
	v_cmp_ne_u32_e32 vcc_lo, 0, v151
	v_and_b32_e32 v44, 7, v42
	v_or3_b32 v41, v43, v41, v44
	s_delay_alu instid0(VALU_DEP_1)
	v_cndmask_b32_e32 v151, 0, v41, vcc_lo
.LBB6_8703:                             ;   in Loop: Header=BB6_8134 Depth=2
	s_or_b32 exec_lo, exec_lo, s24
.LBB6_8704:                             ;   in Loop: Header=BB6_8134 Depth=2
	s_delay_alu instid0(SALU_CYCLE_1) | instskip(SKIP_3) | instid1(VALU_DEP_1)
	s_or_b32 exec_lo, exec_lo, s23
	v_and_b32_e32 v42, 0xff, v150
	s_mov_b32 s7, 0
	s_mov_b32 s24, exec_lo
                                        ; implicit-def: $sgpr23
	v_cmpx_lt_i16_e32 0x7f, v42
	s_xor_b32 s24, exec_lo, s24
	s_cbranch_execnz .LBB6_9257
; %bb.8705:                             ;   in Loop: Header=BB6_8134 Depth=2
	s_or_saveexec_b32 s24, s24
	v_mov_b32_e32 v41, s23
	s_xor_b32 exec_lo, exec_lo, s24
	s_cbranch_execnz .LBB6_9260
.LBB6_8706:                             ;   in Loop: Header=BB6_8134 Depth=2
	s_or_b32 exec_lo, exec_lo, s24
	s_and_saveexec_b32 s23, s7
	s_cbranch_execz .LBB6_8708
.LBB6_8707:                             ;   in Loop: Header=BB6_8134 Depth=2
	v_and_b32_e32 v41, 7, v150
	v_lshrrev_b16 v44, 3, v150
	s_delay_alu instid0(VALU_DEP_2) | instskip(NEXT) | instid1(VALU_DEP_1)
	v_clz_i32_u32_e32 v42, v41
	v_min_u32_e32 v42, 32, v42
	s_delay_alu instid0(VALU_DEP_1) | instskip(SKIP_1) | instid1(VALU_DEP_2)
	v_subrev_nc_u32_e32 v43, 28, v42
	v_sub_nc_u32_e32 v42, 29, v42
	v_lshlrev_b32_e32 v43, v43, v150
	v_lshlrev_b32_e32 v150, 24, v150
	s_delay_alu instid0(VALU_DEP_2) | instskip(SKIP_1) | instid1(VALU_DEP_3)
	v_and_b32_e32 v43, 7, v43
	v_and_b32_e32 v44, 15, v44
	;; [unrolled: 1-line block ×3, first 2 shown]
	s_delay_alu instid0(VALU_DEP_2) | instskip(NEXT) | instid1(VALU_DEP_4)
	v_cmp_eq_u32_e32 vcc_lo, 0, v44
	v_dual_cndmask_b32 v41, v41, v43 :: v_dual_cndmask_b32 v42, v44, v42
	s_delay_alu instid0(VALU_DEP_1) | instskip(NEXT) | instid1(VALU_DEP_2)
	v_lshlrev_b32_e32 v41, 20, v41
	v_lshl_add_u32 v42, v42, 23, 0x3b800000
	s_delay_alu instid0(VALU_DEP_1)
	v_or3_b32 v41, v150, v42, v41
.LBB6_8708:                             ;   in Loop: Header=BB6_8134 Depth=2
	s_or_b32 exec_lo, exec_lo, s23
	s_waitcnt vmcnt(20) lgkmcnt(20)
	v_and_b32_e32 v42, 0xff, v40
	s_mov_b32 s7, 0
	s_mov_b32 s24, exec_lo
                                        ; implicit-def: $sgpr23
	s_delay_alu instid0(VALU_DEP_1)
	v_cmpx_lt_i16_e32 0x7f, v42
	s_xor_b32 s24, exec_lo, s24
	s_cbranch_execnz .LBB6_9261
; %bb.8709:                             ;   in Loop: Header=BB6_8134 Depth=2
	s_or_saveexec_b32 s24, s24
	v_mov_b32_e32 v150, s23
	s_xor_b32 exec_lo, exec_lo, s24
	s_cbranch_execnz .LBB6_9264
.LBB6_8710:                             ;   in Loop: Header=BB6_8134 Depth=2
	s_or_b32 exec_lo, exec_lo, s24
	s_and_saveexec_b32 s23, s7
	s_cbranch_execz .LBB6_8712
.LBB6_8711:                             ;   in Loop: Header=BB6_8134 Depth=2
	v_and_b32_e32 v150, 7, v40
	v_lshrrev_b16 v44, 3, v40
	s_delay_alu instid0(VALU_DEP_2) | instskip(NEXT) | instid1(VALU_DEP_2)
	v_clz_i32_u32_e32 v42, v150
	v_and_b32_e32 v44, 15, v44
	s_delay_alu instid0(VALU_DEP_2) | instskip(NEXT) | instid1(VALU_DEP_2)
	v_min_u32_e32 v42, 32, v42
	v_cmp_eq_u32_e32 vcc_lo, 0, v44
	s_delay_alu instid0(VALU_DEP_2) | instskip(SKIP_1) | instid1(VALU_DEP_1)
	v_subrev_nc_u32_e32 v43, 28, v42
	v_sub_nc_u32_e32 v42, 29, v42
	v_dual_cndmask_b32 v42, v44, v42 :: v_dual_lshlrev_b32 v43, v43, v40
	v_lshlrev_b32_e32 v40, 24, v40
	s_delay_alu instid0(VALU_DEP_2) | instskip(NEXT) | instid1(VALU_DEP_3)
	v_and_b32_e32 v43, 7, v43
	v_lshl_add_u32 v42, v42, 23, 0x3b800000
	s_delay_alu instid0(VALU_DEP_3) | instskip(NEXT) | instid1(VALU_DEP_3)
	v_and_b32_e32 v40, 0x80000000, v40
	v_cndmask_b32_e32 v150, v150, v43, vcc_lo
	s_delay_alu instid0(VALU_DEP_1) | instskip(NEXT) | instid1(VALU_DEP_1)
	v_lshlrev_b32_e32 v150, 20, v150
	v_or3_b32 v150, v40, v42, v150
.LBB6_8712:                             ;   in Loop: Header=BB6_8134 Depth=2
	s_or_b32 exec_lo, exec_lo, s23
	s_delay_alu instid0(VALU_DEP_1) | instskip(NEXT) | instid1(VALU_DEP_1)
	v_add_f32_e32 v40, v41, v150
	v_and_b32_e32 v150, 0x7f800000, v40
	s_delay_alu instid0(VALU_DEP_1)
	v_cmp_ne_u32_e32 vcc_lo, 0x7f800000, v150
	v_mov_b32_e32 v150, 0x80
	s_and_saveexec_b32 s23, vcc_lo
	s_cbranch_execz .LBB6_8720
; %bb.8713:                             ;   in Loop: Header=BB6_8134 Depth=2
	v_mov_b32_e32 v150, 0
	s_mov_b32 s24, exec_lo
	v_cmpx_ne_u32_e32 0, v40
	s_cbranch_execz .LBB6_8719
; %bb.8714:                             ;   in Loop: Header=BB6_8134 Depth=2
	v_bfe_u32 v150, v40, 23, 8
	s_delay_alu instid0(VALU_DEP_1) | instskip(SKIP_1) | instid1(VALU_DEP_2)
	v_sub_nc_u32_e32 v42, 0x78, v150
	v_cmp_gt_u32_e32 vcc_lo, 0x79, v150
	v_dual_cndmask_b32 v42, 0, v42 :: v_dual_and_b32 v41, 0x7fffff, v40
	s_delay_alu instid0(VALU_DEP_1) | instskip(SKIP_2) | instid1(VALU_DEP_4)
	v_or_b32_e32 v43, 0x800000, v41
	v_cmp_eq_u32_e32 vcc_lo, 0, v150
	v_add_nc_u32_e32 v150, 0xffffff89, v150
	v_cndmask_b32_e64 v42, v42, 0x77, vcc_lo
	s_delay_alu instid0(VALU_DEP_4) | instskip(NEXT) | instid1(VALU_DEP_3)
	v_cndmask_b32_e32 v41, v43, v41, vcc_lo
	v_cndmask_b32_e64 v150, v150, 0xffffff8a, vcc_lo
	s_delay_alu instid0(VALU_DEP_3) | instskip(NEXT) | instid1(VALU_DEP_3)
	v_lshl_add_u32 v43, 0x100000, v42, -1
	v_lshrrev_b32_e32 v44, v42, v41
	v_lshlrev_b32_e64 v46, v42, 0x80000
	s_delay_alu instid0(VALU_DEP_4) | instskip(NEXT) | instid1(VALU_DEP_4)
	v_add_nc_u32_e32 v42, v42, v150
	v_and_b32_e32 v41, v43, v41
	s_delay_alu instid0(VALU_DEP_4) | instskip(NEXT) | instid1(VALU_DEP_2)
	v_bfe_u32 v45, v44, 20, 1
	v_cmp_eq_u32_e64 s7, v41, v46
	s_delay_alu instid0(VALU_DEP_2) | instskip(NEXT) | instid1(VALU_DEP_1)
	v_add_nc_u32_e32 v43, -1, v45
	v_cndmask_b32_e64 v41, 0, v43, s7
	v_lshrrev_b32_e32 v43, 23, v44
	s_mov_b32 s7, exec_lo
	s_delay_alu instid0(VALU_DEP_2) | instskip(NEXT) | instid1(VALU_DEP_2)
	v_add_nc_u32_e32 v41, v41, v44
	v_xor_b32_e32 v43, 1, v43
	s_delay_alu instid0(VALU_DEP_2) | instskip(NEXT) | instid1(VALU_DEP_1)
	v_and_b32_e32 v150, 0xfffff, v41
	v_add_nc_u32_e32 v41, v150, v44
                                        ; implicit-def: $vgpr150
	s_delay_alu instid0(VALU_DEP_3)
	v_cmpx_ne_u32_e64 v42, v43
	s_xor_b32 s7, exec_lo, s7
; %bb.8715:                             ;   in Loop: Header=BB6_8134 Depth=2
	s_delay_alu instid0(VALU_DEP_2) | instskip(SKIP_2) | instid1(VALU_DEP_2)
	v_cmp_lt_u32_e32 vcc_lo, 0xffffff, v41
	v_sub_nc_u32_e32 v150, v42, v43
	v_cndmask_b32_e64 v42, 0, 1, vcc_lo
	v_add_co_ci_u32_e32 v150, vcc_lo, 0, v150, vcc_lo
	s_delay_alu instid0(VALU_DEP_2)
	v_lshrrev_b32_e32 v41, v42, v41
; %bb.8716:                             ;   in Loop: Header=BB6_8134 Depth=2
	s_and_not1_saveexec_b32 s7, s7
; %bb.8717:                             ;   in Loop: Header=BB6_8134 Depth=2
	s_delay_alu instid0(VALU_DEP_1)
	v_bfe_u32 v150, v41, 23, 1
; %bb.8718:                             ;   in Loop: Header=BB6_8134 Depth=2
	s_or_b32 exec_lo, exec_lo, s7
	v_lshrrev_b32_e32 v41, 20, v41
	s_delay_alu instid0(VALU_DEP_2) | instskip(SKIP_2) | instid1(VALU_DEP_2)
	v_cmp_gt_i32_e32 vcc_lo, 16, v150
	v_lshrrev_b32_e32 v40, 24, v40
	v_min_i32_e32 v42, 15, v150
	v_dual_cndmask_b32 v41, 7, v41 :: v_dual_and_b32 v40, 0x80, v40
	s_delay_alu instid0(VALU_DEP_2) | instskip(NEXT) | instid1(VALU_DEP_2)
	v_lshlrev_b32_e32 v42, 3, v42
	v_or_b32_e32 v150, v150, v41
	s_delay_alu instid0(VALU_DEP_1) | instskip(SKIP_1) | instid1(VALU_DEP_1)
	v_cmp_ne_u32_e32 vcc_lo, 0, v150
	v_and_b32_e32 v43, 7, v41
	v_or3_b32 v40, v42, v40, v43
	s_delay_alu instid0(VALU_DEP_1)
	v_cndmask_b32_e32 v150, 0, v40, vcc_lo
.LBB6_8719:                             ;   in Loop: Header=BB6_8134 Depth=2
	s_or_b32 exec_lo, exec_lo, s24
.LBB6_8720:                             ;   in Loop: Header=BB6_8134 Depth=2
	s_delay_alu instid0(SALU_CYCLE_1) | instskip(SKIP_3) | instid1(VALU_DEP_1)
	s_or_b32 exec_lo, exec_lo, s23
	v_and_b32_e32 v41, 0xff, v148
	s_mov_b32 s7, 0
	s_mov_b32 s24, exec_lo
                                        ; implicit-def: $sgpr23
	v_cmpx_lt_i16_e32 0x7f, v41
	s_xor_b32 s24, exec_lo, s24
	s_cbranch_execnz .LBB6_9265
; %bb.8721:                             ;   in Loop: Header=BB6_8134 Depth=2
	s_or_saveexec_b32 s24, s24
	v_mov_b32_e32 v40, s23
	s_xor_b32 exec_lo, exec_lo, s24
	s_cbranch_execnz .LBB6_9268
.LBB6_8722:                             ;   in Loop: Header=BB6_8134 Depth=2
	s_or_b32 exec_lo, exec_lo, s24
	s_and_saveexec_b32 s23, s7
	s_cbranch_execz .LBB6_8724
.LBB6_8723:                             ;   in Loop: Header=BB6_8134 Depth=2
	v_lshrrev_b16 v43, 3, v148
	s_delay_alu instid0(VALU_DEP_1) | instskip(NEXT) | instid1(VALU_DEP_1)
	v_and_b32_e32 v43, 15, v43
	v_cmp_eq_u32_e32 vcc_lo, 0, v43
	v_and_b32_e32 v40, 7, v148
	s_delay_alu instid0(VALU_DEP_1) | instskip(NEXT) | instid1(VALU_DEP_1)
	v_clz_i32_u32_e32 v41, v40
	v_min_u32_e32 v41, 32, v41
	s_delay_alu instid0(VALU_DEP_1) | instskip(SKIP_1) | instid1(VALU_DEP_1)
	v_subrev_nc_u32_e32 v42, 28, v41
	v_sub_nc_u32_e32 v41, 29, v41
	v_dual_cndmask_b32 v41, v43, v41 :: v_dual_lshlrev_b32 v42, v42, v148
	v_lshlrev_b32_e32 v148, 24, v148
	s_delay_alu instid0(VALU_DEP_2) | instskip(NEXT) | instid1(VALU_DEP_3)
	v_and_b32_e32 v42, 7, v42
	v_lshl_add_u32 v41, v41, 23, 0x3b800000
	s_delay_alu instid0(VALU_DEP_3) | instskip(NEXT) | instid1(VALU_DEP_3)
	v_and_b32_e32 v148, 0x80000000, v148
	v_cndmask_b32_e32 v40, v40, v42, vcc_lo
	s_delay_alu instid0(VALU_DEP_1) | instskip(NEXT) | instid1(VALU_DEP_1)
	v_lshlrev_b32_e32 v40, 20, v40
	v_or3_b32 v40, v148, v41, v40
.LBB6_8724:                             ;   in Loop: Header=BB6_8134 Depth=2
	s_or_b32 exec_lo, exec_lo, s23
	s_waitcnt vmcnt(19) lgkmcnt(19)
	v_and_b32_e32 v41, 0xff, v183
	s_mov_b32 s7, 0
	s_mov_b32 s24, exec_lo
                                        ; implicit-def: $sgpr23
	s_delay_alu instid0(VALU_DEP_1)
	v_cmpx_lt_i16_e32 0x7f, v41
	s_xor_b32 s24, exec_lo, s24
	s_cbranch_execnz .LBB6_9269
; %bb.8725:                             ;   in Loop: Header=BB6_8134 Depth=2
	s_or_saveexec_b32 s24, s24
	v_mov_b32_e32 v148, s23
	s_xor_b32 exec_lo, exec_lo, s24
	s_cbranch_execnz .LBB6_9272
.LBB6_8726:                             ;   in Loop: Header=BB6_8134 Depth=2
	s_or_b32 exec_lo, exec_lo, s24
	s_and_saveexec_b32 s23, s7
	s_cbranch_execz .LBB6_8728
.LBB6_8727:                             ;   in Loop: Header=BB6_8134 Depth=2
	v_lshrrev_b16 v43, 3, v183
	s_delay_alu instid0(VALU_DEP_1) | instskip(NEXT) | instid1(VALU_DEP_1)
	v_and_b32_e32 v43, 15, v43
	v_cmp_eq_u32_e32 vcc_lo, 0, v43
	v_and_b32_e32 v148, 7, v183
	s_delay_alu instid0(VALU_DEP_1) | instskip(NEXT) | instid1(VALU_DEP_1)
	v_clz_i32_u32_e32 v41, v148
	v_min_u32_e32 v41, 32, v41
	s_delay_alu instid0(VALU_DEP_1) | instskip(SKIP_1) | instid1(VALU_DEP_1)
	v_subrev_nc_u32_e32 v42, 28, v41
	v_sub_nc_u32_e32 v41, 29, v41
	v_dual_cndmask_b32 v41, v43, v41 :: v_dual_lshlrev_b32 v42, v42, v183
	v_lshlrev_b32_e32 v183, 24, v183
	s_delay_alu instid0(VALU_DEP_2) | instskip(NEXT) | instid1(VALU_DEP_3)
	v_and_b32_e32 v42, 7, v42
	v_lshl_add_u32 v41, v41, 23, 0x3b800000
	s_delay_alu instid0(VALU_DEP_2) | instskip(NEXT) | instid1(VALU_DEP_1)
	v_dual_cndmask_b32 v148, v148, v42 :: v_dual_and_b32 v183, 0x80000000, v183
	v_lshlrev_b32_e32 v148, 20, v148
	s_delay_alu instid0(VALU_DEP_1)
	v_or3_b32 v148, v183, v41, v148
.LBB6_8728:                             ;   in Loop: Header=BB6_8134 Depth=2
	s_or_b32 exec_lo, exec_lo, s23
	s_delay_alu instid0(VALU_DEP_1) | instskip(NEXT) | instid1(VALU_DEP_1)
	v_add_f32_e32 v183, v40, v148
	v_and_b32_e32 v148, 0x7f800000, v183
	s_delay_alu instid0(VALU_DEP_1)
	v_cmp_ne_u32_e32 vcc_lo, 0x7f800000, v148
	v_mov_b32_e32 v148, 0x80
	s_and_saveexec_b32 s23, vcc_lo
	s_cbranch_execz .LBB6_8736
; %bb.8729:                             ;   in Loop: Header=BB6_8134 Depth=2
	v_mov_b32_e32 v148, 0
	s_mov_b32 s24, exec_lo
	v_cmpx_ne_u32_e32 0, v183
	s_cbranch_execz .LBB6_8735
; %bb.8730:                             ;   in Loop: Header=BB6_8134 Depth=2
	v_bfe_u32 v148, v183, 23, 8
	s_delay_alu instid0(VALU_DEP_1) | instskip(SKIP_1) | instid1(VALU_DEP_2)
	v_sub_nc_u32_e32 v41, 0x78, v148
	v_cmp_gt_u32_e32 vcc_lo, 0x79, v148
	v_dual_cndmask_b32 v41, 0, v41 :: v_dual_and_b32 v40, 0x7fffff, v183
	s_delay_alu instid0(VALU_DEP_1) | instskip(SKIP_2) | instid1(VALU_DEP_4)
	v_or_b32_e32 v42, 0x800000, v40
	v_cmp_eq_u32_e32 vcc_lo, 0, v148
	v_add_nc_u32_e32 v148, 0xffffff89, v148
	v_cndmask_b32_e64 v41, v41, 0x77, vcc_lo
	s_delay_alu instid0(VALU_DEP_4) | instskip(NEXT) | instid1(VALU_DEP_3)
	v_cndmask_b32_e32 v40, v42, v40, vcc_lo
	v_cndmask_b32_e64 v148, v148, 0xffffff8a, vcc_lo
	s_delay_alu instid0(VALU_DEP_3) | instskip(NEXT) | instid1(VALU_DEP_3)
	v_lshl_add_u32 v42, 0x100000, v41, -1
	v_lshrrev_b32_e32 v43, v41, v40
	v_lshlrev_b32_e64 v45, v41, 0x80000
	s_delay_alu instid0(VALU_DEP_4) | instskip(NEXT) | instid1(VALU_DEP_4)
	v_add_nc_u32_e32 v41, v41, v148
	v_and_b32_e32 v40, v42, v40
	s_delay_alu instid0(VALU_DEP_4) | instskip(NEXT) | instid1(VALU_DEP_2)
	v_bfe_u32 v44, v43, 20, 1
	v_cmp_eq_u32_e64 s7, v40, v45
	s_delay_alu instid0(VALU_DEP_2) | instskip(NEXT) | instid1(VALU_DEP_1)
	v_add_nc_u32_e32 v42, -1, v44
	v_cndmask_b32_e64 v40, 0, v42, s7
	v_lshrrev_b32_e32 v42, 23, v43
	s_mov_b32 s7, exec_lo
	s_delay_alu instid0(VALU_DEP_2) | instskip(NEXT) | instid1(VALU_DEP_2)
	v_add_nc_u32_e32 v40, v40, v43
	v_xor_b32_e32 v42, 1, v42
	s_delay_alu instid0(VALU_DEP_2) | instskip(NEXT) | instid1(VALU_DEP_1)
	v_and_b32_e32 v148, 0xfffff, v40
	v_add_nc_u32_e32 v40, v148, v43
                                        ; implicit-def: $vgpr148
	s_delay_alu instid0(VALU_DEP_3)
	v_cmpx_ne_u32_e64 v41, v42
	s_xor_b32 s7, exec_lo, s7
; %bb.8731:                             ;   in Loop: Header=BB6_8134 Depth=2
	s_delay_alu instid0(VALU_DEP_2) | instskip(SKIP_2) | instid1(VALU_DEP_2)
	v_cmp_lt_u32_e32 vcc_lo, 0xffffff, v40
	v_sub_nc_u32_e32 v148, v41, v42
	v_cndmask_b32_e64 v41, 0, 1, vcc_lo
	v_add_co_ci_u32_e32 v148, vcc_lo, 0, v148, vcc_lo
	s_delay_alu instid0(VALU_DEP_2)
	v_lshrrev_b32_e32 v40, v41, v40
; %bb.8732:                             ;   in Loop: Header=BB6_8134 Depth=2
	s_and_not1_saveexec_b32 s7, s7
; %bb.8733:                             ;   in Loop: Header=BB6_8134 Depth=2
	s_delay_alu instid0(VALU_DEP_1)
	v_bfe_u32 v148, v40, 23, 1
; %bb.8734:                             ;   in Loop: Header=BB6_8134 Depth=2
	s_or_b32 exec_lo, exec_lo, s7
	v_lshrrev_b32_e32 v40, 20, v40
	s_delay_alu instid0(VALU_DEP_2) | instskip(SKIP_2) | instid1(VALU_DEP_2)
	v_cmp_gt_i32_e32 vcc_lo, 16, v148
	v_lshrrev_b32_e32 v183, 24, v183
	v_min_i32_e32 v41, 15, v148
	v_dual_cndmask_b32 v40, 7, v40 :: v_dual_and_b32 v183, 0x80, v183
	s_delay_alu instid0(VALU_DEP_1) | instskip(SKIP_1) | instid1(VALU_DEP_2)
	v_or_b32_e32 v148, v148, v40
	v_and_b32_e32 v42, 7, v40
	v_cmp_ne_u32_e32 vcc_lo, 0, v148
	v_lshlrev_b32_e32 v41, 3, v41
	s_delay_alu instid0(VALU_DEP_1) | instskip(NEXT) | instid1(VALU_DEP_1)
	v_or3_b32 v183, v41, v183, v42
	v_cndmask_b32_e32 v148, 0, v183, vcc_lo
.LBB6_8735:                             ;   in Loop: Header=BB6_8134 Depth=2
	s_or_b32 exec_lo, exec_lo, s24
.LBB6_8736:                             ;   in Loop: Header=BB6_8134 Depth=2
	s_delay_alu instid0(SALU_CYCLE_1) | instskip(SKIP_3) | instid1(VALU_DEP_1)
	s_or_b32 exec_lo, exec_lo, s23
	v_and_b32_e32 v40, 0xff, v146
	s_mov_b32 s7, 0
	s_mov_b32 s24, exec_lo
                                        ; implicit-def: $sgpr23
	v_cmpx_lt_i16_e32 0x7f, v40
	s_xor_b32 s24, exec_lo, s24
	s_cbranch_execnz .LBB6_9273
; %bb.8737:                             ;   in Loop: Header=BB6_8134 Depth=2
	s_or_saveexec_b32 s24, s24
	v_mov_b32_e32 v183, s23
	s_xor_b32 exec_lo, exec_lo, s24
	s_cbranch_execnz .LBB6_9276
.LBB6_8738:                             ;   in Loop: Header=BB6_8134 Depth=2
	s_or_b32 exec_lo, exec_lo, s24
	s_and_saveexec_b32 s23, s7
	s_cbranch_execz .LBB6_8740
.LBB6_8739:                             ;   in Loop: Header=BB6_8134 Depth=2
	v_lshrrev_b16 v42, 3, v146
	s_delay_alu instid0(VALU_DEP_1) | instskip(NEXT) | instid1(VALU_DEP_1)
	v_and_b32_e32 v42, 15, v42
	v_cmp_eq_u32_e32 vcc_lo, 0, v42
	v_and_b32_e32 v183, 7, v146
	s_delay_alu instid0(VALU_DEP_1) | instskip(NEXT) | instid1(VALU_DEP_1)
	v_clz_i32_u32_e32 v40, v183
	v_min_u32_e32 v40, 32, v40
	s_delay_alu instid0(VALU_DEP_1) | instskip(SKIP_1) | instid1(VALU_DEP_1)
	v_subrev_nc_u32_e32 v41, 28, v40
	v_sub_nc_u32_e32 v40, 29, v40
	v_dual_cndmask_b32 v40, v42, v40 :: v_dual_lshlrev_b32 v41, v41, v146
	v_lshlrev_b32_e32 v146, 24, v146
	s_delay_alu instid0(VALU_DEP_2) | instskip(NEXT) | instid1(VALU_DEP_3)
	v_and_b32_e32 v41, 7, v41
	v_lshl_add_u32 v40, v40, 23, 0x3b800000
	s_delay_alu instid0(VALU_DEP_2) | instskip(NEXT) | instid1(VALU_DEP_1)
	v_dual_cndmask_b32 v183, v183, v41 :: v_dual_and_b32 v146, 0x80000000, v146
	v_lshlrev_b32_e32 v183, 20, v183
	s_delay_alu instid0(VALU_DEP_1)
	v_or3_b32 v183, v146, v40, v183
.LBB6_8740:                             ;   in Loop: Header=BB6_8134 Depth=2
	s_or_b32 exec_lo, exec_lo, s23
	s_waitcnt vmcnt(18) lgkmcnt(18)
	v_and_b32_e32 v40, 0xff, v182
	s_mov_b32 s7, 0
	s_mov_b32 s24, exec_lo
                                        ; implicit-def: $sgpr23
	s_delay_alu instid0(VALU_DEP_1)
	v_cmpx_lt_i16_e32 0x7f, v40
	s_xor_b32 s24, exec_lo, s24
	s_cbranch_execnz .LBB6_9277
; %bb.8741:                             ;   in Loop: Header=BB6_8134 Depth=2
	s_or_saveexec_b32 s24, s24
	v_mov_b32_e32 v146, s23
	s_xor_b32 exec_lo, exec_lo, s24
	s_cbranch_execnz .LBB6_9280
.LBB6_8742:                             ;   in Loop: Header=BB6_8134 Depth=2
	s_or_b32 exec_lo, exec_lo, s24
	s_and_saveexec_b32 s23, s7
	s_cbranch_execz .LBB6_8744
.LBB6_8743:                             ;   in Loop: Header=BB6_8134 Depth=2
	v_and_b32_e32 v146, 7, v182
	v_lshrrev_b16 v42, 3, v182
	s_delay_alu instid0(VALU_DEP_2) | instskip(NEXT) | instid1(VALU_DEP_2)
	v_clz_i32_u32_e32 v40, v146
	v_and_b32_e32 v42, 15, v42
	s_delay_alu instid0(VALU_DEP_2) | instskip(NEXT) | instid1(VALU_DEP_2)
	v_min_u32_e32 v40, 32, v40
	v_cmp_eq_u32_e32 vcc_lo, 0, v42
	s_delay_alu instid0(VALU_DEP_2) | instskip(SKIP_1) | instid1(VALU_DEP_1)
	v_subrev_nc_u32_e32 v41, 28, v40
	v_sub_nc_u32_e32 v40, 29, v40
	v_dual_cndmask_b32 v40, v42, v40 :: v_dual_lshlrev_b32 v41, v41, v182
	v_lshlrev_b32_e32 v182, 24, v182
	s_delay_alu instid0(VALU_DEP_2) | instskip(NEXT) | instid1(VALU_DEP_3)
	v_and_b32_e32 v41, 7, v41
	v_lshl_add_u32 v40, v40, 23, 0x3b800000
	s_delay_alu instid0(VALU_DEP_3) | instskip(NEXT) | instid1(VALU_DEP_3)
	v_and_b32_e32 v182, 0x80000000, v182
	v_cndmask_b32_e32 v146, v146, v41, vcc_lo
	s_delay_alu instid0(VALU_DEP_1) | instskip(NEXT) | instid1(VALU_DEP_1)
	v_lshlrev_b32_e32 v146, 20, v146
	v_or3_b32 v146, v182, v40, v146
.LBB6_8744:                             ;   in Loop: Header=BB6_8134 Depth=2
	s_or_b32 exec_lo, exec_lo, s23
	s_delay_alu instid0(VALU_DEP_1) | instskip(NEXT) | instid1(VALU_DEP_1)
	v_add_f32_e32 v182, v183, v146
	v_and_b32_e32 v146, 0x7f800000, v182
	s_delay_alu instid0(VALU_DEP_1)
	v_cmp_ne_u32_e32 vcc_lo, 0x7f800000, v146
	v_mov_b32_e32 v146, 0x80
	s_and_saveexec_b32 s23, vcc_lo
	s_cbranch_execz .LBB6_8752
; %bb.8745:                             ;   in Loop: Header=BB6_8134 Depth=2
	v_mov_b32_e32 v146, 0
	s_mov_b32 s24, exec_lo
	v_cmpx_ne_u32_e32 0, v182
	s_cbranch_execz .LBB6_8751
; %bb.8746:                             ;   in Loop: Header=BB6_8134 Depth=2
	v_bfe_u32 v146, v182, 23, 8
	s_delay_alu instid0(VALU_DEP_1) | instskip(SKIP_1) | instid1(VALU_DEP_2)
	v_sub_nc_u32_e32 v40, 0x78, v146
	v_cmp_gt_u32_e32 vcc_lo, 0x79, v146
	v_dual_cndmask_b32 v40, 0, v40 :: v_dual_and_b32 v183, 0x7fffff, v182
	s_delay_alu instid0(VALU_DEP_1) | instskip(SKIP_2) | instid1(VALU_DEP_4)
	v_or_b32_e32 v41, 0x800000, v183
	v_cmp_eq_u32_e32 vcc_lo, 0, v146
	v_add_nc_u32_e32 v146, 0xffffff89, v146
	v_cndmask_b32_e64 v40, v40, 0x77, vcc_lo
	s_delay_alu instid0(VALU_DEP_4) | instskip(NEXT) | instid1(VALU_DEP_3)
	v_cndmask_b32_e32 v183, v41, v183, vcc_lo
	v_cndmask_b32_e64 v146, v146, 0xffffff8a, vcc_lo
	s_delay_alu instid0(VALU_DEP_3) | instskip(NEXT) | instid1(VALU_DEP_3)
	v_lshl_add_u32 v41, 0x100000, v40, -1
	v_lshrrev_b32_e32 v42, v40, v183
	v_lshlrev_b32_e64 v44, v40, 0x80000
	s_delay_alu instid0(VALU_DEP_4) | instskip(NEXT) | instid1(VALU_DEP_4)
	v_add_nc_u32_e32 v40, v40, v146
	v_and_b32_e32 v183, v41, v183
	s_delay_alu instid0(VALU_DEP_4) | instskip(NEXT) | instid1(VALU_DEP_2)
	v_bfe_u32 v43, v42, 20, 1
	v_cmp_eq_u32_e64 s7, v183, v44
	s_delay_alu instid0(VALU_DEP_2) | instskip(NEXT) | instid1(VALU_DEP_1)
	v_add_nc_u32_e32 v41, -1, v43
	v_cndmask_b32_e64 v183, 0, v41, s7
	v_lshrrev_b32_e32 v41, 23, v42
	s_mov_b32 s7, exec_lo
	s_delay_alu instid0(VALU_DEP_2) | instskip(NEXT) | instid1(VALU_DEP_2)
	v_add_nc_u32_e32 v183, v183, v42
	v_xor_b32_e32 v41, 1, v41
	s_delay_alu instid0(VALU_DEP_2) | instskip(NEXT) | instid1(VALU_DEP_1)
	v_and_b32_e32 v146, 0xfffff, v183
	v_add_nc_u32_e32 v183, v146, v42
                                        ; implicit-def: $vgpr146
	s_delay_alu instid0(VALU_DEP_3)
	v_cmpx_ne_u32_e64 v40, v41
	s_xor_b32 s7, exec_lo, s7
; %bb.8747:                             ;   in Loop: Header=BB6_8134 Depth=2
	s_delay_alu instid0(VALU_DEP_2) | instskip(SKIP_2) | instid1(VALU_DEP_2)
	v_cmp_lt_u32_e32 vcc_lo, 0xffffff, v183
	v_sub_nc_u32_e32 v146, v40, v41
	v_cndmask_b32_e64 v40, 0, 1, vcc_lo
	v_add_co_ci_u32_e32 v146, vcc_lo, 0, v146, vcc_lo
	s_delay_alu instid0(VALU_DEP_2)
	v_lshrrev_b32_e32 v183, v40, v183
; %bb.8748:                             ;   in Loop: Header=BB6_8134 Depth=2
	s_and_not1_saveexec_b32 s7, s7
; %bb.8749:                             ;   in Loop: Header=BB6_8134 Depth=2
	s_delay_alu instid0(VALU_DEP_1)
	v_bfe_u32 v146, v183, 23, 1
; %bb.8750:                             ;   in Loop: Header=BB6_8134 Depth=2
	s_or_b32 exec_lo, exec_lo, s7
	v_lshrrev_b32_e32 v183, 20, v183
	s_delay_alu instid0(VALU_DEP_2) | instskip(SKIP_2) | instid1(VALU_DEP_2)
	v_cmp_gt_i32_e32 vcc_lo, 16, v146
	v_lshrrev_b32_e32 v182, 24, v182
	v_min_i32_e32 v40, 15, v146
	v_dual_cndmask_b32 v183, 7, v183 :: v_dual_and_b32 v182, 0x80, v182
	s_delay_alu instid0(VALU_DEP_2) | instskip(NEXT) | instid1(VALU_DEP_2)
	v_lshlrev_b32_e32 v40, 3, v40
	v_or_b32_e32 v146, v146, v183
	s_delay_alu instid0(VALU_DEP_1) | instskip(SKIP_1) | instid1(VALU_DEP_1)
	v_cmp_ne_u32_e32 vcc_lo, 0, v146
	v_and_b32_e32 v41, 7, v183
	v_or3_b32 v182, v40, v182, v41
	s_delay_alu instid0(VALU_DEP_1)
	v_cndmask_b32_e32 v146, 0, v182, vcc_lo
.LBB6_8751:                             ;   in Loop: Header=BB6_8134 Depth=2
	s_or_b32 exec_lo, exec_lo, s24
.LBB6_8752:                             ;   in Loop: Header=BB6_8134 Depth=2
	s_delay_alu instid0(SALU_CYCLE_1) | instskip(SKIP_3) | instid1(VALU_DEP_1)
	s_or_b32 exec_lo, exec_lo, s23
	v_and_b32_e32 v183, 0xff, v145
	s_mov_b32 s7, 0
	s_mov_b32 s24, exec_lo
                                        ; implicit-def: $sgpr23
	v_cmpx_lt_i16_e64 0x7f, v183
	s_xor_b32 s24, exec_lo, s24
	s_cbranch_execnz .LBB6_9281
; %bb.8753:                             ;   in Loop: Header=BB6_8134 Depth=2
	s_or_saveexec_b32 s24, s24
	v_mov_b32_e32 v182, s23
	s_xor_b32 exec_lo, exec_lo, s24
	s_cbranch_execnz .LBB6_9284
.LBB6_8754:                             ;   in Loop: Header=BB6_8134 Depth=2
	s_or_b32 exec_lo, exec_lo, s24
	s_and_saveexec_b32 s23, s7
	s_cbranch_execz .LBB6_8756
.LBB6_8755:                             ;   in Loop: Header=BB6_8134 Depth=2
	v_lshrrev_b16 v41, 3, v145
	s_delay_alu instid0(VALU_DEP_1) | instskip(NEXT) | instid1(VALU_DEP_1)
	v_and_b32_e32 v41, 15, v41
	v_cmp_eq_u32_e32 vcc_lo, 0, v41
	v_and_b32_e32 v182, 7, v145
	s_delay_alu instid0(VALU_DEP_1) | instskip(NEXT) | instid1(VALU_DEP_1)
	v_clz_i32_u32_e32 v183, v182
	v_min_u32_e32 v183, 32, v183
	s_delay_alu instid0(VALU_DEP_1) | instskip(SKIP_1) | instid1(VALU_DEP_1)
	v_subrev_nc_u32_e32 v40, 28, v183
	v_sub_nc_u32_e32 v183, 29, v183
	v_dual_cndmask_b32 v183, v41, v183 :: v_dual_lshlrev_b32 v40, v40, v145
	v_lshlrev_b32_e32 v145, 24, v145
	s_delay_alu instid0(VALU_DEP_2) | instskip(NEXT) | instid1(VALU_DEP_3)
	v_and_b32_e32 v40, 7, v40
	v_lshl_add_u32 v183, v183, 23, 0x3b800000
	s_delay_alu instid0(VALU_DEP_2) | instskip(NEXT) | instid1(VALU_DEP_1)
	v_dual_cndmask_b32 v182, v182, v40 :: v_dual_and_b32 v145, 0x80000000, v145
	v_lshlrev_b32_e32 v182, 20, v182
	s_delay_alu instid0(VALU_DEP_1)
	v_or3_b32 v182, v145, v183, v182
.LBB6_8756:                             ;   in Loop: Header=BB6_8134 Depth=2
	s_or_b32 exec_lo, exec_lo, s23
	s_waitcnt vmcnt(17) lgkmcnt(17)
	v_and_b32_e32 v183, 0xff, v181
	s_mov_b32 s7, 0
	s_mov_b32 s24, exec_lo
                                        ; implicit-def: $sgpr23
	s_delay_alu instid0(VALU_DEP_1)
	v_cmpx_lt_i16_e64 0x7f, v183
	s_xor_b32 s24, exec_lo, s24
	s_cbranch_execnz .LBB6_9285
; %bb.8757:                             ;   in Loop: Header=BB6_8134 Depth=2
	s_or_saveexec_b32 s24, s24
	v_mov_b32_e32 v145, s23
	s_xor_b32 exec_lo, exec_lo, s24
	s_cbranch_execnz .LBB6_9288
.LBB6_8758:                             ;   in Loop: Header=BB6_8134 Depth=2
	s_or_b32 exec_lo, exec_lo, s24
	s_and_saveexec_b32 s23, s7
	s_cbranch_execz .LBB6_8760
.LBB6_8759:                             ;   in Loop: Header=BB6_8134 Depth=2
	v_and_b32_e32 v145, 7, v181
	v_lshrrev_b16 v41, 3, v181
	s_delay_alu instid0(VALU_DEP_2) | instskip(NEXT) | instid1(VALU_DEP_2)
	v_clz_i32_u32_e32 v183, v145
	v_and_b32_e32 v41, 15, v41
	s_delay_alu instid0(VALU_DEP_2) | instskip(NEXT) | instid1(VALU_DEP_2)
	v_min_u32_e32 v183, 32, v183
	v_cmp_eq_u32_e32 vcc_lo, 0, v41
	s_delay_alu instid0(VALU_DEP_2) | instskip(SKIP_1) | instid1(VALU_DEP_1)
	v_subrev_nc_u32_e32 v40, 28, v183
	v_sub_nc_u32_e32 v183, 29, v183
	v_dual_cndmask_b32 v183, v41, v183 :: v_dual_lshlrev_b32 v40, v40, v181
	v_lshlrev_b32_e32 v181, 24, v181
	s_delay_alu instid0(VALU_DEP_2) | instskip(NEXT) | instid1(VALU_DEP_3)
	v_and_b32_e32 v40, 7, v40
	v_lshl_add_u32 v183, v183, 23, 0x3b800000
	s_delay_alu instid0(VALU_DEP_3) | instskip(NEXT) | instid1(VALU_DEP_3)
	v_and_b32_e32 v181, 0x80000000, v181
	v_cndmask_b32_e32 v145, v145, v40, vcc_lo
	s_delay_alu instid0(VALU_DEP_1) | instskip(NEXT) | instid1(VALU_DEP_1)
	v_lshlrev_b32_e32 v145, 20, v145
	v_or3_b32 v145, v181, v183, v145
.LBB6_8760:                             ;   in Loop: Header=BB6_8134 Depth=2
	s_or_b32 exec_lo, exec_lo, s23
	s_delay_alu instid0(VALU_DEP_1) | instskip(NEXT) | instid1(VALU_DEP_1)
	v_add_f32_e32 v181, v182, v145
	v_and_b32_e32 v145, 0x7f800000, v181
	s_delay_alu instid0(VALU_DEP_1)
	v_cmp_ne_u32_e32 vcc_lo, 0x7f800000, v145
	v_mov_b32_e32 v145, 0x80
	s_and_saveexec_b32 s23, vcc_lo
	s_cbranch_execz .LBB6_8768
; %bb.8761:                             ;   in Loop: Header=BB6_8134 Depth=2
	v_mov_b32_e32 v145, 0
	s_mov_b32 s24, exec_lo
	v_cmpx_ne_u32_e32 0, v181
	s_cbranch_execz .LBB6_8767
; %bb.8762:                             ;   in Loop: Header=BB6_8134 Depth=2
	v_bfe_u32 v145, v181, 23, 8
	s_delay_alu instid0(VALU_DEP_1) | instskip(SKIP_1) | instid1(VALU_DEP_2)
	v_sub_nc_u32_e32 v183, 0x78, v145
	v_cmp_gt_u32_e32 vcc_lo, 0x79, v145
	v_dual_cndmask_b32 v183, 0, v183 :: v_dual_and_b32 v182, 0x7fffff, v181
	s_delay_alu instid0(VALU_DEP_1) | instskip(SKIP_2) | instid1(VALU_DEP_4)
	v_or_b32_e32 v40, 0x800000, v182
	v_cmp_eq_u32_e32 vcc_lo, 0, v145
	v_add_nc_u32_e32 v145, 0xffffff89, v145
	v_cndmask_b32_e64 v183, v183, 0x77, vcc_lo
	s_delay_alu instid0(VALU_DEP_4) | instskip(NEXT) | instid1(VALU_DEP_3)
	v_cndmask_b32_e32 v182, v40, v182, vcc_lo
	v_cndmask_b32_e64 v145, v145, 0xffffff8a, vcc_lo
	s_delay_alu instid0(VALU_DEP_3) | instskip(NEXT) | instid1(VALU_DEP_3)
	v_lshl_add_u32 v40, 0x100000, v183, -1
	v_lshrrev_b32_e32 v41, v183, v182
	v_lshlrev_b32_e64 v43, v183, 0x80000
	s_delay_alu instid0(VALU_DEP_4) | instskip(NEXT) | instid1(VALU_DEP_4)
	v_add_nc_u32_e32 v183, v183, v145
	v_and_b32_e32 v182, v40, v182
	s_delay_alu instid0(VALU_DEP_4) | instskip(NEXT) | instid1(VALU_DEP_2)
	v_bfe_u32 v42, v41, 20, 1
	v_cmp_eq_u32_e64 s7, v182, v43
	s_delay_alu instid0(VALU_DEP_2) | instskip(NEXT) | instid1(VALU_DEP_1)
	v_add_nc_u32_e32 v40, -1, v42
	v_cndmask_b32_e64 v182, 0, v40, s7
	v_lshrrev_b32_e32 v40, 23, v41
	s_mov_b32 s7, exec_lo
	s_delay_alu instid0(VALU_DEP_2) | instskip(NEXT) | instid1(VALU_DEP_2)
	v_add_nc_u32_e32 v182, v182, v41
	v_xor_b32_e32 v40, 1, v40
	s_delay_alu instid0(VALU_DEP_2) | instskip(NEXT) | instid1(VALU_DEP_1)
	v_and_b32_e32 v145, 0xfffff, v182
	v_add_nc_u32_e32 v182, v145, v41
                                        ; implicit-def: $vgpr145
	s_delay_alu instid0(VALU_DEP_3)
	v_cmpx_ne_u32_e64 v183, v40
	s_xor_b32 s7, exec_lo, s7
; %bb.8763:                             ;   in Loop: Header=BB6_8134 Depth=2
	s_delay_alu instid0(VALU_DEP_2) | instskip(SKIP_2) | instid1(VALU_DEP_2)
	v_cmp_lt_u32_e32 vcc_lo, 0xffffff, v182
	v_sub_nc_u32_e32 v145, v183, v40
	v_cndmask_b32_e64 v183, 0, 1, vcc_lo
	v_add_co_ci_u32_e32 v145, vcc_lo, 0, v145, vcc_lo
	s_delay_alu instid0(VALU_DEP_2)
	v_lshrrev_b32_e32 v182, v183, v182
; %bb.8764:                             ;   in Loop: Header=BB6_8134 Depth=2
	s_and_not1_saveexec_b32 s7, s7
; %bb.8765:                             ;   in Loop: Header=BB6_8134 Depth=2
	s_delay_alu instid0(VALU_DEP_1)
	v_bfe_u32 v145, v182, 23, 1
; %bb.8766:                             ;   in Loop: Header=BB6_8134 Depth=2
	s_or_b32 exec_lo, exec_lo, s7
	v_lshrrev_b32_e32 v182, 20, v182
	s_delay_alu instid0(VALU_DEP_2) | instskip(SKIP_2) | instid1(VALU_DEP_2)
	v_cmp_gt_i32_e32 vcc_lo, 16, v145
	v_lshrrev_b32_e32 v181, 24, v181
	v_min_i32_e32 v183, 15, v145
	v_dual_cndmask_b32 v182, 7, v182 :: v_dual_and_b32 v181, 0x80, v181
	s_delay_alu instid0(VALU_DEP_2) | instskip(NEXT) | instid1(VALU_DEP_2)
	v_lshlrev_b32_e32 v183, 3, v183
	v_or_b32_e32 v145, v145, v182
	s_delay_alu instid0(VALU_DEP_1) | instskip(SKIP_1) | instid1(VALU_DEP_1)
	v_cmp_ne_u32_e32 vcc_lo, 0, v145
	v_and_b32_e32 v40, 7, v182
	v_or3_b32 v181, v183, v181, v40
	s_delay_alu instid0(VALU_DEP_1)
	v_cndmask_b32_e32 v145, 0, v181, vcc_lo
.LBB6_8767:                             ;   in Loop: Header=BB6_8134 Depth=2
	s_or_b32 exec_lo, exec_lo, s24
.LBB6_8768:                             ;   in Loop: Header=BB6_8134 Depth=2
	s_delay_alu instid0(SALU_CYCLE_1) | instskip(SKIP_3) | instid1(VALU_DEP_1)
	s_or_b32 exec_lo, exec_lo, s23
	v_and_b32_e32 v182, 0xff, v135
	s_mov_b32 s7, 0
	s_mov_b32 s24, exec_lo
                                        ; implicit-def: $sgpr23
	v_cmpx_lt_i16_e64 0x7f, v182
	s_xor_b32 s24, exec_lo, s24
	s_cbranch_execnz .LBB6_9289
; %bb.8769:                             ;   in Loop: Header=BB6_8134 Depth=2
	s_or_saveexec_b32 s24, s24
	v_mov_b32_e32 v181, s23
	s_xor_b32 exec_lo, exec_lo, s24
	s_cbranch_execnz .LBB6_9292
.LBB6_8770:                             ;   in Loop: Header=BB6_8134 Depth=2
	s_or_b32 exec_lo, exec_lo, s24
	s_and_saveexec_b32 s23, s7
	s_cbranch_execz .LBB6_8772
.LBB6_8771:                             ;   in Loop: Header=BB6_8134 Depth=2
	v_lshrrev_b16 v40, 3, v135
	s_delay_alu instid0(VALU_DEP_1) | instskip(NEXT) | instid1(VALU_DEP_1)
	v_and_b32_e32 v40, 15, v40
	v_cmp_eq_u32_e32 vcc_lo, 0, v40
	v_and_b32_e32 v181, 7, v135
	s_delay_alu instid0(VALU_DEP_1) | instskip(NEXT) | instid1(VALU_DEP_1)
	v_clz_i32_u32_e32 v182, v181
	v_min_u32_e32 v182, 32, v182
	s_delay_alu instid0(VALU_DEP_1) | instskip(SKIP_1) | instid1(VALU_DEP_1)
	v_subrev_nc_u32_e32 v183, 28, v182
	v_sub_nc_u32_e32 v182, 29, v182
	v_dual_cndmask_b32 v182, v40, v182 :: v_dual_lshlrev_b32 v183, v183, v135
	v_lshlrev_b32_e32 v135, 24, v135
	s_delay_alu instid0(VALU_DEP_2) | instskip(NEXT) | instid1(VALU_DEP_3)
	v_and_b32_e32 v183, 7, v183
	v_lshl_add_u32 v182, v182, 23, 0x3b800000
	s_delay_alu instid0(VALU_DEP_3) | instskip(NEXT) | instid1(VALU_DEP_3)
	v_and_b32_e32 v135, 0x80000000, v135
	v_cndmask_b32_e32 v181, v181, v183, vcc_lo
	s_delay_alu instid0(VALU_DEP_1) | instskip(NEXT) | instid1(VALU_DEP_1)
	v_lshlrev_b32_e32 v181, 20, v181
	v_or3_b32 v181, v135, v182, v181
.LBB6_8772:                             ;   in Loop: Header=BB6_8134 Depth=2
	s_or_b32 exec_lo, exec_lo, s23
	s_waitcnt vmcnt(16) lgkmcnt(16)
	v_and_b32_e32 v182, 0xff, v180
	s_mov_b32 s7, 0
	s_mov_b32 s24, exec_lo
                                        ; implicit-def: $sgpr23
	s_delay_alu instid0(VALU_DEP_1)
	v_cmpx_lt_i16_e64 0x7f, v182
	s_xor_b32 s24, exec_lo, s24
	s_cbranch_execnz .LBB6_9293
; %bb.8773:                             ;   in Loop: Header=BB6_8134 Depth=2
	s_or_saveexec_b32 s24, s24
	v_mov_b32_e32 v135, s23
	s_xor_b32 exec_lo, exec_lo, s24
	s_cbranch_execnz .LBB6_9296
.LBB6_8774:                             ;   in Loop: Header=BB6_8134 Depth=2
	s_or_b32 exec_lo, exec_lo, s24
	s_and_saveexec_b32 s23, s7
	s_cbranch_execz .LBB6_8776
.LBB6_8775:                             ;   in Loop: Header=BB6_8134 Depth=2
	v_lshrrev_b16 v40, 3, v180
	s_delay_alu instid0(VALU_DEP_1) | instskip(NEXT) | instid1(VALU_DEP_1)
	v_and_b32_e32 v40, 15, v40
	v_cmp_eq_u32_e32 vcc_lo, 0, v40
	v_and_b32_e32 v135, 7, v180
	s_delay_alu instid0(VALU_DEP_1) | instskip(NEXT) | instid1(VALU_DEP_1)
	v_clz_i32_u32_e32 v182, v135
	v_min_u32_e32 v182, 32, v182
	s_delay_alu instid0(VALU_DEP_1) | instskip(SKIP_1) | instid1(VALU_DEP_1)
	v_subrev_nc_u32_e32 v183, 28, v182
	v_sub_nc_u32_e32 v182, 29, v182
	v_dual_cndmask_b32 v182, v40, v182 :: v_dual_lshlrev_b32 v183, v183, v180
	v_lshlrev_b32_e32 v180, 24, v180
	s_delay_alu instid0(VALU_DEP_2) | instskip(NEXT) | instid1(VALU_DEP_3)
	v_and_b32_e32 v183, 7, v183
	v_lshl_add_u32 v182, v182, 23, 0x3b800000
	s_delay_alu instid0(VALU_DEP_2) | instskip(NEXT) | instid1(VALU_DEP_1)
	v_dual_cndmask_b32 v135, v135, v183 :: v_dual_and_b32 v180, 0x80000000, v180
	v_lshlrev_b32_e32 v135, 20, v135
	s_delay_alu instid0(VALU_DEP_1)
	v_or3_b32 v135, v180, v182, v135
.LBB6_8776:                             ;   in Loop: Header=BB6_8134 Depth=2
	s_or_b32 exec_lo, exec_lo, s23
	s_delay_alu instid0(VALU_DEP_1) | instskip(NEXT) | instid1(VALU_DEP_1)
	v_add_f32_e32 v180, v181, v135
	v_and_b32_e32 v135, 0x7f800000, v180
	s_delay_alu instid0(VALU_DEP_1)
	v_cmp_ne_u32_e32 vcc_lo, 0x7f800000, v135
	v_mov_b32_e32 v135, 0x80
	s_and_saveexec_b32 s23, vcc_lo
	s_cbranch_execz .LBB6_8784
; %bb.8777:                             ;   in Loop: Header=BB6_8134 Depth=2
	v_mov_b32_e32 v135, 0
	s_mov_b32 s24, exec_lo
	v_cmpx_ne_u32_e32 0, v180
	s_cbranch_execz .LBB6_8783
; %bb.8778:                             ;   in Loop: Header=BB6_8134 Depth=2
	v_bfe_u32 v135, v180, 23, 8
	s_delay_alu instid0(VALU_DEP_1) | instskip(SKIP_1) | instid1(VALU_DEP_2)
	v_sub_nc_u32_e32 v182, 0x78, v135
	v_cmp_gt_u32_e32 vcc_lo, 0x79, v135
	v_dual_cndmask_b32 v182, 0, v182 :: v_dual_and_b32 v181, 0x7fffff, v180
	s_delay_alu instid0(VALU_DEP_1) | instskip(SKIP_2) | instid1(VALU_DEP_4)
	v_or_b32_e32 v183, 0x800000, v181
	v_cmp_eq_u32_e32 vcc_lo, 0, v135
	v_add_nc_u32_e32 v135, 0xffffff89, v135
	v_cndmask_b32_e64 v182, v182, 0x77, vcc_lo
	s_delay_alu instid0(VALU_DEP_2) | instskip(SKIP_1) | instid1(VALU_DEP_3)
	v_cndmask_b32_e64 v135, v135, 0xffffff8a, vcc_lo
	v_cndmask_b32_e32 v181, v183, v181, vcc_lo
	v_lshl_add_u32 v183, 0x100000, v182, -1
	v_lshlrev_b32_e64 v42, v182, 0x80000
	s_delay_alu instid0(VALU_DEP_3) | instskip(SKIP_1) | instid1(VALU_DEP_4)
	v_lshrrev_b32_e32 v40, v182, v181
	v_add_nc_u32_e32 v182, v182, v135
	v_and_b32_e32 v181, v183, v181
	s_delay_alu instid0(VALU_DEP_3) | instskip(NEXT) | instid1(VALU_DEP_2)
	v_bfe_u32 v41, v40, 20, 1
	v_cmp_eq_u32_e64 s7, v181, v42
	s_delay_alu instid0(VALU_DEP_2) | instskip(NEXT) | instid1(VALU_DEP_1)
	v_add_nc_u32_e32 v183, -1, v41
	v_cndmask_b32_e64 v181, 0, v183, s7
	v_lshrrev_b32_e32 v183, 23, v40
	s_mov_b32 s7, exec_lo
	s_delay_alu instid0(VALU_DEP_2) | instskip(NEXT) | instid1(VALU_DEP_2)
	v_add_nc_u32_e32 v181, v181, v40
	v_xor_b32_e32 v183, 1, v183
	s_delay_alu instid0(VALU_DEP_2) | instskip(NEXT) | instid1(VALU_DEP_1)
	v_and_b32_e32 v135, 0xfffff, v181
	v_add_nc_u32_e32 v181, v135, v40
                                        ; implicit-def: $vgpr135
	s_delay_alu instid0(VALU_DEP_3)
	v_cmpx_ne_u32_e64 v182, v183
	s_xor_b32 s7, exec_lo, s7
; %bb.8779:                             ;   in Loop: Header=BB6_8134 Depth=2
	s_delay_alu instid0(VALU_DEP_2) | instskip(SKIP_2) | instid1(VALU_DEP_2)
	v_cmp_lt_u32_e32 vcc_lo, 0xffffff, v181
	v_sub_nc_u32_e32 v135, v182, v183
	v_cndmask_b32_e64 v182, 0, 1, vcc_lo
	v_add_co_ci_u32_e32 v135, vcc_lo, 0, v135, vcc_lo
	s_delay_alu instid0(VALU_DEP_2)
	v_lshrrev_b32_e32 v181, v182, v181
; %bb.8780:                             ;   in Loop: Header=BB6_8134 Depth=2
	s_and_not1_saveexec_b32 s7, s7
; %bb.8781:                             ;   in Loop: Header=BB6_8134 Depth=2
	s_delay_alu instid0(VALU_DEP_1)
	v_bfe_u32 v135, v181, 23, 1
; %bb.8782:                             ;   in Loop: Header=BB6_8134 Depth=2
	s_or_b32 exec_lo, exec_lo, s7
	v_lshrrev_b32_e32 v181, 20, v181
	s_delay_alu instid0(VALU_DEP_2) | instskip(SKIP_2) | instid1(VALU_DEP_2)
	v_cmp_gt_i32_e32 vcc_lo, 16, v135
	v_lshrrev_b32_e32 v180, 24, v180
	v_min_i32_e32 v182, 15, v135
	v_dual_cndmask_b32 v181, 7, v181 :: v_dual_and_b32 v180, 0x80, v180
	s_delay_alu instid0(VALU_DEP_1) | instskip(SKIP_1) | instid1(VALU_DEP_2)
	v_or_b32_e32 v135, v135, v181
	v_and_b32_e32 v183, 7, v181
	v_cmp_ne_u32_e32 vcc_lo, 0, v135
	v_lshlrev_b32_e32 v182, 3, v182
	s_delay_alu instid0(VALU_DEP_1) | instskip(NEXT) | instid1(VALU_DEP_1)
	v_or3_b32 v180, v182, v180, v183
	v_cndmask_b32_e32 v135, 0, v180, vcc_lo
.LBB6_8783:                             ;   in Loop: Header=BB6_8134 Depth=2
	s_or_b32 exec_lo, exec_lo, s24
.LBB6_8784:                             ;   in Loop: Header=BB6_8134 Depth=2
	s_delay_alu instid0(SALU_CYCLE_1) | instskip(SKIP_3) | instid1(VALU_DEP_1)
	s_or_b32 exec_lo, exec_lo, s23
	v_and_b32_e32 v181, 0xff, v133
	s_mov_b32 s7, 0
	s_mov_b32 s24, exec_lo
                                        ; implicit-def: $sgpr23
	v_cmpx_lt_i16_e64 0x7f, v181
	s_xor_b32 s24, exec_lo, s24
	s_cbranch_execnz .LBB6_9297
; %bb.8785:                             ;   in Loop: Header=BB6_8134 Depth=2
	s_or_saveexec_b32 s24, s24
	v_mov_b32_e32 v180, s23
	s_xor_b32 exec_lo, exec_lo, s24
	s_cbranch_execnz .LBB6_9300
.LBB6_8786:                             ;   in Loop: Header=BB6_8134 Depth=2
	s_or_b32 exec_lo, exec_lo, s24
	s_and_saveexec_b32 s23, s7
	s_cbranch_execz .LBB6_8788
.LBB6_8787:                             ;   in Loop: Header=BB6_8134 Depth=2
	v_and_b32_e32 v180, 7, v133
	v_lshrrev_b16 v183, 3, v133
	s_delay_alu instid0(VALU_DEP_2) | instskip(NEXT) | instid1(VALU_DEP_1)
	v_clz_i32_u32_e32 v181, v180
	v_min_u32_e32 v181, 32, v181
	s_delay_alu instid0(VALU_DEP_1) | instskip(SKIP_1) | instid1(VALU_DEP_2)
	v_subrev_nc_u32_e32 v182, 28, v181
	v_sub_nc_u32_e32 v181, 29, v181
	v_lshlrev_b32_e32 v182, v182, v133
	v_lshlrev_b32_e32 v133, 24, v133
	s_delay_alu instid0(VALU_DEP_2) | instskip(SKIP_1) | instid1(VALU_DEP_3)
	v_and_b32_e32 v182, 7, v182
	v_and_b32_e32 v183, 15, v183
	;; [unrolled: 1-line block ×3, first 2 shown]
	s_delay_alu instid0(VALU_DEP_2) | instskip(NEXT) | instid1(VALU_DEP_4)
	v_cmp_eq_u32_e32 vcc_lo, 0, v183
	v_dual_cndmask_b32 v180, v180, v182 :: v_dual_cndmask_b32 v181, v183, v181
	s_delay_alu instid0(VALU_DEP_1) | instskip(NEXT) | instid1(VALU_DEP_2)
	v_lshlrev_b32_e32 v180, 20, v180
	v_lshl_add_u32 v181, v181, 23, 0x3b800000
	s_delay_alu instid0(VALU_DEP_1)
	v_or3_b32 v180, v133, v181, v180
.LBB6_8788:                             ;   in Loop: Header=BB6_8134 Depth=2
	s_or_b32 exec_lo, exec_lo, s23
	s_waitcnt vmcnt(15) lgkmcnt(15)
	v_and_b32_e32 v181, 0xff, v179
	s_mov_b32 s7, 0
	s_mov_b32 s24, exec_lo
                                        ; implicit-def: $sgpr23
	s_delay_alu instid0(VALU_DEP_1)
	v_cmpx_lt_i16_e64 0x7f, v181
	s_xor_b32 s24, exec_lo, s24
	s_cbranch_execnz .LBB6_9301
; %bb.8789:                             ;   in Loop: Header=BB6_8134 Depth=2
	s_or_saveexec_b32 s24, s24
	v_mov_b32_e32 v133, s23
	s_xor_b32 exec_lo, exec_lo, s24
	s_cbranch_execnz .LBB6_9304
.LBB6_8790:                             ;   in Loop: Header=BB6_8134 Depth=2
	s_or_b32 exec_lo, exec_lo, s24
	s_and_saveexec_b32 s23, s7
	s_cbranch_execz .LBB6_8792
.LBB6_8791:                             ;   in Loop: Header=BB6_8134 Depth=2
	v_and_b32_e32 v133, 7, v179
	v_lshrrev_b16 v183, 3, v179
	s_delay_alu instid0(VALU_DEP_2) | instskip(NEXT) | instid1(VALU_DEP_2)
	v_clz_i32_u32_e32 v181, v133
	v_and_b32_e32 v183, 15, v183
	s_delay_alu instid0(VALU_DEP_2) | instskip(NEXT) | instid1(VALU_DEP_2)
	v_min_u32_e32 v181, 32, v181
	v_cmp_eq_u32_e32 vcc_lo, 0, v183
	s_delay_alu instid0(VALU_DEP_2) | instskip(SKIP_1) | instid1(VALU_DEP_1)
	v_subrev_nc_u32_e32 v182, 28, v181
	v_sub_nc_u32_e32 v181, 29, v181
	v_dual_cndmask_b32 v181, v183, v181 :: v_dual_lshlrev_b32 v182, v182, v179
	v_lshlrev_b32_e32 v179, 24, v179
	s_delay_alu instid0(VALU_DEP_2) | instskip(NEXT) | instid1(VALU_DEP_3)
	v_and_b32_e32 v182, 7, v182
	v_lshl_add_u32 v181, v181, 23, 0x3b800000
	s_delay_alu instid0(VALU_DEP_3) | instskip(NEXT) | instid1(VALU_DEP_3)
	v_and_b32_e32 v179, 0x80000000, v179
	v_cndmask_b32_e32 v133, v133, v182, vcc_lo
	s_delay_alu instid0(VALU_DEP_1) | instskip(NEXT) | instid1(VALU_DEP_1)
	v_lshlrev_b32_e32 v133, 20, v133
	v_or3_b32 v133, v179, v181, v133
.LBB6_8792:                             ;   in Loop: Header=BB6_8134 Depth=2
	s_or_b32 exec_lo, exec_lo, s23
	s_delay_alu instid0(VALU_DEP_1) | instskip(NEXT) | instid1(VALU_DEP_1)
	v_add_f32_e32 v179, v180, v133
	v_and_b32_e32 v133, 0x7f800000, v179
	s_delay_alu instid0(VALU_DEP_1)
	v_cmp_ne_u32_e32 vcc_lo, 0x7f800000, v133
	v_mov_b32_e32 v133, 0x80
	s_and_saveexec_b32 s23, vcc_lo
	s_cbranch_execz .LBB6_8800
; %bb.8793:                             ;   in Loop: Header=BB6_8134 Depth=2
	v_mov_b32_e32 v133, 0
	s_mov_b32 s24, exec_lo
	v_cmpx_ne_u32_e32 0, v179
	s_cbranch_execz .LBB6_8799
; %bb.8794:                             ;   in Loop: Header=BB6_8134 Depth=2
	v_bfe_u32 v133, v179, 23, 8
	s_delay_alu instid0(VALU_DEP_1) | instskip(SKIP_1) | instid1(VALU_DEP_2)
	v_sub_nc_u32_e32 v181, 0x78, v133
	v_cmp_gt_u32_e32 vcc_lo, 0x79, v133
	v_dual_cndmask_b32 v181, 0, v181 :: v_dual_and_b32 v180, 0x7fffff, v179
	s_delay_alu instid0(VALU_DEP_1) | instskip(SKIP_2) | instid1(VALU_DEP_4)
	v_or_b32_e32 v182, 0x800000, v180
	v_cmp_eq_u32_e32 vcc_lo, 0, v133
	v_add_nc_u32_e32 v133, 0xffffff89, v133
	v_cndmask_b32_e64 v181, v181, 0x77, vcc_lo
	s_delay_alu instid0(VALU_DEP_4) | instskip(NEXT) | instid1(VALU_DEP_3)
	v_cndmask_b32_e32 v180, v182, v180, vcc_lo
	v_cndmask_b32_e64 v133, v133, 0xffffff8a, vcc_lo
	s_delay_alu instid0(VALU_DEP_3) | instskip(NEXT) | instid1(VALU_DEP_3)
	v_lshl_add_u32 v182, 0x100000, v181, -1
	v_lshrrev_b32_e32 v183, v181, v180
	v_lshlrev_b32_e64 v41, v181, 0x80000
	s_delay_alu instid0(VALU_DEP_4) | instskip(NEXT) | instid1(VALU_DEP_4)
	v_add_nc_u32_e32 v181, v181, v133
	v_and_b32_e32 v180, v182, v180
	s_delay_alu instid0(VALU_DEP_4) | instskip(NEXT) | instid1(VALU_DEP_2)
	v_bfe_u32 v40, v183, 20, 1
	v_cmp_eq_u32_e64 s7, v180, v41
	s_delay_alu instid0(VALU_DEP_2) | instskip(NEXT) | instid1(VALU_DEP_1)
	v_add_nc_u32_e32 v182, -1, v40
	v_cndmask_b32_e64 v180, 0, v182, s7
	v_lshrrev_b32_e32 v182, 23, v183
	s_mov_b32 s7, exec_lo
	s_delay_alu instid0(VALU_DEP_2) | instskip(NEXT) | instid1(VALU_DEP_2)
	v_add_nc_u32_e32 v180, v180, v183
	v_xor_b32_e32 v182, 1, v182
	s_delay_alu instid0(VALU_DEP_2) | instskip(NEXT) | instid1(VALU_DEP_1)
	v_and_b32_e32 v133, 0xfffff, v180
	v_add_nc_u32_e32 v180, v133, v183
                                        ; implicit-def: $vgpr133
	s_delay_alu instid0(VALU_DEP_3)
	v_cmpx_ne_u32_e64 v181, v182
	s_xor_b32 s7, exec_lo, s7
; %bb.8795:                             ;   in Loop: Header=BB6_8134 Depth=2
	s_delay_alu instid0(VALU_DEP_2) | instskip(SKIP_2) | instid1(VALU_DEP_2)
	v_cmp_lt_u32_e32 vcc_lo, 0xffffff, v180
	v_sub_nc_u32_e32 v133, v181, v182
	v_cndmask_b32_e64 v181, 0, 1, vcc_lo
	v_add_co_ci_u32_e32 v133, vcc_lo, 0, v133, vcc_lo
	s_delay_alu instid0(VALU_DEP_2)
	v_lshrrev_b32_e32 v180, v181, v180
; %bb.8796:                             ;   in Loop: Header=BB6_8134 Depth=2
	s_and_not1_saveexec_b32 s7, s7
; %bb.8797:                             ;   in Loop: Header=BB6_8134 Depth=2
	s_delay_alu instid0(VALU_DEP_1)
	v_bfe_u32 v133, v180, 23, 1
; %bb.8798:                             ;   in Loop: Header=BB6_8134 Depth=2
	s_or_b32 exec_lo, exec_lo, s7
	v_lshrrev_b32_e32 v180, 20, v180
	s_delay_alu instid0(VALU_DEP_2) | instskip(SKIP_2) | instid1(VALU_DEP_2)
	v_cmp_gt_i32_e32 vcc_lo, 16, v133
	v_lshrrev_b32_e32 v179, 24, v179
	v_min_i32_e32 v181, 15, v133
	v_dual_cndmask_b32 v180, 7, v180 :: v_dual_and_b32 v179, 0x80, v179
	s_delay_alu instid0(VALU_DEP_2) | instskip(NEXT) | instid1(VALU_DEP_2)
	v_lshlrev_b32_e32 v181, 3, v181
	v_or_b32_e32 v133, v133, v180
	s_delay_alu instid0(VALU_DEP_1) | instskip(SKIP_1) | instid1(VALU_DEP_1)
	v_cmp_ne_u32_e32 vcc_lo, 0, v133
	v_and_b32_e32 v182, 7, v180
	v_or3_b32 v179, v181, v179, v182
	s_delay_alu instid0(VALU_DEP_1)
	v_cndmask_b32_e32 v133, 0, v179, vcc_lo
.LBB6_8799:                             ;   in Loop: Header=BB6_8134 Depth=2
	s_or_b32 exec_lo, exec_lo, s24
.LBB6_8800:                             ;   in Loop: Header=BB6_8134 Depth=2
	s_delay_alu instid0(SALU_CYCLE_1) | instskip(SKIP_3) | instid1(VALU_DEP_1)
	s_or_b32 exec_lo, exec_lo, s23
	v_and_b32_e32 v180, 0xff, v132
	s_mov_b32 s7, 0
	s_mov_b32 s24, exec_lo
                                        ; implicit-def: $sgpr23
	v_cmpx_lt_i16_e64 0x7f, v180
	s_xor_b32 s24, exec_lo, s24
	s_cbranch_execnz .LBB6_9305
; %bb.8801:                             ;   in Loop: Header=BB6_8134 Depth=2
	s_or_saveexec_b32 s24, s24
	v_mov_b32_e32 v179, s23
	s_xor_b32 exec_lo, exec_lo, s24
	s_cbranch_execnz .LBB6_9308
.LBB6_8802:                             ;   in Loop: Header=BB6_8134 Depth=2
	s_or_b32 exec_lo, exec_lo, s24
	s_and_saveexec_b32 s23, s7
	s_cbranch_execz .LBB6_8804
.LBB6_8803:                             ;   in Loop: Header=BB6_8134 Depth=2
	v_and_b32_e32 v179, 7, v132
	v_lshrrev_b16 v182, 3, v132
	s_delay_alu instid0(VALU_DEP_2) | instskip(NEXT) | instid1(VALU_DEP_1)
	v_clz_i32_u32_e32 v180, v179
	v_min_u32_e32 v180, 32, v180
	s_delay_alu instid0(VALU_DEP_1) | instskip(SKIP_1) | instid1(VALU_DEP_2)
	v_subrev_nc_u32_e32 v181, 28, v180
	v_sub_nc_u32_e32 v180, 29, v180
	v_lshlrev_b32_e32 v181, v181, v132
	v_lshlrev_b32_e32 v132, 24, v132
	s_delay_alu instid0(VALU_DEP_2) | instskip(SKIP_1) | instid1(VALU_DEP_3)
	v_and_b32_e32 v181, 7, v181
	v_and_b32_e32 v182, 15, v182
	v_and_b32_e32 v132, 0x80000000, v132
	s_delay_alu instid0(VALU_DEP_2) | instskip(NEXT) | instid1(VALU_DEP_4)
	v_cmp_eq_u32_e32 vcc_lo, 0, v182
	v_dual_cndmask_b32 v179, v179, v181 :: v_dual_cndmask_b32 v180, v182, v180
	s_delay_alu instid0(VALU_DEP_1) | instskip(NEXT) | instid1(VALU_DEP_2)
	v_lshlrev_b32_e32 v179, 20, v179
	v_lshl_add_u32 v180, v180, 23, 0x3b800000
	s_delay_alu instid0(VALU_DEP_1)
	v_or3_b32 v179, v132, v180, v179
.LBB6_8804:                             ;   in Loop: Header=BB6_8134 Depth=2
	s_or_b32 exec_lo, exec_lo, s23
	s_waitcnt vmcnt(14) lgkmcnt(14)
	v_and_b32_e32 v180, 0xff, v178
	s_mov_b32 s7, 0
	s_mov_b32 s24, exec_lo
                                        ; implicit-def: $sgpr23
	s_delay_alu instid0(VALU_DEP_1)
	v_cmpx_lt_i16_e64 0x7f, v180
	s_xor_b32 s24, exec_lo, s24
	s_cbranch_execnz .LBB6_9309
; %bb.8805:                             ;   in Loop: Header=BB6_8134 Depth=2
	s_or_saveexec_b32 s24, s24
	v_mov_b32_e32 v132, s23
	s_xor_b32 exec_lo, exec_lo, s24
	s_cbranch_execnz .LBB6_9312
.LBB6_8806:                             ;   in Loop: Header=BB6_8134 Depth=2
	s_or_b32 exec_lo, exec_lo, s24
	s_and_saveexec_b32 s23, s7
	s_cbranch_execz .LBB6_8808
.LBB6_8807:                             ;   in Loop: Header=BB6_8134 Depth=2
	v_and_b32_e32 v132, 7, v178
	v_lshrrev_b16 v182, 3, v178
	s_delay_alu instid0(VALU_DEP_2) | instskip(NEXT) | instid1(VALU_DEP_2)
	v_clz_i32_u32_e32 v180, v132
	v_and_b32_e32 v182, 15, v182
	s_delay_alu instid0(VALU_DEP_2) | instskip(NEXT) | instid1(VALU_DEP_2)
	v_min_u32_e32 v180, 32, v180
	v_cmp_eq_u32_e32 vcc_lo, 0, v182
	s_delay_alu instid0(VALU_DEP_2) | instskip(SKIP_1) | instid1(VALU_DEP_1)
	v_subrev_nc_u32_e32 v181, 28, v180
	v_sub_nc_u32_e32 v180, 29, v180
	v_dual_cndmask_b32 v180, v182, v180 :: v_dual_lshlrev_b32 v181, v181, v178
	v_lshlrev_b32_e32 v178, 24, v178
	s_delay_alu instid0(VALU_DEP_2) | instskip(NEXT) | instid1(VALU_DEP_3)
	v_and_b32_e32 v181, 7, v181
	v_lshl_add_u32 v180, v180, 23, 0x3b800000
	s_delay_alu instid0(VALU_DEP_3) | instskip(NEXT) | instid1(VALU_DEP_3)
	v_and_b32_e32 v178, 0x80000000, v178
	v_cndmask_b32_e32 v132, v132, v181, vcc_lo
	s_delay_alu instid0(VALU_DEP_1) | instskip(NEXT) | instid1(VALU_DEP_1)
	v_lshlrev_b32_e32 v132, 20, v132
	v_or3_b32 v132, v178, v180, v132
.LBB6_8808:                             ;   in Loop: Header=BB6_8134 Depth=2
	s_or_b32 exec_lo, exec_lo, s23
	s_delay_alu instid0(VALU_DEP_1) | instskip(NEXT) | instid1(VALU_DEP_1)
	v_add_f32_e32 v178, v179, v132
	v_and_b32_e32 v132, 0x7f800000, v178
	s_delay_alu instid0(VALU_DEP_1)
	v_cmp_ne_u32_e32 vcc_lo, 0x7f800000, v132
	v_mov_b32_e32 v132, 0x80
	s_and_saveexec_b32 s23, vcc_lo
	s_cbranch_execz .LBB6_8816
; %bb.8809:                             ;   in Loop: Header=BB6_8134 Depth=2
	v_mov_b32_e32 v132, 0
	s_mov_b32 s24, exec_lo
	v_cmpx_ne_u32_e32 0, v178
	s_cbranch_execz .LBB6_8815
; %bb.8810:                             ;   in Loop: Header=BB6_8134 Depth=2
	v_bfe_u32 v132, v178, 23, 8
	s_delay_alu instid0(VALU_DEP_1) | instskip(SKIP_1) | instid1(VALU_DEP_2)
	v_sub_nc_u32_e32 v180, 0x78, v132
	v_cmp_gt_u32_e32 vcc_lo, 0x79, v132
	v_dual_cndmask_b32 v180, 0, v180 :: v_dual_and_b32 v179, 0x7fffff, v178
	s_delay_alu instid0(VALU_DEP_1) | instskip(SKIP_2) | instid1(VALU_DEP_4)
	v_or_b32_e32 v181, 0x800000, v179
	v_cmp_eq_u32_e32 vcc_lo, 0, v132
	v_add_nc_u32_e32 v132, 0xffffff89, v132
	v_cndmask_b32_e64 v180, v180, 0x77, vcc_lo
	s_delay_alu instid0(VALU_DEP_4) | instskip(NEXT) | instid1(VALU_DEP_3)
	v_cndmask_b32_e32 v179, v181, v179, vcc_lo
	v_cndmask_b32_e64 v132, v132, 0xffffff8a, vcc_lo
	s_delay_alu instid0(VALU_DEP_3) | instskip(NEXT) | instid1(VALU_DEP_3)
	v_lshl_add_u32 v181, 0x100000, v180, -1
	v_lshrrev_b32_e32 v182, v180, v179
	v_lshlrev_b32_e64 v40, v180, 0x80000
	s_delay_alu instid0(VALU_DEP_4) | instskip(NEXT) | instid1(VALU_DEP_4)
	v_add_nc_u32_e32 v180, v180, v132
	v_and_b32_e32 v179, v181, v179
	s_delay_alu instid0(VALU_DEP_4) | instskip(NEXT) | instid1(VALU_DEP_2)
	v_bfe_u32 v183, v182, 20, 1
	v_cmp_eq_u32_e64 s7, v179, v40
	s_delay_alu instid0(VALU_DEP_2) | instskip(NEXT) | instid1(VALU_DEP_1)
	v_add_nc_u32_e32 v181, -1, v183
	v_cndmask_b32_e64 v179, 0, v181, s7
	v_lshrrev_b32_e32 v181, 23, v182
	s_mov_b32 s7, exec_lo
	s_delay_alu instid0(VALU_DEP_2) | instskip(NEXT) | instid1(VALU_DEP_2)
	v_add_nc_u32_e32 v179, v179, v182
	v_xor_b32_e32 v181, 1, v181
	s_delay_alu instid0(VALU_DEP_2) | instskip(NEXT) | instid1(VALU_DEP_1)
	v_and_b32_e32 v132, 0xfffff, v179
	v_add_nc_u32_e32 v179, v132, v182
                                        ; implicit-def: $vgpr132
	s_delay_alu instid0(VALU_DEP_3)
	v_cmpx_ne_u32_e64 v180, v181
	s_xor_b32 s7, exec_lo, s7
; %bb.8811:                             ;   in Loop: Header=BB6_8134 Depth=2
	s_delay_alu instid0(VALU_DEP_2) | instskip(SKIP_2) | instid1(VALU_DEP_2)
	v_cmp_lt_u32_e32 vcc_lo, 0xffffff, v179
	v_sub_nc_u32_e32 v132, v180, v181
	v_cndmask_b32_e64 v180, 0, 1, vcc_lo
	v_add_co_ci_u32_e32 v132, vcc_lo, 0, v132, vcc_lo
	s_delay_alu instid0(VALU_DEP_2)
	v_lshrrev_b32_e32 v179, v180, v179
; %bb.8812:                             ;   in Loop: Header=BB6_8134 Depth=2
	s_and_not1_saveexec_b32 s7, s7
; %bb.8813:                             ;   in Loop: Header=BB6_8134 Depth=2
	s_delay_alu instid0(VALU_DEP_1)
	v_bfe_u32 v132, v179, 23, 1
; %bb.8814:                             ;   in Loop: Header=BB6_8134 Depth=2
	s_or_b32 exec_lo, exec_lo, s7
	v_lshrrev_b32_e32 v179, 20, v179
	s_delay_alu instid0(VALU_DEP_2) | instskip(SKIP_2) | instid1(VALU_DEP_2)
	v_cmp_gt_i32_e32 vcc_lo, 16, v132
	v_lshrrev_b32_e32 v178, 24, v178
	v_min_i32_e32 v180, 15, v132
	v_dual_cndmask_b32 v179, 7, v179 :: v_dual_and_b32 v178, 0x80, v178
	s_delay_alu instid0(VALU_DEP_2) | instskip(NEXT) | instid1(VALU_DEP_2)
	v_lshlrev_b32_e32 v180, 3, v180
	v_or_b32_e32 v132, v132, v179
	s_delay_alu instid0(VALU_DEP_1) | instskip(SKIP_1) | instid1(VALU_DEP_1)
	v_cmp_ne_u32_e32 vcc_lo, 0, v132
	v_and_b32_e32 v181, 7, v179
	v_or3_b32 v178, v180, v178, v181
	s_delay_alu instid0(VALU_DEP_1)
	v_cndmask_b32_e32 v132, 0, v178, vcc_lo
.LBB6_8815:                             ;   in Loop: Header=BB6_8134 Depth=2
	s_or_b32 exec_lo, exec_lo, s24
.LBB6_8816:                             ;   in Loop: Header=BB6_8134 Depth=2
	s_delay_alu instid0(SALU_CYCLE_1) | instskip(SKIP_3) | instid1(VALU_DEP_1)
	s_or_b32 exec_lo, exec_lo, s23
	v_and_b32_e32 v179, 0xff, v130
	s_mov_b32 s7, 0
	s_mov_b32 s24, exec_lo
                                        ; implicit-def: $sgpr23
	v_cmpx_lt_i16_e64 0x7f, v179
	s_xor_b32 s24, exec_lo, s24
	s_cbranch_execnz .LBB6_9313
; %bb.8817:                             ;   in Loop: Header=BB6_8134 Depth=2
	s_or_saveexec_b32 s24, s24
	v_mov_b32_e32 v178, s23
	s_xor_b32 exec_lo, exec_lo, s24
	s_cbranch_execnz .LBB6_9316
.LBB6_8818:                             ;   in Loop: Header=BB6_8134 Depth=2
	s_or_b32 exec_lo, exec_lo, s24
	s_and_saveexec_b32 s23, s7
	s_cbranch_execz .LBB6_8820
.LBB6_8819:                             ;   in Loop: Header=BB6_8134 Depth=2
	v_lshrrev_b16 v181, 3, v130
	s_delay_alu instid0(VALU_DEP_1) | instskip(NEXT) | instid1(VALU_DEP_1)
	v_and_b32_e32 v181, 15, v181
	v_cmp_eq_u32_e32 vcc_lo, 0, v181
	v_and_b32_e32 v178, 7, v130
	s_delay_alu instid0(VALU_DEP_1) | instskip(NEXT) | instid1(VALU_DEP_1)
	v_clz_i32_u32_e32 v179, v178
	v_min_u32_e32 v179, 32, v179
	s_delay_alu instid0(VALU_DEP_1) | instskip(SKIP_1) | instid1(VALU_DEP_1)
	v_subrev_nc_u32_e32 v180, 28, v179
	v_sub_nc_u32_e32 v179, 29, v179
	v_dual_cndmask_b32 v179, v181, v179 :: v_dual_lshlrev_b32 v180, v180, v130
	v_lshlrev_b32_e32 v130, 24, v130
	s_delay_alu instid0(VALU_DEP_2) | instskip(NEXT) | instid1(VALU_DEP_3)
	v_and_b32_e32 v180, 7, v180
	v_lshl_add_u32 v179, v179, 23, 0x3b800000
	s_delay_alu instid0(VALU_DEP_3) | instskip(NEXT) | instid1(VALU_DEP_3)
	v_and_b32_e32 v130, 0x80000000, v130
	v_cndmask_b32_e32 v178, v178, v180, vcc_lo
	s_delay_alu instid0(VALU_DEP_1) | instskip(NEXT) | instid1(VALU_DEP_1)
	v_lshlrev_b32_e32 v178, 20, v178
	v_or3_b32 v178, v130, v179, v178
.LBB6_8820:                             ;   in Loop: Header=BB6_8134 Depth=2
	s_or_b32 exec_lo, exec_lo, s23
	s_waitcnt vmcnt(13) lgkmcnt(13)
	v_and_b32_e32 v179, 0xff, v177
	s_mov_b32 s7, 0
	s_mov_b32 s24, exec_lo
                                        ; implicit-def: $sgpr23
	s_delay_alu instid0(VALU_DEP_1)
	v_cmpx_lt_i16_e64 0x7f, v179
	s_xor_b32 s24, exec_lo, s24
	s_cbranch_execnz .LBB6_9317
; %bb.8821:                             ;   in Loop: Header=BB6_8134 Depth=2
	s_or_saveexec_b32 s24, s24
	v_mov_b32_e32 v130, s23
	s_xor_b32 exec_lo, exec_lo, s24
	s_cbranch_execnz .LBB6_9320
.LBB6_8822:                             ;   in Loop: Header=BB6_8134 Depth=2
	s_or_b32 exec_lo, exec_lo, s24
	s_and_saveexec_b32 s23, s7
	s_cbranch_execz .LBB6_8824
.LBB6_8823:                             ;   in Loop: Header=BB6_8134 Depth=2
	v_lshrrev_b16 v181, 3, v177
	s_delay_alu instid0(VALU_DEP_1) | instskip(NEXT) | instid1(VALU_DEP_1)
	v_and_b32_e32 v181, 15, v181
	v_cmp_eq_u32_e32 vcc_lo, 0, v181
	v_and_b32_e32 v130, 7, v177
	s_delay_alu instid0(VALU_DEP_1) | instskip(NEXT) | instid1(VALU_DEP_1)
	v_clz_i32_u32_e32 v179, v130
	v_min_u32_e32 v179, 32, v179
	s_delay_alu instid0(VALU_DEP_1) | instskip(SKIP_1) | instid1(VALU_DEP_1)
	v_subrev_nc_u32_e32 v180, 28, v179
	v_sub_nc_u32_e32 v179, 29, v179
	v_dual_cndmask_b32 v179, v181, v179 :: v_dual_lshlrev_b32 v180, v180, v177
	v_lshlrev_b32_e32 v177, 24, v177
	s_delay_alu instid0(VALU_DEP_2) | instskip(NEXT) | instid1(VALU_DEP_3)
	v_and_b32_e32 v180, 7, v180
	v_lshl_add_u32 v179, v179, 23, 0x3b800000
	s_delay_alu instid0(VALU_DEP_2) | instskip(NEXT) | instid1(VALU_DEP_1)
	v_dual_cndmask_b32 v130, v130, v180 :: v_dual_and_b32 v177, 0x80000000, v177
	v_lshlrev_b32_e32 v130, 20, v130
	s_delay_alu instid0(VALU_DEP_1)
	v_or3_b32 v130, v177, v179, v130
.LBB6_8824:                             ;   in Loop: Header=BB6_8134 Depth=2
	s_or_b32 exec_lo, exec_lo, s23
	s_delay_alu instid0(VALU_DEP_1) | instskip(NEXT) | instid1(VALU_DEP_1)
	v_add_f32_e32 v177, v178, v130
	v_and_b32_e32 v130, 0x7f800000, v177
	s_delay_alu instid0(VALU_DEP_1)
	v_cmp_ne_u32_e32 vcc_lo, 0x7f800000, v130
	v_mov_b32_e32 v130, 0x80
	s_and_saveexec_b32 s23, vcc_lo
	s_cbranch_execz .LBB6_8832
; %bb.8825:                             ;   in Loop: Header=BB6_8134 Depth=2
	v_mov_b32_e32 v130, 0
	s_mov_b32 s24, exec_lo
	v_cmpx_ne_u32_e32 0, v177
	s_cbranch_execz .LBB6_8831
; %bb.8826:                             ;   in Loop: Header=BB6_8134 Depth=2
	v_bfe_u32 v130, v177, 23, 8
	s_delay_alu instid0(VALU_DEP_1) | instskip(SKIP_1) | instid1(VALU_DEP_2)
	v_sub_nc_u32_e32 v179, 0x78, v130
	v_cmp_gt_u32_e32 vcc_lo, 0x79, v130
	v_dual_cndmask_b32 v179, 0, v179 :: v_dual_and_b32 v178, 0x7fffff, v177
	s_delay_alu instid0(VALU_DEP_1) | instskip(SKIP_2) | instid1(VALU_DEP_4)
	v_or_b32_e32 v180, 0x800000, v178
	v_cmp_eq_u32_e32 vcc_lo, 0, v130
	v_add_nc_u32_e32 v130, 0xffffff89, v130
	v_cndmask_b32_e64 v179, v179, 0x77, vcc_lo
	s_delay_alu instid0(VALU_DEP_4) | instskip(NEXT) | instid1(VALU_DEP_3)
	v_cndmask_b32_e32 v178, v180, v178, vcc_lo
	v_cndmask_b32_e64 v130, v130, 0xffffff8a, vcc_lo
	s_delay_alu instid0(VALU_DEP_3) | instskip(NEXT) | instid1(VALU_DEP_3)
	v_lshl_add_u32 v180, 0x100000, v179, -1
	v_lshrrev_b32_e32 v181, v179, v178
	v_lshlrev_b32_e64 v183, v179, 0x80000
	s_delay_alu instid0(VALU_DEP_4) | instskip(NEXT) | instid1(VALU_DEP_4)
	v_add_nc_u32_e32 v179, v179, v130
	v_and_b32_e32 v178, v180, v178
	s_delay_alu instid0(VALU_DEP_4) | instskip(NEXT) | instid1(VALU_DEP_2)
	v_bfe_u32 v182, v181, 20, 1
	v_cmp_eq_u32_e64 s7, v178, v183
	s_delay_alu instid0(VALU_DEP_2) | instskip(NEXT) | instid1(VALU_DEP_1)
	v_add_nc_u32_e32 v180, -1, v182
	v_cndmask_b32_e64 v178, 0, v180, s7
	v_lshrrev_b32_e32 v180, 23, v181
	s_mov_b32 s7, exec_lo
	s_delay_alu instid0(VALU_DEP_2) | instskip(NEXT) | instid1(VALU_DEP_2)
	v_add_nc_u32_e32 v178, v178, v181
	v_xor_b32_e32 v180, 1, v180
	s_delay_alu instid0(VALU_DEP_2) | instskip(NEXT) | instid1(VALU_DEP_1)
	v_and_b32_e32 v130, 0xfffff, v178
	v_add_nc_u32_e32 v178, v130, v181
                                        ; implicit-def: $vgpr130
	s_delay_alu instid0(VALU_DEP_3)
	v_cmpx_ne_u32_e64 v179, v180
	s_xor_b32 s7, exec_lo, s7
; %bb.8827:                             ;   in Loop: Header=BB6_8134 Depth=2
	s_delay_alu instid0(VALU_DEP_2) | instskip(SKIP_2) | instid1(VALU_DEP_2)
	v_cmp_lt_u32_e32 vcc_lo, 0xffffff, v178
	v_sub_nc_u32_e32 v130, v179, v180
	v_cndmask_b32_e64 v179, 0, 1, vcc_lo
	v_add_co_ci_u32_e32 v130, vcc_lo, 0, v130, vcc_lo
	s_delay_alu instid0(VALU_DEP_2)
	v_lshrrev_b32_e32 v178, v179, v178
; %bb.8828:                             ;   in Loop: Header=BB6_8134 Depth=2
	s_and_not1_saveexec_b32 s7, s7
; %bb.8829:                             ;   in Loop: Header=BB6_8134 Depth=2
	s_delay_alu instid0(VALU_DEP_1)
	v_bfe_u32 v130, v178, 23, 1
; %bb.8830:                             ;   in Loop: Header=BB6_8134 Depth=2
	s_or_b32 exec_lo, exec_lo, s7
	v_lshrrev_b32_e32 v178, 20, v178
	s_delay_alu instid0(VALU_DEP_2) | instskip(SKIP_2) | instid1(VALU_DEP_2)
	v_cmp_gt_i32_e32 vcc_lo, 16, v130
	v_lshrrev_b32_e32 v177, 24, v177
	v_min_i32_e32 v179, 15, v130
	v_dual_cndmask_b32 v178, 7, v178 :: v_dual_and_b32 v177, 0x80, v177
	s_delay_alu instid0(VALU_DEP_1) | instskip(SKIP_1) | instid1(VALU_DEP_2)
	v_or_b32_e32 v130, v130, v178
	v_and_b32_e32 v180, 7, v178
	v_cmp_ne_u32_e32 vcc_lo, 0, v130
	v_lshlrev_b32_e32 v179, 3, v179
	s_delay_alu instid0(VALU_DEP_1) | instskip(NEXT) | instid1(VALU_DEP_1)
	v_or3_b32 v177, v179, v177, v180
	v_cndmask_b32_e32 v130, 0, v177, vcc_lo
.LBB6_8831:                             ;   in Loop: Header=BB6_8134 Depth=2
	s_or_b32 exec_lo, exec_lo, s24
.LBB6_8832:                             ;   in Loop: Header=BB6_8134 Depth=2
	s_delay_alu instid0(SALU_CYCLE_1) | instskip(SKIP_3) | instid1(VALU_DEP_1)
	s_or_b32 exec_lo, exec_lo, s23
	v_and_b32_e32 v178, 0xff, v128
	s_mov_b32 s7, 0
	s_mov_b32 s24, exec_lo
                                        ; implicit-def: $sgpr23
	v_cmpx_lt_i16_e64 0x7f, v178
	s_xor_b32 s24, exec_lo, s24
	s_cbranch_execnz .LBB6_9321
; %bb.8833:                             ;   in Loop: Header=BB6_8134 Depth=2
	s_or_saveexec_b32 s24, s24
	v_mov_b32_e32 v177, s23
	s_xor_b32 exec_lo, exec_lo, s24
	s_cbranch_execnz .LBB6_9324
.LBB6_8834:                             ;   in Loop: Header=BB6_8134 Depth=2
	s_or_b32 exec_lo, exec_lo, s24
	s_and_saveexec_b32 s23, s7
	s_cbranch_execz .LBB6_8836
.LBB6_8835:                             ;   in Loop: Header=BB6_8134 Depth=2
	v_lshrrev_b16 v180, 3, v128
	s_delay_alu instid0(VALU_DEP_1) | instskip(NEXT) | instid1(VALU_DEP_1)
	v_and_b32_e32 v180, 15, v180
	v_cmp_eq_u32_e32 vcc_lo, 0, v180
	v_and_b32_e32 v177, 7, v128
	s_delay_alu instid0(VALU_DEP_1) | instskip(NEXT) | instid1(VALU_DEP_1)
	v_clz_i32_u32_e32 v178, v177
	v_min_u32_e32 v178, 32, v178
	s_delay_alu instid0(VALU_DEP_1) | instskip(SKIP_1) | instid1(VALU_DEP_1)
	v_subrev_nc_u32_e32 v179, 28, v178
	v_sub_nc_u32_e32 v178, 29, v178
	v_dual_cndmask_b32 v178, v180, v178 :: v_dual_lshlrev_b32 v179, v179, v128
	v_lshlrev_b32_e32 v128, 24, v128
	s_delay_alu instid0(VALU_DEP_2) | instskip(NEXT) | instid1(VALU_DEP_3)
	v_and_b32_e32 v179, 7, v179
	v_lshl_add_u32 v178, v178, 23, 0x3b800000
	s_delay_alu instid0(VALU_DEP_2) | instskip(NEXT) | instid1(VALU_DEP_1)
	v_dual_cndmask_b32 v177, v177, v179 :: v_dual_and_b32 v128, 0x80000000, v128
	v_lshlrev_b32_e32 v177, 20, v177
	s_delay_alu instid0(VALU_DEP_1)
	v_or3_b32 v177, v128, v178, v177
.LBB6_8836:                             ;   in Loop: Header=BB6_8134 Depth=2
	s_or_b32 exec_lo, exec_lo, s23
	s_waitcnt vmcnt(12) lgkmcnt(12)
	v_and_b32_e32 v178, 0xff, v176
	s_mov_b32 s7, 0
	s_mov_b32 s24, exec_lo
                                        ; implicit-def: $sgpr23
	s_delay_alu instid0(VALU_DEP_1)
	v_cmpx_lt_i16_e64 0x7f, v178
	s_xor_b32 s24, exec_lo, s24
	s_cbranch_execnz .LBB6_9325
; %bb.8837:                             ;   in Loop: Header=BB6_8134 Depth=2
	s_or_saveexec_b32 s24, s24
	v_mov_b32_e32 v128, s23
	s_xor_b32 exec_lo, exec_lo, s24
	s_cbranch_execnz .LBB6_9328
.LBB6_8838:                             ;   in Loop: Header=BB6_8134 Depth=2
	s_or_b32 exec_lo, exec_lo, s24
	s_and_saveexec_b32 s23, s7
	s_cbranch_execz .LBB6_8840
.LBB6_8839:                             ;   in Loop: Header=BB6_8134 Depth=2
	v_and_b32_e32 v128, 7, v176
	v_lshrrev_b16 v180, 3, v176
	s_delay_alu instid0(VALU_DEP_2) | instskip(NEXT) | instid1(VALU_DEP_2)
	v_clz_i32_u32_e32 v178, v128
	v_and_b32_e32 v180, 15, v180
	s_delay_alu instid0(VALU_DEP_2) | instskip(NEXT) | instid1(VALU_DEP_2)
	v_min_u32_e32 v178, 32, v178
	v_cmp_eq_u32_e32 vcc_lo, 0, v180
	s_delay_alu instid0(VALU_DEP_2) | instskip(SKIP_1) | instid1(VALU_DEP_1)
	v_subrev_nc_u32_e32 v179, 28, v178
	v_sub_nc_u32_e32 v178, 29, v178
	v_dual_cndmask_b32 v178, v180, v178 :: v_dual_lshlrev_b32 v179, v179, v176
	v_lshlrev_b32_e32 v176, 24, v176
	s_delay_alu instid0(VALU_DEP_2) | instskip(NEXT) | instid1(VALU_DEP_3)
	v_and_b32_e32 v179, 7, v179
	v_lshl_add_u32 v178, v178, 23, 0x3b800000
	s_delay_alu instid0(VALU_DEP_3) | instskip(NEXT) | instid1(VALU_DEP_3)
	v_and_b32_e32 v176, 0x80000000, v176
	v_cndmask_b32_e32 v128, v128, v179, vcc_lo
	s_delay_alu instid0(VALU_DEP_1) | instskip(NEXT) | instid1(VALU_DEP_1)
	v_lshlrev_b32_e32 v128, 20, v128
	v_or3_b32 v128, v176, v178, v128
.LBB6_8840:                             ;   in Loop: Header=BB6_8134 Depth=2
	s_or_b32 exec_lo, exec_lo, s23
	s_delay_alu instid0(VALU_DEP_1) | instskip(NEXT) | instid1(VALU_DEP_1)
	v_add_f32_e32 v176, v177, v128
	v_and_b32_e32 v128, 0x7f800000, v176
	s_delay_alu instid0(VALU_DEP_1)
	v_cmp_ne_u32_e32 vcc_lo, 0x7f800000, v128
	v_mov_b32_e32 v128, 0x80
	s_and_saveexec_b32 s23, vcc_lo
	s_cbranch_execz .LBB6_8848
; %bb.8841:                             ;   in Loop: Header=BB6_8134 Depth=2
	v_mov_b32_e32 v128, 0
	s_mov_b32 s24, exec_lo
	v_cmpx_ne_u32_e32 0, v176
	s_cbranch_execz .LBB6_8847
; %bb.8842:                             ;   in Loop: Header=BB6_8134 Depth=2
	v_bfe_u32 v128, v176, 23, 8
	s_delay_alu instid0(VALU_DEP_1) | instskip(SKIP_1) | instid1(VALU_DEP_2)
	v_sub_nc_u32_e32 v178, 0x78, v128
	v_cmp_gt_u32_e32 vcc_lo, 0x79, v128
	v_dual_cndmask_b32 v178, 0, v178 :: v_dual_and_b32 v177, 0x7fffff, v176
	s_delay_alu instid0(VALU_DEP_1) | instskip(SKIP_2) | instid1(VALU_DEP_4)
	v_or_b32_e32 v179, 0x800000, v177
	v_cmp_eq_u32_e32 vcc_lo, 0, v128
	v_add_nc_u32_e32 v128, 0xffffff89, v128
	v_cndmask_b32_e64 v178, v178, 0x77, vcc_lo
	s_delay_alu instid0(VALU_DEP_4) | instskip(NEXT) | instid1(VALU_DEP_3)
	v_cndmask_b32_e32 v177, v179, v177, vcc_lo
	v_cndmask_b32_e64 v128, v128, 0xffffff8a, vcc_lo
	s_delay_alu instid0(VALU_DEP_3) | instskip(NEXT) | instid1(VALU_DEP_3)
	v_lshl_add_u32 v179, 0x100000, v178, -1
	v_lshrrev_b32_e32 v180, v178, v177
	v_lshlrev_b32_e64 v182, v178, 0x80000
	s_delay_alu instid0(VALU_DEP_4) | instskip(NEXT) | instid1(VALU_DEP_4)
	v_add_nc_u32_e32 v178, v178, v128
	v_and_b32_e32 v177, v179, v177
	s_delay_alu instid0(VALU_DEP_4) | instskip(NEXT) | instid1(VALU_DEP_2)
	v_bfe_u32 v181, v180, 20, 1
	v_cmp_eq_u32_e64 s7, v177, v182
	s_delay_alu instid0(VALU_DEP_2) | instskip(NEXT) | instid1(VALU_DEP_1)
	v_add_nc_u32_e32 v179, -1, v181
	v_cndmask_b32_e64 v177, 0, v179, s7
	v_lshrrev_b32_e32 v179, 23, v180
	s_mov_b32 s7, exec_lo
	s_delay_alu instid0(VALU_DEP_2) | instskip(NEXT) | instid1(VALU_DEP_2)
	v_add_nc_u32_e32 v177, v177, v180
	v_xor_b32_e32 v179, 1, v179
	s_delay_alu instid0(VALU_DEP_2) | instskip(NEXT) | instid1(VALU_DEP_1)
	v_and_b32_e32 v128, 0xfffff, v177
	v_add_nc_u32_e32 v177, v128, v180
                                        ; implicit-def: $vgpr128
	s_delay_alu instid0(VALU_DEP_3)
	v_cmpx_ne_u32_e64 v178, v179
	s_xor_b32 s7, exec_lo, s7
; %bb.8843:                             ;   in Loop: Header=BB6_8134 Depth=2
	s_delay_alu instid0(VALU_DEP_2) | instskip(SKIP_2) | instid1(VALU_DEP_2)
	v_cmp_lt_u32_e32 vcc_lo, 0xffffff, v177
	v_sub_nc_u32_e32 v128, v178, v179
	v_cndmask_b32_e64 v178, 0, 1, vcc_lo
	v_add_co_ci_u32_e32 v128, vcc_lo, 0, v128, vcc_lo
	s_delay_alu instid0(VALU_DEP_2)
	v_lshrrev_b32_e32 v177, v178, v177
; %bb.8844:                             ;   in Loop: Header=BB6_8134 Depth=2
	s_and_not1_saveexec_b32 s7, s7
; %bb.8845:                             ;   in Loop: Header=BB6_8134 Depth=2
	s_delay_alu instid0(VALU_DEP_1)
	v_bfe_u32 v128, v177, 23, 1
; %bb.8846:                             ;   in Loop: Header=BB6_8134 Depth=2
	s_or_b32 exec_lo, exec_lo, s7
	v_lshrrev_b32_e32 v177, 20, v177
	s_delay_alu instid0(VALU_DEP_2) | instskip(SKIP_2) | instid1(VALU_DEP_2)
	v_cmp_gt_i32_e32 vcc_lo, 16, v128
	v_lshrrev_b32_e32 v176, 24, v176
	v_min_i32_e32 v178, 15, v128
	v_dual_cndmask_b32 v177, 7, v177 :: v_dual_and_b32 v176, 0x80, v176
	s_delay_alu instid0(VALU_DEP_2) | instskip(NEXT) | instid1(VALU_DEP_2)
	v_lshlrev_b32_e32 v178, 3, v178
	v_or_b32_e32 v128, v128, v177
	s_delay_alu instid0(VALU_DEP_1) | instskip(SKIP_1) | instid1(VALU_DEP_1)
	v_cmp_ne_u32_e32 vcc_lo, 0, v128
	v_and_b32_e32 v179, 7, v177
	v_or3_b32 v176, v178, v176, v179
	s_delay_alu instid0(VALU_DEP_1)
	v_cndmask_b32_e32 v128, 0, v176, vcc_lo
.LBB6_8847:                             ;   in Loop: Header=BB6_8134 Depth=2
	s_or_b32 exec_lo, exec_lo, s24
.LBB6_8848:                             ;   in Loop: Header=BB6_8134 Depth=2
	s_delay_alu instid0(SALU_CYCLE_1) | instskip(SKIP_3) | instid1(VALU_DEP_1)
	s_or_b32 exec_lo, exec_lo, s23
	v_and_b32_e32 v177, 0xff, v119
	s_mov_b32 s7, 0
	s_mov_b32 s24, exec_lo
                                        ; implicit-def: $sgpr23
	v_cmpx_lt_i16_e64 0x7f, v177
	s_xor_b32 s24, exec_lo, s24
	s_cbranch_execnz .LBB6_9329
; %bb.8849:                             ;   in Loop: Header=BB6_8134 Depth=2
	s_or_saveexec_b32 s24, s24
	v_mov_b32_e32 v176, s23
	s_xor_b32 exec_lo, exec_lo, s24
	s_cbranch_execnz .LBB6_9332
.LBB6_8850:                             ;   in Loop: Header=BB6_8134 Depth=2
	s_or_b32 exec_lo, exec_lo, s24
	s_and_saveexec_b32 s23, s7
	s_cbranch_execz .LBB6_8852
.LBB6_8851:                             ;   in Loop: Header=BB6_8134 Depth=2
	v_lshrrev_b16 v179, 3, v119
	s_delay_alu instid0(VALU_DEP_1) | instskip(NEXT) | instid1(VALU_DEP_1)
	v_and_b32_e32 v179, 15, v179
	v_cmp_eq_u32_e32 vcc_lo, 0, v179
	v_and_b32_e32 v176, 7, v119
	s_delay_alu instid0(VALU_DEP_1) | instskip(NEXT) | instid1(VALU_DEP_1)
	v_clz_i32_u32_e32 v177, v176
	v_min_u32_e32 v177, 32, v177
	s_delay_alu instid0(VALU_DEP_1) | instskip(SKIP_1) | instid1(VALU_DEP_1)
	v_subrev_nc_u32_e32 v178, 28, v177
	v_sub_nc_u32_e32 v177, 29, v177
	v_dual_cndmask_b32 v177, v179, v177 :: v_dual_lshlrev_b32 v178, v178, v119
	v_lshlrev_b32_e32 v119, 24, v119
	s_delay_alu instid0(VALU_DEP_2) | instskip(NEXT) | instid1(VALU_DEP_3)
	v_and_b32_e32 v178, 7, v178
	v_lshl_add_u32 v177, v177, 23, 0x3b800000
	s_delay_alu instid0(VALU_DEP_2) | instskip(NEXT) | instid1(VALU_DEP_1)
	v_dual_cndmask_b32 v176, v176, v178 :: v_dual_and_b32 v119, 0x80000000, v119
	v_lshlrev_b32_e32 v176, 20, v176
	s_delay_alu instid0(VALU_DEP_1)
	v_or3_b32 v176, v119, v177, v176
.LBB6_8852:                             ;   in Loop: Header=BB6_8134 Depth=2
	s_or_b32 exec_lo, exec_lo, s23
	s_waitcnt vmcnt(11) lgkmcnt(11)
	v_and_b32_e32 v177, 0xff, v167
	s_mov_b32 s7, 0
	s_mov_b32 s24, exec_lo
                                        ; implicit-def: $sgpr23
	s_delay_alu instid0(VALU_DEP_1)
	v_cmpx_lt_i16_e64 0x7f, v177
	s_xor_b32 s24, exec_lo, s24
	s_cbranch_execnz .LBB6_9333
; %bb.8853:                             ;   in Loop: Header=BB6_8134 Depth=2
	s_or_saveexec_b32 s24, s24
	v_mov_b32_e32 v119, s23
	s_xor_b32 exec_lo, exec_lo, s24
	s_cbranch_execnz .LBB6_9336
.LBB6_8854:                             ;   in Loop: Header=BB6_8134 Depth=2
	s_or_b32 exec_lo, exec_lo, s24
	s_and_saveexec_b32 s23, s7
	s_cbranch_execz .LBB6_8856
.LBB6_8855:                             ;   in Loop: Header=BB6_8134 Depth=2
	v_and_b32_e32 v119, 7, v167
	v_lshrrev_b16 v179, 3, v167
	s_delay_alu instid0(VALU_DEP_2) | instskip(NEXT) | instid1(VALU_DEP_2)
	v_clz_i32_u32_e32 v177, v119
	v_and_b32_e32 v179, 15, v179
	s_delay_alu instid0(VALU_DEP_2) | instskip(NEXT) | instid1(VALU_DEP_2)
	v_min_u32_e32 v177, 32, v177
	v_cmp_eq_u32_e32 vcc_lo, 0, v179
	s_delay_alu instid0(VALU_DEP_2) | instskip(SKIP_1) | instid1(VALU_DEP_1)
	v_subrev_nc_u32_e32 v178, 28, v177
	v_sub_nc_u32_e32 v177, 29, v177
	v_dual_cndmask_b32 v177, v179, v177 :: v_dual_lshlrev_b32 v178, v178, v167
	v_lshlrev_b32_e32 v167, 24, v167
	s_delay_alu instid0(VALU_DEP_2) | instskip(NEXT) | instid1(VALU_DEP_3)
	v_and_b32_e32 v178, 7, v178
	v_lshl_add_u32 v177, v177, 23, 0x3b800000
	s_delay_alu instid0(VALU_DEP_3) | instskip(NEXT) | instid1(VALU_DEP_3)
	v_and_b32_e32 v167, 0x80000000, v167
	v_cndmask_b32_e32 v119, v119, v178, vcc_lo
	s_delay_alu instid0(VALU_DEP_1) | instskip(NEXT) | instid1(VALU_DEP_1)
	v_lshlrev_b32_e32 v119, 20, v119
	v_or3_b32 v119, v167, v177, v119
.LBB6_8856:                             ;   in Loop: Header=BB6_8134 Depth=2
	s_or_b32 exec_lo, exec_lo, s23
	s_delay_alu instid0(VALU_DEP_1) | instskip(NEXT) | instid1(VALU_DEP_1)
	v_add_f32_e32 v167, v176, v119
	v_and_b32_e32 v119, 0x7f800000, v167
	s_delay_alu instid0(VALU_DEP_1)
	v_cmp_ne_u32_e32 vcc_lo, 0x7f800000, v119
	v_mov_b32_e32 v119, 0x80
	s_and_saveexec_b32 s23, vcc_lo
	s_cbranch_execz .LBB6_8864
; %bb.8857:                             ;   in Loop: Header=BB6_8134 Depth=2
	v_mov_b32_e32 v119, 0
	s_mov_b32 s24, exec_lo
	v_cmpx_ne_u32_e32 0, v167
	s_cbranch_execz .LBB6_8863
; %bb.8858:                             ;   in Loop: Header=BB6_8134 Depth=2
	v_bfe_u32 v119, v167, 23, 8
	s_delay_alu instid0(VALU_DEP_1) | instskip(SKIP_1) | instid1(VALU_DEP_2)
	v_sub_nc_u32_e32 v177, 0x78, v119
	v_cmp_gt_u32_e32 vcc_lo, 0x79, v119
	v_dual_cndmask_b32 v177, 0, v177 :: v_dual_and_b32 v176, 0x7fffff, v167
	s_delay_alu instid0(VALU_DEP_1) | instskip(SKIP_2) | instid1(VALU_DEP_4)
	v_or_b32_e32 v178, 0x800000, v176
	v_cmp_eq_u32_e32 vcc_lo, 0, v119
	v_add_nc_u32_e32 v119, 0xffffff89, v119
	v_cndmask_b32_e64 v177, v177, 0x77, vcc_lo
	s_delay_alu instid0(VALU_DEP_4) | instskip(NEXT) | instid1(VALU_DEP_3)
	v_cndmask_b32_e32 v176, v178, v176, vcc_lo
	v_cndmask_b32_e64 v119, v119, 0xffffff8a, vcc_lo
	s_delay_alu instid0(VALU_DEP_3) | instskip(NEXT) | instid1(VALU_DEP_3)
	v_lshl_add_u32 v178, 0x100000, v177, -1
	v_lshrrev_b32_e32 v179, v177, v176
	v_lshlrev_b32_e64 v181, v177, 0x80000
	s_delay_alu instid0(VALU_DEP_4) | instskip(NEXT) | instid1(VALU_DEP_4)
	v_add_nc_u32_e32 v177, v177, v119
	v_and_b32_e32 v176, v178, v176
	s_delay_alu instid0(VALU_DEP_4) | instskip(NEXT) | instid1(VALU_DEP_2)
	v_bfe_u32 v180, v179, 20, 1
	v_cmp_eq_u32_e64 s7, v176, v181
	s_delay_alu instid0(VALU_DEP_2) | instskip(NEXT) | instid1(VALU_DEP_1)
	v_add_nc_u32_e32 v178, -1, v180
	v_cndmask_b32_e64 v176, 0, v178, s7
	v_lshrrev_b32_e32 v178, 23, v179
	s_mov_b32 s7, exec_lo
	s_delay_alu instid0(VALU_DEP_2) | instskip(NEXT) | instid1(VALU_DEP_2)
	v_add_nc_u32_e32 v176, v176, v179
	v_xor_b32_e32 v178, 1, v178
	s_delay_alu instid0(VALU_DEP_2) | instskip(NEXT) | instid1(VALU_DEP_1)
	v_and_b32_e32 v119, 0xfffff, v176
	v_add_nc_u32_e32 v176, v119, v179
                                        ; implicit-def: $vgpr119
	s_delay_alu instid0(VALU_DEP_3)
	v_cmpx_ne_u32_e64 v177, v178
	s_xor_b32 s7, exec_lo, s7
; %bb.8859:                             ;   in Loop: Header=BB6_8134 Depth=2
	s_delay_alu instid0(VALU_DEP_2) | instskip(SKIP_2) | instid1(VALU_DEP_2)
	v_cmp_lt_u32_e32 vcc_lo, 0xffffff, v176
	v_sub_nc_u32_e32 v119, v177, v178
	v_cndmask_b32_e64 v177, 0, 1, vcc_lo
	v_add_co_ci_u32_e32 v119, vcc_lo, 0, v119, vcc_lo
	s_delay_alu instid0(VALU_DEP_2)
	v_lshrrev_b32_e32 v176, v177, v176
; %bb.8860:                             ;   in Loop: Header=BB6_8134 Depth=2
	s_and_not1_saveexec_b32 s7, s7
; %bb.8861:                             ;   in Loop: Header=BB6_8134 Depth=2
	s_delay_alu instid0(VALU_DEP_1)
	v_bfe_u32 v119, v176, 23, 1
; %bb.8862:                             ;   in Loop: Header=BB6_8134 Depth=2
	s_or_b32 exec_lo, exec_lo, s7
	v_lshrrev_b32_e32 v176, 20, v176
	s_delay_alu instid0(VALU_DEP_2) | instskip(SKIP_2) | instid1(VALU_DEP_2)
	v_cmp_gt_i32_e32 vcc_lo, 16, v119
	v_lshrrev_b32_e32 v167, 24, v167
	v_min_i32_e32 v177, 15, v119
	v_dual_cndmask_b32 v176, 7, v176 :: v_dual_and_b32 v167, 0x80, v167
	s_delay_alu instid0(VALU_DEP_2) | instskip(NEXT) | instid1(VALU_DEP_2)
	v_lshlrev_b32_e32 v177, 3, v177
	v_or_b32_e32 v119, v119, v176
	s_delay_alu instid0(VALU_DEP_1) | instskip(SKIP_1) | instid1(VALU_DEP_1)
	v_cmp_ne_u32_e32 vcc_lo, 0, v119
	v_and_b32_e32 v178, 7, v176
	v_or3_b32 v167, v177, v167, v178
	s_delay_alu instid0(VALU_DEP_1)
	v_cndmask_b32_e32 v119, 0, v167, vcc_lo
.LBB6_8863:                             ;   in Loop: Header=BB6_8134 Depth=2
	s_or_b32 exec_lo, exec_lo, s24
.LBB6_8864:                             ;   in Loop: Header=BB6_8134 Depth=2
	s_delay_alu instid0(SALU_CYCLE_1) | instskip(SKIP_3) | instid1(VALU_DEP_1)
	s_or_b32 exec_lo, exec_lo, s23
	v_and_b32_e32 v176, 0xff, v117
	s_mov_b32 s7, 0
	s_mov_b32 s24, exec_lo
                                        ; implicit-def: $sgpr23
	v_cmpx_lt_i16_e64 0x7f, v176
	s_xor_b32 s24, exec_lo, s24
	s_cbranch_execnz .LBB6_9337
; %bb.8865:                             ;   in Loop: Header=BB6_8134 Depth=2
	s_or_saveexec_b32 s24, s24
	v_mov_b32_e32 v167, s23
	s_xor_b32 exec_lo, exec_lo, s24
	s_cbranch_execnz .LBB6_9340
.LBB6_8866:                             ;   in Loop: Header=BB6_8134 Depth=2
	s_or_b32 exec_lo, exec_lo, s24
	s_and_saveexec_b32 s23, s7
	s_cbranch_execz .LBB6_8868
.LBB6_8867:                             ;   in Loop: Header=BB6_8134 Depth=2
	v_lshrrev_b16 v178, 3, v117
	s_delay_alu instid0(VALU_DEP_1) | instskip(NEXT) | instid1(VALU_DEP_1)
	v_and_b32_e32 v178, 15, v178
	v_cmp_eq_u32_e32 vcc_lo, 0, v178
	v_and_b32_e32 v167, 7, v117
	s_delay_alu instid0(VALU_DEP_1) | instskip(NEXT) | instid1(VALU_DEP_1)
	v_clz_i32_u32_e32 v176, v167
	v_min_u32_e32 v176, 32, v176
	s_delay_alu instid0(VALU_DEP_1) | instskip(SKIP_1) | instid1(VALU_DEP_1)
	v_subrev_nc_u32_e32 v177, 28, v176
	v_sub_nc_u32_e32 v176, 29, v176
	v_dual_cndmask_b32 v176, v178, v176 :: v_dual_lshlrev_b32 v177, v177, v117
	v_lshlrev_b32_e32 v117, 24, v117
	s_delay_alu instid0(VALU_DEP_2) | instskip(NEXT) | instid1(VALU_DEP_3)
	v_and_b32_e32 v177, 7, v177
	v_lshl_add_u32 v176, v176, 23, 0x3b800000
	s_delay_alu instid0(VALU_DEP_3) | instskip(NEXT) | instid1(VALU_DEP_3)
	v_and_b32_e32 v117, 0x80000000, v117
	v_cndmask_b32_e32 v167, v167, v177, vcc_lo
	s_delay_alu instid0(VALU_DEP_1) | instskip(NEXT) | instid1(VALU_DEP_1)
	v_lshlrev_b32_e32 v167, 20, v167
	v_or3_b32 v167, v117, v176, v167
.LBB6_8868:                             ;   in Loop: Header=BB6_8134 Depth=2
	s_or_b32 exec_lo, exec_lo, s23
	s_waitcnt vmcnt(10) lgkmcnt(10)
	v_and_b32_e32 v176, 0xff, v166
	s_mov_b32 s7, 0
	s_mov_b32 s24, exec_lo
                                        ; implicit-def: $sgpr23
	s_delay_alu instid0(VALU_DEP_1)
	v_cmpx_lt_i16_e64 0x7f, v176
	s_xor_b32 s24, exec_lo, s24
	s_cbranch_execnz .LBB6_9341
; %bb.8869:                             ;   in Loop: Header=BB6_8134 Depth=2
	s_or_saveexec_b32 s24, s24
	v_mov_b32_e32 v117, s23
	s_xor_b32 exec_lo, exec_lo, s24
	s_cbranch_execnz .LBB6_9344
.LBB6_8870:                             ;   in Loop: Header=BB6_8134 Depth=2
	s_or_b32 exec_lo, exec_lo, s24
	s_and_saveexec_b32 s23, s7
	s_cbranch_execz .LBB6_8872
.LBB6_8871:                             ;   in Loop: Header=BB6_8134 Depth=2
	v_lshrrev_b16 v178, 3, v166
	s_delay_alu instid0(VALU_DEP_1) | instskip(NEXT) | instid1(VALU_DEP_1)
	v_and_b32_e32 v178, 15, v178
	v_cmp_eq_u32_e32 vcc_lo, 0, v178
	v_and_b32_e32 v117, 7, v166
	s_delay_alu instid0(VALU_DEP_1) | instskip(NEXT) | instid1(VALU_DEP_1)
	v_clz_i32_u32_e32 v176, v117
	v_min_u32_e32 v176, 32, v176
	s_delay_alu instid0(VALU_DEP_1) | instskip(SKIP_1) | instid1(VALU_DEP_1)
	v_subrev_nc_u32_e32 v177, 28, v176
	v_sub_nc_u32_e32 v176, 29, v176
	v_dual_cndmask_b32 v176, v178, v176 :: v_dual_lshlrev_b32 v177, v177, v166
	v_lshlrev_b32_e32 v166, 24, v166
	s_delay_alu instid0(VALU_DEP_2) | instskip(NEXT) | instid1(VALU_DEP_3)
	v_and_b32_e32 v177, 7, v177
	v_lshl_add_u32 v176, v176, 23, 0x3b800000
	s_delay_alu instid0(VALU_DEP_2) | instskip(NEXT) | instid1(VALU_DEP_1)
	v_dual_cndmask_b32 v117, v117, v177 :: v_dual_and_b32 v166, 0x80000000, v166
	v_lshlrev_b32_e32 v117, 20, v117
	s_delay_alu instid0(VALU_DEP_1)
	v_or3_b32 v117, v166, v176, v117
.LBB6_8872:                             ;   in Loop: Header=BB6_8134 Depth=2
	s_or_b32 exec_lo, exec_lo, s23
	s_delay_alu instid0(VALU_DEP_1) | instskip(NEXT) | instid1(VALU_DEP_1)
	v_add_f32_e32 v166, v167, v117
	v_and_b32_e32 v117, 0x7f800000, v166
	s_delay_alu instid0(VALU_DEP_1)
	v_cmp_ne_u32_e32 vcc_lo, 0x7f800000, v117
	v_mov_b32_e32 v117, 0x80
	s_and_saveexec_b32 s23, vcc_lo
	s_cbranch_execz .LBB6_8880
; %bb.8873:                             ;   in Loop: Header=BB6_8134 Depth=2
	v_mov_b32_e32 v117, 0
	s_mov_b32 s24, exec_lo
	v_cmpx_ne_u32_e32 0, v166
	s_cbranch_execz .LBB6_8879
; %bb.8874:                             ;   in Loop: Header=BB6_8134 Depth=2
	v_bfe_u32 v117, v166, 23, 8
	s_delay_alu instid0(VALU_DEP_1) | instskip(SKIP_1) | instid1(VALU_DEP_2)
	v_sub_nc_u32_e32 v176, 0x78, v117
	v_cmp_gt_u32_e32 vcc_lo, 0x79, v117
	v_dual_cndmask_b32 v176, 0, v176 :: v_dual_and_b32 v167, 0x7fffff, v166
	s_delay_alu instid0(VALU_DEP_1) | instskip(SKIP_2) | instid1(VALU_DEP_4)
	v_or_b32_e32 v177, 0x800000, v167
	v_cmp_eq_u32_e32 vcc_lo, 0, v117
	v_add_nc_u32_e32 v117, 0xffffff89, v117
	v_cndmask_b32_e64 v176, v176, 0x77, vcc_lo
	s_delay_alu instid0(VALU_DEP_2) | instskip(SKIP_1) | instid1(VALU_DEP_3)
	v_cndmask_b32_e64 v117, v117, 0xffffff8a, vcc_lo
	v_cndmask_b32_e32 v167, v177, v167, vcc_lo
	v_lshl_add_u32 v177, 0x100000, v176, -1
	v_lshlrev_b32_e64 v180, v176, 0x80000
	s_delay_alu instid0(VALU_DEP_3) | instskip(SKIP_1) | instid1(VALU_DEP_4)
	v_lshrrev_b32_e32 v178, v176, v167
	v_add_nc_u32_e32 v176, v176, v117
	v_and_b32_e32 v167, v177, v167
	s_delay_alu instid0(VALU_DEP_3) | instskip(NEXT) | instid1(VALU_DEP_2)
	v_bfe_u32 v179, v178, 20, 1
	v_cmp_eq_u32_e64 s7, v167, v180
	s_delay_alu instid0(VALU_DEP_2) | instskip(NEXT) | instid1(VALU_DEP_1)
	v_add_nc_u32_e32 v177, -1, v179
	v_cndmask_b32_e64 v167, 0, v177, s7
	v_lshrrev_b32_e32 v177, 23, v178
	s_mov_b32 s7, exec_lo
	s_delay_alu instid0(VALU_DEP_2) | instskip(NEXT) | instid1(VALU_DEP_2)
	v_add_nc_u32_e32 v167, v167, v178
	v_xor_b32_e32 v177, 1, v177
	s_delay_alu instid0(VALU_DEP_2) | instskip(NEXT) | instid1(VALU_DEP_1)
	v_and_b32_e32 v117, 0xfffff, v167
	v_add_nc_u32_e32 v167, v117, v178
                                        ; implicit-def: $vgpr117
	s_delay_alu instid0(VALU_DEP_3)
	v_cmpx_ne_u32_e64 v176, v177
	s_xor_b32 s7, exec_lo, s7
; %bb.8875:                             ;   in Loop: Header=BB6_8134 Depth=2
	s_delay_alu instid0(VALU_DEP_2) | instskip(SKIP_2) | instid1(VALU_DEP_2)
	v_cmp_lt_u32_e32 vcc_lo, 0xffffff, v167
	v_sub_nc_u32_e32 v117, v176, v177
	v_cndmask_b32_e64 v176, 0, 1, vcc_lo
	v_add_co_ci_u32_e32 v117, vcc_lo, 0, v117, vcc_lo
	s_delay_alu instid0(VALU_DEP_2)
	v_lshrrev_b32_e32 v167, v176, v167
; %bb.8876:                             ;   in Loop: Header=BB6_8134 Depth=2
	s_and_not1_saveexec_b32 s7, s7
; %bb.8877:                             ;   in Loop: Header=BB6_8134 Depth=2
	s_delay_alu instid0(VALU_DEP_1)
	v_bfe_u32 v117, v167, 23, 1
; %bb.8878:                             ;   in Loop: Header=BB6_8134 Depth=2
	s_or_b32 exec_lo, exec_lo, s7
	v_lshrrev_b32_e32 v167, 20, v167
	s_delay_alu instid0(VALU_DEP_2) | instskip(SKIP_2) | instid1(VALU_DEP_2)
	v_cmp_gt_i32_e32 vcc_lo, 16, v117
	v_lshrrev_b32_e32 v166, 24, v166
	v_min_i32_e32 v176, 15, v117
	v_dual_cndmask_b32 v167, 7, v167 :: v_dual_and_b32 v166, 0x80, v166
	s_delay_alu instid0(VALU_DEP_1) | instskip(SKIP_1) | instid1(VALU_DEP_2)
	v_or_b32_e32 v117, v117, v167
	v_and_b32_e32 v177, 7, v167
	v_cmp_ne_u32_e32 vcc_lo, 0, v117
	v_lshlrev_b32_e32 v176, 3, v176
	s_delay_alu instid0(VALU_DEP_1) | instskip(NEXT) | instid1(VALU_DEP_1)
	v_or3_b32 v166, v176, v166, v177
	v_cndmask_b32_e32 v117, 0, v166, vcc_lo
.LBB6_8879:                             ;   in Loop: Header=BB6_8134 Depth=2
	s_or_b32 exec_lo, exec_lo, s24
.LBB6_8880:                             ;   in Loop: Header=BB6_8134 Depth=2
	s_delay_alu instid0(SALU_CYCLE_1) | instskip(SKIP_3) | instid1(VALU_DEP_1)
	s_or_b32 exec_lo, exec_lo, s23
	v_and_b32_e32 v167, 0xff, v116
	s_mov_b32 s7, 0
	s_mov_b32 s24, exec_lo
                                        ; implicit-def: $sgpr23
	v_cmpx_lt_i16_e64 0x7f, v167
	s_xor_b32 s24, exec_lo, s24
	s_cbranch_execnz .LBB6_9345
; %bb.8881:                             ;   in Loop: Header=BB6_8134 Depth=2
	s_or_saveexec_b32 s24, s24
	v_mov_b32_e32 v166, s23
	s_xor_b32 exec_lo, exec_lo, s24
	s_cbranch_execnz .LBB6_9348
.LBB6_8882:                             ;   in Loop: Header=BB6_8134 Depth=2
	s_or_b32 exec_lo, exec_lo, s24
	s_and_saveexec_b32 s23, s7
	s_cbranch_execz .LBB6_8884
.LBB6_8883:                             ;   in Loop: Header=BB6_8134 Depth=2
	v_lshrrev_b16 v177, 3, v116
	s_delay_alu instid0(VALU_DEP_1) | instskip(NEXT) | instid1(VALU_DEP_1)
	v_and_b32_e32 v177, 15, v177
	v_cmp_eq_u32_e32 vcc_lo, 0, v177
	v_and_b32_e32 v166, 7, v116
	s_delay_alu instid0(VALU_DEP_1) | instskip(NEXT) | instid1(VALU_DEP_1)
	v_clz_i32_u32_e32 v167, v166
	v_min_u32_e32 v167, 32, v167
	s_delay_alu instid0(VALU_DEP_1) | instskip(SKIP_1) | instid1(VALU_DEP_1)
	v_subrev_nc_u32_e32 v176, 28, v167
	v_sub_nc_u32_e32 v167, 29, v167
	v_dual_cndmask_b32 v167, v177, v167 :: v_dual_lshlrev_b32 v176, v176, v116
	v_lshlrev_b32_e32 v116, 24, v116
	s_delay_alu instid0(VALU_DEP_2) | instskip(NEXT) | instid1(VALU_DEP_3)
	v_and_b32_e32 v176, 7, v176
	v_lshl_add_u32 v167, v167, 23, 0x3b800000
	s_delay_alu instid0(VALU_DEP_3) | instskip(NEXT) | instid1(VALU_DEP_3)
	v_and_b32_e32 v116, 0x80000000, v116
	v_cndmask_b32_e32 v166, v166, v176, vcc_lo
	s_delay_alu instid0(VALU_DEP_1) | instskip(NEXT) | instid1(VALU_DEP_1)
	v_lshlrev_b32_e32 v166, 20, v166
	v_or3_b32 v166, v116, v167, v166
.LBB6_8884:                             ;   in Loop: Header=BB6_8134 Depth=2
	s_or_b32 exec_lo, exec_lo, s23
	s_waitcnt vmcnt(9) lgkmcnt(9)
	v_and_b32_e32 v167, 0xff, v165
	s_mov_b32 s7, 0
	s_mov_b32 s24, exec_lo
                                        ; implicit-def: $sgpr23
	s_delay_alu instid0(VALU_DEP_1)
	v_cmpx_lt_i16_e64 0x7f, v167
	s_xor_b32 s24, exec_lo, s24
	s_cbranch_execnz .LBB6_9349
; %bb.8885:                             ;   in Loop: Header=BB6_8134 Depth=2
	s_or_saveexec_b32 s24, s24
	v_mov_b32_e32 v116, s23
	s_xor_b32 exec_lo, exec_lo, s24
	s_cbranch_execnz .LBB6_9352
.LBB6_8886:                             ;   in Loop: Header=BB6_8134 Depth=2
	s_or_b32 exec_lo, exec_lo, s24
	s_and_saveexec_b32 s23, s7
	s_cbranch_execz .LBB6_8888
.LBB6_8887:                             ;   in Loop: Header=BB6_8134 Depth=2
	v_lshrrev_b16 v177, 3, v165
	s_delay_alu instid0(VALU_DEP_1) | instskip(NEXT) | instid1(VALU_DEP_1)
	v_and_b32_e32 v177, 15, v177
	v_cmp_eq_u32_e32 vcc_lo, 0, v177
	v_and_b32_e32 v116, 7, v165
	s_delay_alu instid0(VALU_DEP_1) | instskip(NEXT) | instid1(VALU_DEP_1)
	v_clz_i32_u32_e32 v167, v116
	v_min_u32_e32 v167, 32, v167
	s_delay_alu instid0(VALU_DEP_1) | instskip(SKIP_1) | instid1(VALU_DEP_1)
	v_subrev_nc_u32_e32 v176, 28, v167
	v_sub_nc_u32_e32 v167, 29, v167
	v_dual_cndmask_b32 v167, v177, v167 :: v_dual_lshlrev_b32 v176, v176, v165
	v_lshlrev_b32_e32 v165, 24, v165
	s_delay_alu instid0(VALU_DEP_2) | instskip(NEXT) | instid1(VALU_DEP_3)
	v_and_b32_e32 v176, 7, v176
	v_lshl_add_u32 v167, v167, 23, 0x3b800000
	s_delay_alu instid0(VALU_DEP_2) | instskip(NEXT) | instid1(VALU_DEP_1)
	v_dual_cndmask_b32 v116, v116, v176 :: v_dual_and_b32 v165, 0x80000000, v165
	v_lshlrev_b32_e32 v116, 20, v116
	s_delay_alu instid0(VALU_DEP_1)
	v_or3_b32 v116, v165, v167, v116
.LBB6_8888:                             ;   in Loop: Header=BB6_8134 Depth=2
	s_or_b32 exec_lo, exec_lo, s23
	s_delay_alu instid0(VALU_DEP_1) | instskip(NEXT) | instid1(VALU_DEP_1)
	v_add_f32_e32 v165, v166, v116
	v_and_b32_e32 v116, 0x7f800000, v165
	s_delay_alu instid0(VALU_DEP_1)
	v_cmp_ne_u32_e32 vcc_lo, 0x7f800000, v116
	v_mov_b32_e32 v116, 0x80
	s_and_saveexec_b32 s23, vcc_lo
	s_cbranch_execz .LBB6_8896
; %bb.8889:                             ;   in Loop: Header=BB6_8134 Depth=2
	v_mov_b32_e32 v116, 0
	s_mov_b32 s24, exec_lo
	v_cmpx_ne_u32_e32 0, v165
	s_cbranch_execz .LBB6_8895
; %bb.8890:                             ;   in Loop: Header=BB6_8134 Depth=2
	v_bfe_u32 v116, v165, 23, 8
	s_delay_alu instid0(VALU_DEP_1) | instskip(SKIP_1) | instid1(VALU_DEP_2)
	v_sub_nc_u32_e32 v167, 0x78, v116
	v_cmp_gt_u32_e32 vcc_lo, 0x79, v116
	v_dual_cndmask_b32 v167, 0, v167 :: v_dual_and_b32 v166, 0x7fffff, v165
	s_delay_alu instid0(VALU_DEP_1) | instskip(SKIP_2) | instid1(VALU_DEP_4)
	v_or_b32_e32 v176, 0x800000, v166
	v_cmp_eq_u32_e32 vcc_lo, 0, v116
	v_add_nc_u32_e32 v116, 0xffffff89, v116
	v_cndmask_b32_e64 v167, v167, 0x77, vcc_lo
	s_delay_alu instid0(VALU_DEP_2) | instskip(SKIP_1) | instid1(VALU_DEP_3)
	v_cndmask_b32_e64 v116, v116, 0xffffff8a, vcc_lo
	v_cndmask_b32_e32 v166, v176, v166, vcc_lo
	v_lshl_add_u32 v176, 0x100000, v167, -1
	v_lshlrev_b32_e64 v179, v167, 0x80000
	s_delay_alu instid0(VALU_DEP_3) | instskip(SKIP_1) | instid1(VALU_DEP_4)
	v_lshrrev_b32_e32 v177, v167, v166
	v_add_nc_u32_e32 v167, v167, v116
	v_and_b32_e32 v166, v176, v166
	s_delay_alu instid0(VALU_DEP_3) | instskip(NEXT) | instid1(VALU_DEP_2)
	v_bfe_u32 v178, v177, 20, 1
	v_cmp_eq_u32_e64 s7, v166, v179
	s_delay_alu instid0(VALU_DEP_2) | instskip(NEXT) | instid1(VALU_DEP_1)
	v_add_nc_u32_e32 v176, -1, v178
	v_cndmask_b32_e64 v166, 0, v176, s7
	v_lshrrev_b32_e32 v176, 23, v177
	s_mov_b32 s7, exec_lo
	s_delay_alu instid0(VALU_DEP_2) | instskip(NEXT) | instid1(VALU_DEP_2)
	v_add_nc_u32_e32 v166, v166, v177
	v_xor_b32_e32 v176, 1, v176
	s_delay_alu instid0(VALU_DEP_2) | instskip(NEXT) | instid1(VALU_DEP_1)
	v_and_b32_e32 v116, 0xfffff, v166
	v_add_nc_u32_e32 v166, v116, v177
                                        ; implicit-def: $vgpr116
	s_delay_alu instid0(VALU_DEP_3)
	v_cmpx_ne_u32_e64 v167, v176
	s_xor_b32 s7, exec_lo, s7
; %bb.8891:                             ;   in Loop: Header=BB6_8134 Depth=2
	s_delay_alu instid0(VALU_DEP_2) | instskip(SKIP_2) | instid1(VALU_DEP_2)
	v_cmp_lt_u32_e32 vcc_lo, 0xffffff, v166
	v_sub_nc_u32_e32 v116, v167, v176
	v_cndmask_b32_e64 v167, 0, 1, vcc_lo
	v_add_co_ci_u32_e32 v116, vcc_lo, 0, v116, vcc_lo
	s_delay_alu instid0(VALU_DEP_2)
	v_lshrrev_b32_e32 v166, v167, v166
; %bb.8892:                             ;   in Loop: Header=BB6_8134 Depth=2
	s_and_not1_saveexec_b32 s7, s7
; %bb.8893:                             ;   in Loop: Header=BB6_8134 Depth=2
	s_delay_alu instid0(VALU_DEP_1)
	v_bfe_u32 v116, v166, 23, 1
; %bb.8894:                             ;   in Loop: Header=BB6_8134 Depth=2
	s_or_b32 exec_lo, exec_lo, s7
	v_lshrrev_b32_e32 v166, 20, v166
	s_delay_alu instid0(VALU_DEP_2) | instskip(SKIP_2) | instid1(VALU_DEP_2)
	v_cmp_gt_i32_e32 vcc_lo, 16, v116
	v_lshrrev_b32_e32 v165, 24, v165
	v_min_i32_e32 v167, 15, v116
	v_dual_cndmask_b32 v166, 7, v166 :: v_dual_and_b32 v165, 0x80, v165
	s_delay_alu instid0(VALU_DEP_1) | instskip(SKIP_1) | instid1(VALU_DEP_2)
	v_or_b32_e32 v116, v116, v166
	v_and_b32_e32 v176, 7, v166
	v_cmp_ne_u32_e32 vcc_lo, 0, v116
	v_lshlrev_b32_e32 v167, 3, v167
	s_delay_alu instid0(VALU_DEP_1) | instskip(NEXT) | instid1(VALU_DEP_1)
	v_or3_b32 v165, v167, v165, v176
	v_cndmask_b32_e32 v116, 0, v165, vcc_lo
.LBB6_8895:                             ;   in Loop: Header=BB6_8134 Depth=2
	s_or_b32 exec_lo, exec_lo, s24
.LBB6_8896:                             ;   in Loop: Header=BB6_8134 Depth=2
	s_delay_alu instid0(SALU_CYCLE_1) | instskip(SKIP_3) | instid1(VALU_DEP_1)
	s_or_b32 exec_lo, exec_lo, s23
	v_and_b32_e32 v166, 0xff, v114
	s_mov_b32 s7, 0
	s_mov_b32 s24, exec_lo
                                        ; implicit-def: $sgpr23
	v_cmpx_lt_i16_e64 0x7f, v166
	s_xor_b32 s24, exec_lo, s24
	s_cbranch_execnz .LBB6_9353
; %bb.8897:                             ;   in Loop: Header=BB6_8134 Depth=2
	s_or_saveexec_b32 s24, s24
	v_mov_b32_e32 v165, s23
	s_xor_b32 exec_lo, exec_lo, s24
	s_cbranch_execnz .LBB6_9356
.LBB6_8898:                             ;   in Loop: Header=BB6_8134 Depth=2
	s_or_b32 exec_lo, exec_lo, s24
	s_and_saveexec_b32 s23, s7
	s_cbranch_execz .LBB6_8900
.LBB6_8899:                             ;   in Loop: Header=BB6_8134 Depth=2
	v_and_b32_e32 v165, 7, v114
	v_lshrrev_b16 v176, 3, v114
	s_delay_alu instid0(VALU_DEP_2) | instskip(NEXT) | instid1(VALU_DEP_1)
	v_clz_i32_u32_e32 v166, v165
	v_min_u32_e32 v166, 32, v166
	s_delay_alu instid0(VALU_DEP_1) | instskip(SKIP_1) | instid1(VALU_DEP_2)
	v_subrev_nc_u32_e32 v167, 28, v166
	v_sub_nc_u32_e32 v166, 29, v166
	v_lshlrev_b32_e32 v167, v167, v114
	v_lshlrev_b32_e32 v114, 24, v114
	s_delay_alu instid0(VALU_DEP_2) | instskip(SKIP_1) | instid1(VALU_DEP_3)
	v_and_b32_e32 v167, 7, v167
	v_and_b32_e32 v176, 15, v176
	;; [unrolled: 1-line block ×3, first 2 shown]
	s_delay_alu instid0(VALU_DEP_2) | instskip(NEXT) | instid1(VALU_DEP_4)
	v_cmp_eq_u32_e32 vcc_lo, 0, v176
	v_dual_cndmask_b32 v165, v165, v167 :: v_dual_cndmask_b32 v166, v176, v166
	s_delay_alu instid0(VALU_DEP_1) | instskip(NEXT) | instid1(VALU_DEP_2)
	v_lshlrev_b32_e32 v165, 20, v165
	v_lshl_add_u32 v166, v166, 23, 0x3b800000
	s_delay_alu instid0(VALU_DEP_1)
	v_or3_b32 v165, v114, v166, v165
.LBB6_8900:                             ;   in Loop: Header=BB6_8134 Depth=2
	s_or_b32 exec_lo, exec_lo, s23
	s_waitcnt vmcnt(8) lgkmcnt(8)
	v_and_b32_e32 v166, 0xff, v164
	s_mov_b32 s7, 0
	s_mov_b32 s24, exec_lo
                                        ; implicit-def: $sgpr23
	s_delay_alu instid0(VALU_DEP_1)
	v_cmpx_lt_i16_e64 0x7f, v166
	s_xor_b32 s24, exec_lo, s24
	s_cbranch_execnz .LBB6_9357
; %bb.8901:                             ;   in Loop: Header=BB6_8134 Depth=2
	s_or_saveexec_b32 s24, s24
	v_mov_b32_e32 v114, s23
	s_xor_b32 exec_lo, exec_lo, s24
	s_cbranch_execnz .LBB6_9360
.LBB6_8902:                             ;   in Loop: Header=BB6_8134 Depth=2
	s_or_b32 exec_lo, exec_lo, s24
	s_and_saveexec_b32 s23, s7
	s_cbranch_execz .LBB6_8904
.LBB6_8903:                             ;   in Loop: Header=BB6_8134 Depth=2
	v_and_b32_e32 v114, 7, v164
	v_lshrrev_b16 v176, 3, v164
	s_delay_alu instid0(VALU_DEP_2) | instskip(NEXT) | instid1(VALU_DEP_2)
	v_clz_i32_u32_e32 v166, v114
	v_and_b32_e32 v176, 15, v176
	s_delay_alu instid0(VALU_DEP_2) | instskip(NEXT) | instid1(VALU_DEP_2)
	v_min_u32_e32 v166, 32, v166
	v_cmp_eq_u32_e32 vcc_lo, 0, v176
	s_delay_alu instid0(VALU_DEP_2) | instskip(SKIP_1) | instid1(VALU_DEP_1)
	v_subrev_nc_u32_e32 v167, 28, v166
	v_sub_nc_u32_e32 v166, 29, v166
	v_dual_cndmask_b32 v166, v176, v166 :: v_dual_lshlrev_b32 v167, v167, v164
	v_lshlrev_b32_e32 v164, 24, v164
	s_delay_alu instid0(VALU_DEP_2) | instskip(NEXT) | instid1(VALU_DEP_3)
	v_and_b32_e32 v167, 7, v167
	v_lshl_add_u32 v166, v166, 23, 0x3b800000
	s_delay_alu instid0(VALU_DEP_3) | instskip(NEXT) | instid1(VALU_DEP_3)
	v_and_b32_e32 v164, 0x80000000, v164
	v_cndmask_b32_e32 v114, v114, v167, vcc_lo
	s_delay_alu instid0(VALU_DEP_1) | instskip(NEXT) | instid1(VALU_DEP_1)
	v_lshlrev_b32_e32 v114, 20, v114
	v_or3_b32 v114, v164, v166, v114
.LBB6_8904:                             ;   in Loop: Header=BB6_8134 Depth=2
	s_or_b32 exec_lo, exec_lo, s23
	s_delay_alu instid0(VALU_DEP_1) | instskip(NEXT) | instid1(VALU_DEP_1)
	v_add_f32_e32 v164, v165, v114
	v_and_b32_e32 v114, 0x7f800000, v164
	s_delay_alu instid0(VALU_DEP_1)
	v_cmp_ne_u32_e32 vcc_lo, 0x7f800000, v114
	v_mov_b32_e32 v114, 0x80
	s_and_saveexec_b32 s23, vcc_lo
	s_cbranch_execz .LBB6_8912
; %bb.8905:                             ;   in Loop: Header=BB6_8134 Depth=2
	v_mov_b32_e32 v114, 0
	s_mov_b32 s24, exec_lo
	v_cmpx_ne_u32_e32 0, v164
	s_cbranch_execz .LBB6_8911
; %bb.8906:                             ;   in Loop: Header=BB6_8134 Depth=2
	v_bfe_u32 v114, v164, 23, 8
	s_delay_alu instid0(VALU_DEP_1) | instskip(SKIP_1) | instid1(VALU_DEP_2)
	v_sub_nc_u32_e32 v166, 0x78, v114
	v_cmp_gt_u32_e32 vcc_lo, 0x79, v114
	v_dual_cndmask_b32 v166, 0, v166 :: v_dual_and_b32 v165, 0x7fffff, v164
	s_delay_alu instid0(VALU_DEP_1) | instskip(SKIP_2) | instid1(VALU_DEP_4)
	v_or_b32_e32 v167, 0x800000, v165
	v_cmp_eq_u32_e32 vcc_lo, 0, v114
	v_add_nc_u32_e32 v114, 0xffffff89, v114
	v_cndmask_b32_e64 v166, v166, 0x77, vcc_lo
	s_delay_alu instid0(VALU_DEP_4) | instskip(NEXT) | instid1(VALU_DEP_3)
	v_cndmask_b32_e32 v165, v167, v165, vcc_lo
	v_cndmask_b32_e64 v114, v114, 0xffffff8a, vcc_lo
	s_delay_alu instid0(VALU_DEP_3) | instskip(NEXT) | instid1(VALU_DEP_3)
	v_lshl_add_u32 v167, 0x100000, v166, -1
	v_lshrrev_b32_e32 v176, v166, v165
	v_lshlrev_b32_e64 v178, v166, 0x80000
	s_delay_alu instid0(VALU_DEP_4) | instskip(NEXT) | instid1(VALU_DEP_4)
	v_add_nc_u32_e32 v166, v166, v114
	v_and_b32_e32 v165, v167, v165
	s_delay_alu instid0(VALU_DEP_4) | instskip(NEXT) | instid1(VALU_DEP_2)
	v_bfe_u32 v177, v176, 20, 1
	v_cmp_eq_u32_e64 s7, v165, v178
	s_delay_alu instid0(VALU_DEP_2) | instskip(NEXT) | instid1(VALU_DEP_1)
	v_add_nc_u32_e32 v167, -1, v177
	v_cndmask_b32_e64 v165, 0, v167, s7
	v_lshrrev_b32_e32 v167, 23, v176
	s_mov_b32 s7, exec_lo
	s_delay_alu instid0(VALU_DEP_2) | instskip(NEXT) | instid1(VALU_DEP_2)
	v_add_nc_u32_e32 v165, v165, v176
	v_xor_b32_e32 v167, 1, v167
	s_delay_alu instid0(VALU_DEP_2) | instskip(NEXT) | instid1(VALU_DEP_1)
	v_and_b32_e32 v114, 0xfffff, v165
	v_add_nc_u32_e32 v165, v114, v176
                                        ; implicit-def: $vgpr114
	s_delay_alu instid0(VALU_DEP_3)
	v_cmpx_ne_u32_e64 v166, v167
	s_xor_b32 s7, exec_lo, s7
; %bb.8907:                             ;   in Loop: Header=BB6_8134 Depth=2
	s_delay_alu instid0(VALU_DEP_2) | instskip(SKIP_2) | instid1(VALU_DEP_2)
	v_cmp_lt_u32_e32 vcc_lo, 0xffffff, v165
	v_sub_nc_u32_e32 v114, v166, v167
	v_cndmask_b32_e64 v166, 0, 1, vcc_lo
	v_add_co_ci_u32_e32 v114, vcc_lo, 0, v114, vcc_lo
	s_delay_alu instid0(VALU_DEP_2)
	v_lshrrev_b32_e32 v165, v166, v165
; %bb.8908:                             ;   in Loop: Header=BB6_8134 Depth=2
	s_and_not1_saveexec_b32 s7, s7
; %bb.8909:                             ;   in Loop: Header=BB6_8134 Depth=2
	s_delay_alu instid0(VALU_DEP_1)
	v_bfe_u32 v114, v165, 23, 1
; %bb.8910:                             ;   in Loop: Header=BB6_8134 Depth=2
	s_or_b32 exec_lo, exec_lo, s7
	v_lshrrev_b32_e32 v165, 20, v165
	s_delay_alu instid0(VALU_DEP_2) | instskip(SKIP_2) | instid1(VALU_DEP_2)
	v_cmp_gt_i32_e32 vcc_lo, 16, v114
	v_lshrrev_b32_e32 v164, 24, v164
	v_min_i32_e32 v166, 15, v114
	v_dual_cndmask_b32 v165, 7, v165 :: v_dual_and_b32 v164, 0x80, v164
	s_delay_alu instid0(VALU_DEP_2) | instskip(NEXT) | instid1(VALU_DEP_2)
	v_lshlrev_b32_e32 v166, 3, v166
	v_or_b32_e32 v114, v114, v165
	s_delay_alu instid0(VALU_DEP_1) | instskip(SKIP_1) | instid1(VALU_DEP_1)
	v_cmp_ne_u32_e32 vcc_lo, 0, v114
	v_and_b32_e32 v167, 7, v165
	v_or3_b32 v164, v166, v164, v167
	s_delay_alu instid0(VALU_DEP_1)
	v_cndmask_b32_e32 v114, 0, v164, vcc_lo
.LBB6_8911:                             ;   in Loop: Header=BB6_8134 Depth=2
	s_or_b32 exec_lo, exec_lo, s24
.LBB6_8912:                             ;   in Loop: Header=BB6_8134 Depth=2
	s_delay_alu instid0(SALU_CYCLE_1) | instskip(SKIP_3) | instid1(VALU_DEP_1)
	s_or_b32 exec_lo, exec_lo, s23
	v_and_b32_e32 v165, 0xff, v112
	s_mov_b32 s7, 0
	s_mov_b32 s24, exec_lo
                                        ; implicit-def: $sgpr23
	v_cmpx_lt_i16_e64 0x7f, v165
	s_xor_b32 s24, exec_lo, s24
	s_cbranch_execnz .LBB6_9361
; %bb.8913:                             ;   in Loop: Header=BB6_8134 Depth=2
	s_or_saveexec_b32 s24, s24
	v_mov_b32_e32 v164, s23
	s_xor_b32 exec_lo, exec_lo, s24
	s_cbranch_execnz .LBB6_9364
.LBB6_8914:                             ;   in Loop: Header=BB6_8134 Depth=2
	s_or_b32 exec_lo, exec_lo, s24
	s_and_saveexec_b32 s23, s7
	s_cbranch_execz .LBB6_8916
.LBB6_8915:                             ;   in Loop: Header=BB6_8134 Depth=2
	v_lshrrev_b16 v167, 3, v112
	s_delay_alu instid0(VALU_DEP_1) | instskip(NEXT) | instid1(VALU_DEP_1)
	v_and_b32_e32 v167, 15, v167
	v_cmp_eq_u32_e32 vcc_lo, 0, v167
	v_and_b32_e32 v164, 7, v112
	s_delay_alu instid0(VALU_DEP_1) | instskip(NEXT) | instid1(VALU_DEP_1)
	v_clz_i32_u32_e32 v165, v164
	v_min_u32_e32 v165, 32, v165
	s_delay_alu instid0(VALU_DEP_1) | instskip(SKIP_1) | instid1(VALU_DEP_1)
	v_subrev_nc_u32_e32 v166, 28, v165
	v_sub_nc_u32_e32 v165, 29, v165
	v_dual_cndmask_b32 v165, v167, v165 :: v_dual_lshlrev_b32 v166, v166, v112
	v_lshlrev_b32_e32 v112, 24, v112
	s_delay_alu instid0(VALU_DEP_2) | instskip(NEXT) | instid1(VALU_DEP_3)
	v_and_b32_e32 v166, 7, v166
	v_lshl_add_u32 v165, v165, 23, 0x3b800000
	s_delay_alu instid0(VALU_DEP_3) | instskip(NEXT) | instid1(VALU_DEP_3)
	v_and_b32_e32 v112, 0x80000000, v112
	v_cndmask_b32_e32 v164, v164, v166, vcc_lo
	s_delay_alu instid0(VALU_DEP_1) | instskip(NEXT) | instid1(VALU_DEP_1)
	v_lshlrev_b32_e32 v164, 20, v164
	v_or3_b32 v164, v112, v165, v164
.LBB6_8916:                             ;   in Loop: Header=BB6_8134 Depth=2
	s_or_b32 exec_lo, exec_lo, s23
	s_waitcnt vmcnt(7) lgkmcnt(7)
	v_and_b32_e32 v165, 0xff, v160
	s_mov_b32 s7, 0
	s_mov_b32 s24, exec_lo
                                        ; implicit-def: $sgpr23
	s_delay_alu instid0(VALU_DEP_1)
	v_cmpx_lt_i16_e64 0x7f, v165
	s_xor_b32 s24, exec_lo, s24
	s_cbranch_execnz .LBB6_9365
; %bb.8917:                             ;   in Loop: Header=BB6_8134 Depth=2
	s_or_saveexec_b32 s24, s24
	v_mov_b32_e32 v112, s23
	s_xor_b32 exec_lo, exec_lo, s24
	s_cbranch_execnz .LBB6_9368
.LBB6_8918:                             ;   in Loop: Header=BB6_8134 Depth=2
	s_or_b32 exec_lo, exec_lo, s24
	s_and_saveexec_b32 s23, s7
	s_cbranch_execz .LBB6_8920
.LBB6_8919:                             ;   in Loop: Header=BB6_8134 Depth=2
	v_lshrrev_b16 v167, 3, v160
	s_delay_alu instid0(VALU_DEP_1) | instskip(NEXT) | instid1(VALU_DEP_1)
	v_and_b32_e32 v167, 15, v167
	v_cmp_eq_u32_e32 vcc_lo, 0, v167
	v_and_b32_e32 v112, 7, v160
	s_delay_alu instid0(VALU_DEP_1) | instskip(NEXT) | instid1(VALU_DEP_1)
	v_clz_i32_u32_e32 v165, v112
	v_min_u32_e32 v165, 32, v165
	s_delay_alu instid0(VALU_DEP_1) | instskip(SKIP_1) | instid1(VALU_DEP_1)
	v_subrev_nc_u32_e32 v166, 28, v165
	v_sub_nc_u32_e32 v165, 29, v165
	v_dual_cndmask_b32 v165, v167, v165 :: v_dual_lshlrev_b32 v166, v166, v160
	v_lshlrev_b32_e32 v160, 24, v160
	s_delay_alu instid0(VALU_DEP_2) | instskip(NEXT) | instid1(VALU_DEP_3)
	v_and_b32_e32 v166, 7, v166
	v_lshl_add_u32 v165, v165, 23, 0x3b800000
	s_delay_alu instid0(VALU_DEP_3) | instskip(NEXT) | instid1(VALU_DEP_3)
	v_and_b32_e32 v160, 0x80000000, v160
	v_cndmask_b32_e32 v112, v112, v166, vcc_lo
	s_delay_alu instid0(VALU_DEP_1) | instskip(NEXT) | instid1(VALU_DEP_1)
	v_lshlrev_b32_e32 v112, 20, v112
	v_or3_b32 v112, v160, v165, v112
.LBB6_8920:                             ;   in Loop: Header=BB6_8134 Depth=2
	s_or_b32 exec_lo, exec_lo, s23
	s_delay_alu instid0(VALU_DEP_1) | instskip(NEXT) | instid1(VALU_DEP_1)
	v_add_f32_e32 v160, v164, v112
	v_and_b32_e32 v112, 0x7f800000, v160
	s_delay_alu instid0(VALU_DEP_1)
	v_cmp_ne_u32_e32 vcc_lo, 0x7f800000, v112
	v_mov_b32_e32 v112, 0x80
	s_and_saveexec_b32 s23, vcc_lo
	s_cbranch_execz .LBB6_8928
; %bb.8921:                             ;   in Loop: Header=BB6_8134 Depth=2
	v_mov_b32_e32 v112, 0
	s_mov_b32 s24, exec_lo
	v_cmpx_ne_u32_e32 0, v160
	s_cbranch_execz .LBB6_8927
; %bb.8922:                             ;   in Loop: Header=BB6_8134 Depth=2
	v_bfe_u32 v112, v160, 23, 8
	s_delay_alu instid0(VALU_DEP_1) | instskip(SKIP_1) | instid1(VALU_DEP_2)
	v_sub_nc_u32_e32 v165, 0x78, v112
	v_cmp_gt_u32_e32 vcc_lo, 0x79, v112
	v_dual_cndmask_b32 v165, 0, v165 :: v_dual_and_b32 v164, 0x7fffff, v160
	s_delay_alu instid0(VALU_DEP_1) | instskip(SKIP_2) | instid1(VALU_DEP_4)
	v_or_b32_e32 v166, 0x800000, v164
	v_cmp_eq_u32_e32 vcc_lo, 0, v112
	v_add_nc_u32_e32 v112, 0xffffff89, v112
	v_cndmask_b32_e64 v165, v165, 0x77, vcc_lo
	s_delay_alu instid0(VALU_DEP_4) | instskip(NEXT) | instid1(VALU_DEP_3)
	v_cndmask_b32_e32 v164, v166, v164, vcc_lo
	v_cndmask_b32_e64 v112, v112, 0xffffff8a, vcc_lo
	s_delay_alu instid0(VALU_DEP_3) | instskip(NEXT) | instid1(VALU_DEP_3)
	v_lshl_add_u32 v166, 0x100000, v165, -1
	v_lshrrev_b32_e32 v167, v165, v164
	v_lshlrev_b32_e64 v177, v165, 0x80000
	s_delay_alu instid0(VALU_DEP_4) | instskip(NEXT) | instid1(VALU_DEP_4)
	v_add_nc_u32_e32 v165, v165, v112
	v_and_b32_e32 v164, v166, v164
	s_delay_alu instid0(VALU_DEP_4) | instskip(NEXT) | instid1(VALU_DEP_2)
	v_bfe_u32 v176, v167, 20, 1
	v_cmp_eq_u32_e64 s7, v164, v177
	s_delay_alu instid0(VALU_DEP_2) | instskip(NEXT) | instid1(VALU_DEP_1)
	v_add_nc_u32_e32 v166, -1, v176
	v_cndmask_b32_e64 v164, 0, v166, s7
	v_lshrrev_b32_e32 v166, 23, v167
	s_mov_b32 s7, exec_lo
	s_delay_alu instid0(VALU_DEP_2) | instskip(NEXT) | instid1(VALU_DEP_2)
	v_add_nc_u32_e32 v164, v164, v167
	v_xor_b32_e32 v166, 1, v166
	s_delay_alu instid0(VALU_DEP_2) | instskip(NEXT) | instid1(VALU_DEP_1)
	v_and_b32_e32 v112, 0xfffff, v164
	v_add_nc_u32_e32 v164, v112, v167
                                        ; implicit-def: $vgpr112
	s_delay_alu instid0(VALU_DEP_3)
	v_cmpx_ne_u32_e64 v165, v166
	s_xor_b32 s7, exec_lo, s7
; %bb.8923:                             ;   in Loop: Header=BB6_8134 Depth=2
	s_delay_alu instid0(VALU_DEP_2) | instskip(SKIP_2) | instid1(VALU_DEP_2)
	v_cmp_lt_u32_e32 vcc_lo, 0xffffff, v164
	v_sub_nc_u32_e32 v112, v165, v166
	v_cndmask_b32_e64 v165, 0, 1, vcc_lo
	v_add_co_ci_u32_e32 v112, vcc_lo, 0, v112, vcc_lo
	s_delay_alu instid0(VALU_DEP_2)
	v_lshrrev_b32_e32 v164, v165, v164
; %bb.8924:                             ;   in Loop: Header=BB6_8134 Depth=2
	s_and_not1_saveexec_b32 s7, s7
; %bb.8925:                             ;   in Loop: Header=BB6_8134 Depth=2
	s_delay_alu instid0(VALU_DEP_1)
	v_bfe_u32 v112, v164, 23, 1
; %bb.8926:                             ;   in Loop: Header=BB6_8134 Depth=2
	s_or_b32 exec_lo, exec_lo, s7
	v_lshrrev_b32_e32 v164, 20, v164
	s_delay_alu instid0(VALU_DEP_2) | instskip(SKIP_2) | instid1(VALU_DEP_4)
	v_cmp_gt_i32_e32 vcc_lo, 16, v112
	v_lshrrev_b32_e32 v160, 24, v160
	v_min_i32_e32 v165, 15, v112
	v_cndmask_b32_e32 v164, 7, v164, vcc_lo
	s_delay_alu instid0(VALU_DEP_3) | instskip(NEXT) | instid1(VALU_DEP_3)
	v_and_b32_e32 v160, 0x80, v160
	v_lshlrev_b32_e32 v165, 3, v165
	s_delay_alu instid0(VALU_DEP_3) | instskip(SKIP_1) | instid1(VALU_DEP_2)
	v_and_b32_e32 v166, 7, v164
	v_or_b32_e32 v112, v112, v164
	v_or3_b32 v160, v165, v160, v166
	s_delay_alu instid0(VALU_DEP_2) | instskip(NEXT) | instid1(VALU_DEP_2)
	v_cmp_ne_u32_e32 vcc_lo, 0, v112
	v_cndmask_b32_e32 v112, 0, v160, vcc_lo
.LBB6_8927:                             ;   in Loop: Header=BB6_8134 Depth=2
	s_or_b32 exec_lo, exec_lo, s24
.LBB6_8928:                             ;   in Loop: Header=BB6_8134 Depth=2
	s_delay_alu instid0(SALU_CYCLE_1) | instskip(SKIP_3) | instid1(VALU_DEP_1)
	s_or_b32 exec_lo, exec_lo, s23
	v_and_b32_e32 v164, 0xff, v103
	s_mov_b32 s7, 0
	s_mov_b32 s24, exec_lo
                                        ; implicit-def: $sgpr23
	v_cmpx_lt_i16_e64 0x7f, v164
	s_xor_b32 s24, exec_lo, s24
	s_cbranch_execnz .LBB6_9369
; %bb.8929:                             ;   in Loop: Header=BB6_8134 Depth=2
	s_or_saveexec_b32 s24, s24
	v_mov_b32_e32 v160, s23
	s_xor_b32 exec_lo, exec_lo, s24
	s_cbranch_execnz .LBB6_9372
.LBB6_8930:                             ;   in Loop: Header=BB6_8134 Depth=2
	s_or_b32 exec_lo, exec_lo, s24
	s_and_saveexec_b32 s23, s7
	s_cbranch_execz .LBB6_8932
.LBB6_8931:                             ;   in Loop: Header=BB6_8134 Depth=2
	v_and_b32_e32 v160, 7, v103
	v_lshrrev_b16 v166, 3, v103
	s_delay_alu instid0(VALU_DEP_2) | instskip(NEXT) | instid1(VALU_DEP_2)
	v_clz_i32_u32_e32 v164, v160
	v_and_b32_e32 v166, 15, v166
	s_delay_alu instid0(VALU_DEP_2) | instskip(NEXT) | instid1(VALU_DEP_2)
	v_min_u32_e32 v164, 32, v164
	v_cmp_eq_u32_e32 vcc_lo, 0, v166
	s_delay_alu instid0(VALU_DEP_2) | instskip(SKIP_1) | instid1(VALU_DEP_1)
	v_subrev_nc_u32_e32 v165, 28, v164
	v_sub_nc_u32_e32 v164, 29, v164
	v_dual_cndmask_b32 v164, v166, v164 :: v_dual_lshlrev_b32 v165, v165, v103
	s_delay_alu instid0(VALU_DEP_1) | instskip(SKIP_1) | instid1(VALU_DEP_3)
	v_and_b32_e32 v165, 7, v165
	v_lshlrev_b32_e32 v103, 24, v103
	v_lshl_add_u32 v164, v164, 23, 0x3b800000
	s_delay_alu instid0(VALU_DEP_2) | instskip(NEXT) | instid1(VALU_DEP_1)
	v_dual_cndmask_b32 v160, v160, v165 :: v_dual_and_b32 v103, 0x80000000, v103
	v_lshlrev_b32_e32 v160, 20, v160
	s_delay_alu instid0(VALU_DEP_1)
	v_or3_b32 v160, v103, v164, v160
.LBB6_8932:                             ;   in Loop: Header=BB6_8134 Depth=2
	s_or_b32 exec_lo, exec_lo, s23
	s_waitcnt vmcnt(6) lgkmcnt(6)
	v_and_b32_e32 v164, 0xff, v147
	s_mov_b32 s7, 0
	s_mov_b32 s24, exec_lo
                                        ; implicit-def: $sgpr23
	s_delay_alu instid0(VALU_DEP_1)
	v_cmpx_lt_i16_e64 0x7f, v164
	s_xor_b32 s24, exec_lo, s24
	s_cbranch_execnz .LBB6_9373
; %bb.8933:                             ;   in Loop: Header=BB6_8134 Depth=2
	s_or_saveexec_b32 s24, s24
	v_mov_b32_e32 v103, s23
	s_xor_b32 exec_lo, exec_lo, s24
	s_cbranch_execnz .LBB6_9376
.LBB6_8934:                             ;   in Loop: Header=BB6_8134 Depth=2
	s_or_b32 exec_lo, exec_lo, s24
	s_and_saveexec_b32 s23, s7
	s_cbranch_execz .LBB6_8936
.LBB6_8935:                             ;   in Loop: Header=BB6_8134 Depth=2
	v_lshrrev_b16 v166, 3, v147
	s_delay_alu instid0(VALU_DEP_1) | instskip(NEXT) | instid1(VALU_DEP_1)
	v_and_b32_e32 v166, 15, v166
	v_cmp_eq_u32_e32 vcc_lo, 0, v166
	v_and_b32_e32 v103, 7, v147
	s_delay_alu instid0(VALU_DEP_1) | instskip(NEXT) | instid1(VALU_DEP_1)
	v_clz_i32_u32_e32 v164, v103
	v_min_u32_e32 v164, 32, v164
	s_delay_alu instid0(VALU_DEP_1) | instskip(SKIP_1) | instid1(VALU_DEP_1)
	v_subrev_nc_u32_e32 v165, 28, v164
	v_sub_nc_u32_e32 v164, 29, v164
	v_dual_cndmask_b32 v164, v166, v164 :: v_dual_lshlrev_b32 v165, v165, v147
	v_lshlrev_b32_e32 v147, 24, v147
	s_delay_alu instid0(VALU_DEP_2) | instskip(NEXT) | instid1(VALU_DEP_3)
	v_and_b32_e32 v165, 7, v165
	v_lshl_add_u32 v164, v164, 23, 0x3b800000
	s_delay_alu instid0(VALU_DEP_3) | instskip(NEXT) | instid1(VALU_DEP_3)
	v_and_b32_e32 v147, 0x80000000, v147
	v_cndmask_b32_e32 v103, v103, v165, vcc_lo
	s_delay_alu instid0(VALU_DEP_1) | instskip(NEXT) | instid1(VALU_DEP_1)
	v_lshlrev_b32_e32 v103, 20, v103
	v_or3_b32 v103, v147, v164, v103
.LBB6_8936:                             ;   in Loop: Header=BB6_8134 Depth=2
	s_or_b32 exec_lo, exec_lo, s23
	s_delay_alu instid0(VALU_DEP_1) | instskip(NEXT) | instid1(VALU_DEP_1)
	v_add_f32_e32 v147, v160, v103
	v_and_b32_e32 v103, 0x7f800000, v147
	s_delay_alu instid0(VALU_DEP_1)
	v_cmp_ne_u32_e32 vcc_lo, 0x7f800000, v103
	v_mov_b32_e32 v103, 0x80
	s_and_saveexec_b32 s23, vcc_lo
	s_cbranch_execz .LBB6_8944
; %bb.8937:                             ;   in Loop: Header=BB6_8134 Depth=2
	v_mov_b32_e32 v103, 0
	s_mov_b32 s24, exec_lo
	v_cmpx_ne_u32_e32 0, v147
	s_cbranch_execz .LBB6_8943
; %bb.8938:                             ;   in Loop: Header=BB6_8134 Depth=2
	v_bfe_u32 v103, v147, 23, 8
	v_and_b32_e32 v160, 0x7fffff, v147
	s_delay_alu instid0(VALU_DEP_2) | instskip(SKIP_1) | instid1(VALU_DEP_3)
	v_sub_nc_u32_e32 v164, 0x78, v103
	v_cmp_gt_u32_e32 vcc_lo, 0x79, v103
	v_or_b32_e32 v165, 0x800000, v160
	s_delay_alu instid0(VALU_DEP_3) | instskip(SKIP_2) | instid1(VALU_DEP_3)
	v_cndmask_b32_e32 v164, 0, v164, vcc_lo
	v_cmp_eq_u32_e32 vcc_lo, 0, v103
	v_add_nc_u32_e32 v103, 0xffffff89, v103
	v_cndmask_b32_e64 v164, v164, 0x77, vcc_lo
	v_cndmask_b32_e32 v160, v165, v160, vcc_lo
	s_delay_alu instid0(VALU_DEP_3) | instskip(NEXT) | instid1(VALU_DEP_3)
	v_cndmask_b32_e64 v103, v103, 0xffffff8a, vcc_lo
	v_lshl_add_u32 v165, 0x100000, v164, -1
	s_delay_alu instid0(VALU_DEP_3) | instskip(SKIP_1) | instid1(VALU_DEP_4)
	v_lshrrev_b32_e32 v166, v164, v160
	v_lshlrev_b32_e64 v176, v164, 0x80000
	v_add_nc_u32_e32 v164, v164, v103
	s_delay_alu instid0(VALU_DEP_4) | instskip(NEXT) | instid1(VALU_DEP_4)
	v_and_b32_e32 v160, v165, v160
	v_bfe_u32 v167, v166, 20, 1
	s_delay_alu instid0(VALU_DEP_2) | instskip(NEXT) | instid1(VALU_DEP_2)
	v_cmp_eq_u32_e64 s7, v160, v176
	v_add_nc_u32_e32 v165, -1, v167
	s_delay_alu instid0(VALU_DEP_1) | instskip(SKIP_2) | instid1(VALU_DEP_2)
	v_cndmask_b32_e64 v160, 0, v165, s7
	v_lshrrev_b32_e32 v165, 23, v166
	s_mov_b32 s7, exec_lo
	v_add_nc_u32_e32 v160, v160, v166
	s_delay_alu instid0(VALU_DEP_2) | instskip(NEXT) | instid1(VALU_DEP_2)
	v_xor_b32_e32 v165, 1, v165
	v_and_b32_e32 v103, 0xfffff, v160
	s_delay_alu instid0(VALU_DEP_1) | instskip(NEXT) | instid1(VALU_DEP_3)
	v_add_nc_u32_e32 v160, v103, v166
                                        ; implicit-def: $vgpr103
	v_cmpx_ne_u32_e64 v164, v165
	s_xor_b32 s7, exec_lo, s7
; %bb.8939:                             ;   in Loop: Header=BB6_8134 Depth=2
	s_delay_alu instid0(VALU_DEP_2) | instskip(SKIP_2) | instid1(VALU_DEP_2)
	v_cmp_lt_u32_e32 vcc_lo, 0xffffff, v160
	v_sub_nc_u32_e32 v103, v164, v165
	v_cndmask_b32_e64 v164, 0, 1, vcc_lo
	v_add_co_ci_u32_e32 v103, vcc_lo, 0, v103, vcc_lo
	s_delay_alu instid0(VALU_DEP_2)
	v_lshrrev_b32_e32 v160, v164, v160
; %bb.8940:                             ;   in Loop: Header=BB6_8134 Depth=2
	s_and_not1_saveexec_b32 s7, s7
; %bb.8941:                             ;   in Loop: Header=BB6_8134 Depth=2
	s_delay_alu instid0(VALU_DEP_1)
	v_bfe_u32 v103, v160, 23, 1
; %bb.8942:                             ;   in Loop: Header=BB6_8134 Depth=2
	s_or_b32 exec_lo, exec_lo, s7
	v_lshrrev_b32_e32 v160, 20, v160
	s_delay_alu instid0(VALU_DEP_2) | instskip(SKIP_2) | instid1(VALU_DEP_2)
	v_cmp_gt_i32_e32 vcc_lo, 16, v103
	v_lshrrev_b32_e32 v147, 24, v147
	v_min_i32_e32 v164, 15, v103
	v_dual_cndmask_b32 v160, 7, v160 :: v_dual_and_b32 v147, 0x80, v147
	s_delay_alu instid0(VALU_DEP_1) | instskip(SKIP_1) | instid1(VALU_DEP_2)
	v_or_b32_e32 v103, v103, v160
	v_and_b32_e32 v165, 7, v160
	v_cmp_ne_u32_e32 vcc_lo, 0, v103
	v_lshlrev_b32_e32 v164, 3, v164
	s_delay_alu instid0(VALU_DEP_1) | instskip(NEXT) | instid1(VALU_DEP_1)
	v_or3_b32 v147, v164, v147, v165
	v_cndmask_b32_e32 v103, 0, v147, vcc_lo
.LBB6_8943:                             ;   in Loop: Header=BB6_8134 Depth=2
	s_or_b32 exec_lo, exec_lo, s24
.LBB6_8944:                             ;   in Loop: Header=BB6_8134 Depth=2
	s_delay_alu instid0(SALU_CYCLE_1) | instskip(SKIP_3) | instid1(VALU_DEP_1)
	s_or_b32 exec_lo, exec_lo, s23
	v_and_b32_e32 v160, 0xff, v68
	s_mov_b32 s7, 0
	s_mov_b32 s24, exec_lo
                                        ; implicit-def: $sgpr23
	v_cmpx_lt_i16_e64 0x7f, v160
	s_xor_b32 s24, exec_lo, s24
	s_cbranch_execnz .LBB6_9377
; %bb.8945:                             ;   in Loop: Header=BB6_8134 Depth=2
	s_or_saveexec_b32 s24, s24
	v_mov_b32_e32 v147, s23
	s_xor_b32 exec_lo, exec_lo, s24
	s_cbranch_execnz .LBB6_9380
.LBB6_8946:                             ;   in Loop: Header=BB6_8134 Depth=2
	s_or_b32 exec_lo, exec_lo, s24
	s_and_saveexec_b32 s23, s7
	s_cbranch_execz .LBB6_8948
.LBB6_8947:                             ;   in Loop: Header=BB6_8134 Depth=2
	v_and_b32_e32 v147, 7, v68
	v_lshrrev_b16 v165, 3, v68
	s_delay_alu instid0(VALU_DEP_2) | instskip(NEXT) | instid1(VALU_DEP_2)
	v_clz_i32_u32_e32 v160, v147
	v_and_b32_e32 v165, 15, v165
	s_delay_alu instid0(VALU_DEP_2) | instskip(NEXT) | instid1(VALU_DEP_2)
	v_min_u32_e32 v160, 32, v160
	v_cmp_eq_u32_e32 vcc_lo, 0, v165
	s_delay_alu instid0(VALU_DEP_2) | instskip(SKIP_1) | instid1(VALU_DEP_2)
	v_subrev_nc_u32_e32 v164, 28, v160
	v_sub_nc_u32_e32 v160, 29, v160
	v_lshlrev_b32_e32 v164, v164, v68
	v_lshlrev_b32_e32 v68, 24, v68
	s_delay_alu instid0(VALU_DEP_2) | instskip(NEXT) | instid1(VALU_DEP_2)
	v_and_b32_e32 v164, 7, v164
	v_and_b32_e32 v68, 0x80000000, v68
	s_delay_alu instid0(VALU_DEP_2) | instskip(NEXT) | instid1(VALU_DEP_1)
	v_cndmask_b32_e32 v147, v147, v164, vcc_lo
	v_dual_cndmask_b32 v160, v165, v160 :: v_dual_lshlrev_b32 v147, 20, v147
	s_delay_alu instid0(VALU_DEP_1) | instskip(NEXT) | instid1(VALU_DEP_1)
	v_lshl_add_u32 v160, v160, 23, 0x3b800000
	v_or3_b32 v147, v68, v160, v147
.LBB6_8948:                             ;   in Loop: Header=BB6_8134 Depth=2
	s_or_b32 exec_lo, exec_lo, s23
	s_waitcnt vmcnt(5) lgkmcnt(5)
	v_and_b32_e32 v160, 0xff, v134
	s_mov_b32 s7, 0
	s_mov_b32 s24, exec_lo
                                        ; implicit-def: $sgpr23
	s_delay_alu instid0(VALU_DEP_1)
	v_cmpx_lt_i16_e64 0x7f, v160
	s_xor_b32 s24, exec_lo, s24
	s_cbranch_execnz .LBB6_9381
; %bb.8949:                             ;   in Loop: Header=BB6_8134 Depth=2
	s_or_saveexec_b32 s24, s24
	v_mov_b32_e32 v68, s23
	s_xor_b32 exec_lo, exec_lo, s24
	s_cbranch_execnz .LBB6_9384
.LBB6_8950:                             ;   in Loop: Header=BB6_8134 Depth=2
	s_or_b32 exec_lo, exec_lo, s24
	s_and_saveexec_b32 s23, s7
	s_cbranch_execz .LBB6_8952
.LBB6_8951:                             ;   in Loop: Header=BB6_8134 Depth=2
	v_and_b32_e32 v68, 7, v134
	v_lshrrev_b16 v165, 3, v134
	s_delay_alu instid0(VALU_DEP_2) | instskip(NEXT) | instid1(VALU_DEP_1)
	v_clz_i32_u32_e32 v160, v68
	v_min_u32_e32 v160, 32, v160
	s_delay_alu instid0(VALU_DEP_1) | instskip(SKIP_1) | instid1(VALU_DEP_2)
	v_subrev_nc_u32_e32 v164, 28, v160
	v_sub_nc_u32_e32 v160, 29, v160
	v_lshlrev_b32_e32 v164, v164, v134
	v_lshlrev_b32_e32 v134, 24, v134
	s_delay_alu instid0(VALU_DEP_2) | instskip(SKIP_1) | instid1(VALU_DEP_3)
	v_and_b32_e32 v164, 7, v164
	v_and_b32_e32 v165, 15, v165
	;; [unrolled: 1-line block ×3, first 2 shown]
	s_delay_alu instid0(VALU_DEP_2) | instskip(NEXT) | instid1(VALU_DEP_4)
	v_cmp_eq_u32_e32 vcc_lo, 0, v165
	v_cndmask_b32_e32 v68, v68, v164, vcc_lo
	v_cndmask_b32_e32 v160, v165, v160, vcc_lo
	s_delay_alu instid0(VALU_DEP_2) | instskip(NEXT) | instid1(VALU_DEP_2)
	v_lshlrev_b32_e32 v68, 20, v68
	v_lshl_add_u32 v160, v160, 23, 0x3b800000
	s_delay_alu instid0(VALU_DEP_1)
	v_or3_b32 v68, v134, v160, v68
.LBB6_8952:                             ;   in Loop: Header=BB6_8134 Depth=2
	s_or_b32 exec_lo, exec_lo, s23
	s_delay_alu instid0(VALU_DEP_1) | instskip(NEXT) | instid1(VALU_DEP_1)
	v_add_f32_e32 v134, v147, v68
	v_and_b32_e32 v68, 0x7f800000, v134
	s_delay_alu instid0(VALU_DEP_1)
	v_cmp_ne_u32_e32 vcc_lo, 0x7f800000, v68
	v_mov_b32_e32 v68, 0x80
	s_and_saveexec_b32 s23, vcc_lo
	s_cbranch_execz .LBB6_8960
; %bb.8953:                             ;   in Loop: Header=BB6_8134 Depth=2
	v_mov_b32_e32 v68, 0
	s_mov_b32 s24, exec_lo
	v_cmpx_ne_u32_e32 0, v134
	s_cbranch_execz .LBB6_8959
; %bb.8954:                             ;   in Loop: Header=BB6_8134 Depth=2
	v_bfe_u32 v68, v134, 23, 8
	s_delay_alu instid0(VALU_DEP_1) | instskip(SKIP_1) | instid1(VALU_DEP_2)
	v_sub_nc_u32_e32 v160, 0x78, v68
	v_cmp_gt_u32_e32 vcc_lo, 0x79, v68
	v_dual_cndmask_b32 v160, 0, v160 :: v_dual_and_b32 v147, 0x7fffff, v134
	s_delay_alu instid0(VALU_DEP_1) | instskip(SKIP_2) | instid1(VALU_DEP_4)
	v_or_b32_e32 v164, 0x800000, v147
	v_cmp_eq_u32_e32 vcc_lo, 0, v68
	v_add_nc_u32_e32 v68, 0xffffff89, v68
	v_cndmask_b32_e64 v160, v160, 0x77, vcc_lo
	s_delay_alu instid0(VALU_DEP_4) | instskip(NEXT) | instid1(VALU_DEP_3)
	v_cndmask_b32_e32 v147, v164, v147, vcc_lo
	v_cndmask_b32_e64 v68, v68, 0xffffff8a, vcc_lo
	s_delay_alu instid0(VALU_DEP_3) | instskip(NEXT) | instid1(VALU_DEP_3)
	v_lshl_add_u32 v164, 0x100000, v160, -1
	v_lshrrev_b32_e32 v165, v160, v147
	v_lshlrev_b32_e64 v167, v160, 0x80000
	s_delay_alu instid0(VALU_DEP_4) | instskip(NEXT) | instid1(VALU_DEP_4)
	v_add_nc_u32_e32 v160, v160, v68
	v_and_b32_e32 v147, v164, v147
	s_delay_alu instid0(VALU_DEP_4) | instskip(NEXT) | instid1(VALU_DEP_2)
	v_bfe_u32 v166, v165, 20, 1
	v_cmp_eq_u32_e64 s7, v147, v167
	s_delay_alu instid0(VALU_DEP_2) | instskip(NEXT) | instid1(VALU_DEP_1)
	v_add_nc_u32_e32 v164, -1, v166
	v_cndmask_b32_e64 v147, 0, v164, s7
	v_lshrrev_b32_e32 v164, 23, v165
	s_mov_b32 s7, exec_lo
	s_delay_alu instid0(VALU_DEP_2) | instskip(NEXT) | instid1(VALU_DEP_2)
	v_add_nc_u32_e32 v147, v147, v165
	v_xor_b32_e32 v164, 1, v164
	s_delay_alu instid0(VALU_DEP_2) | instskip(NEXT) | instid1(VALU_DEP_1)
	v_and_b32_e32 v68, 0xfffff, v147
	v_add_nc_u32_e32 v147, v68, v165
                                        ; implicit-def: $vgpr68
	s_delay_alu instid0(VALU_DEP_3)
	v_cmpx_ne_u32_e64 v160, v164
	s_xor_b32 s7, exec_lo, s7
; %bb.8955:                             ;   in Loop: Header=BB6_8134 Depth=2
	s_delay_alu instid0(VALU_DEP_2) | instskip(SKIP_2) | instid1(VALU_DEP_2)
	v_cmp_lt_u32_e32 vcc_lo, 0xffffff, v147
	v_sub_nc_u32_e32 v68, v160, v164
	v_cndmask_b32_e64 v160, 0, 1, vcc_lo
	v_add_co_ci_u32_e32 v68, vcc_lo, 0, v68, vcc_lo
	s_delay_alu instid0(VALU_DEP_2)
	v_lshrrev_b32_e32 v147, v160, v147
; %bb.8956:                             ;   in Loop: Header=BB6_8134 Depth=2
	s_and_not1_saveexec_b32 s7, s7
; %bb.8957:                             ;   in Loop: Header=BB6_8134 Depth=2
	s_delay_alu instid0(VALU_DEP_1)
	v_bfe_u32 v68, v147, 23, 1
; %bb.8958:                             ;   in Loop: Header=BB6_8134 Depth=2
	s_or_b32 exec_lo, exec_lo, s7
	v_lshrrev_b32_e32 v147, 20, v147
	s_delay_alu instid0(VALU_DEP_2) | instskip(SKIP_2) | instid1(VALU_DEP_2)
	v_cmp_gt_i32_e32 vcc_lo, 16, v68
	v_lshrrev_b32_e32 v134, 24, v134
	v_min_i32_e32 v160, 15, v68
	v_dual_cndmask_b32 v147, 7, v147 :: v_dual_and_b32 v134, 0x80, v134
	s_delay_alu instid0(VALU_DEP_2) | instskip(NEXT) | instid1(VALU_DEP_2)
	v_lshlrev_b32_e32 v160, 3, v160
	v_and_b32_e32 v164, 7, v147
	v_or_b32_e32 v68, v68, v147
	s_delay_alu instid0(VALU_DEP_2) | instskip(NEXT) | instid1(VALU_DEP_2)
	v_or3_b32 v134, v160, v134, v164
	v_cmp_ne_u32_e32 vcc_lo, 0, v68
	s_delay_alu instid0(VALU_DEP_2)
	v_cndmask_b32_e32 v68, 0, v134, vcc_lo
.LBB6_8959:                             ;   in Loop: Header=BB6_8134 Depth=2
	s_or_b32 exec_lo, exec_lo, s24
.LBB6_8960:                             ;   in Loop: Header=BB6_8134 Depth=2
	s_delay_alu instid0(SALU_CYCLE_1) | instskip(SKIP_3) | instid1(VALU_DEP_1)
	s_or_b32 exec_lo, exec_lo, s23
	v_and_b32_e32 v147, 0xff, v66
	s_mov_b32 s7, 0
	s_mov_b32 s24, exec_lo
                                        ; implicit-def: $sgpr23
	v_cmpx_lt_i16_e64 0x7f, v147
	s_xor_b32 s24, exec_lo, s24
	s_cbranch_execnz .LBB6_9385
; %bb.8961:                             ;   in Loop: Header=BB6_8134 Depth=2
	s_or_saveexec_b32 s24, s24
	v_mov_b32_e32 v134, s23
	s_xor_b32 exec_lo, exec_lo, s24
	s_cbranch_execnz .LBB6_9388
.LBB6_8962:                             ;   in Loop: Header=BB6_8134 Depth=2
	s_or_b32 exec_lo, exec_lo, s24
	s_and_saveexec_b32 s23, s7
	s_cbranch_execz .LBB6_8964
.LBB6_8963:                             ;   in Loop: Header=BB6_8134 Depth=2
	v_lshrrev_b16 v164, 3, v66
	s_delay_alu instid0(VALU_DEP_1) | instskip(NEXT) | instid1(VALU_DEP_1)
	v_and_b32_e32 v164, 15, v164
	v_cmp_eq_u32_e32 vcc_lo, 0, v164
	v_and_b32_e32 v134, 7, v66
	s_delay_alu instid0(VALU_DEP_1) | instskip(NEXT) | instid1(VALU_DEP_1)
	v_clz_i32_u32_e32 v147, v134
	v_min_u32_e32 v147, 32, v147
	s_delay_alu instid0(VALU_DEP_1) | instskip(SKIP_1) | instid1(VALU_DEP_2)
	v_subrev_nc_u32_e32 v160, 28, v147
	v_sub_nc_u32_e32 v147, 29, v147
	v_lshlrev_b32_e32 v160, v160, v66
	s_delay_alu instid0(VALU_DEP_2) | instskip(NEXT) | instid1(VALU_DEP_2)
	v_dual_cndmask_b32 v147, v164, v147 :: v_dual_lshlrev_b32 v66, 24, v66
	v_and_b32_e32 v160, 7, v160
	s_delay_alu instid0(VALU_DEP_2) | instskip(NEXT) | instid1(VALU_DEP_3)
	v_lshl_add_u32 v147, v147, 23, 0x3b800000
	v_and_b32_e32 v66, 0x80000000, v66
	s_delay_alu instid0(VALU_DEP_3) | instskip(NEXT) | instid1(VALU_DEP_1)
	v_cndmask_b32_e32 v134, v134, v160, vcc_lo
	v_lshlrev_b32_e32 v134, 20, v134
	s_delay_alu instid0(VALU_DEP_1)
	v_or3_b32 v134, v66, v147, v134
.LBB6_8964:                             ;   in Loop: Header=BB6_8134 Depth=2
	s_or_b32 exec_lo, exec_lo, s23
	s_waitcnt vmcnt(4) lgkmcnt(4)
	v_and_b32_e32 v147, 0xff, v129
	s_mov_b32 s7, 0
	s_mov_b32 s24, exec_lo
                                        ; implicit-def: $sgpr23
	s_delay_alu instid0(VALU_DEP_1)
	v_cmpx_lt_i16_e64 0x7f, v147
	s_xor_b32 s24, exec_lo, s24
	s_cbranch_execnz .LBB6_9389
; %bb.8965:                             ;   in Loop: Header=BB6_8134 Depth=2
	s_or_saveexec_b32 s24, s24
	v_mov_b32_e32 v66, s23
	s_xor_b32 exec_lo, exec_lo, s24
	s_cbranch_execnz .LBB6_9392
.LBB6_8966:                             ;   in Loop: Header=BB6_8134 Depth=2
	s_or_b32 exec_lo, exec_lo, s24
	s_and_saveexec_b32 s23, s7
	s_cbranch_execz .LBB6_8968
.LBB6_8967:                             ;   in Loop: Header=BB6_8134 Depth=2
	v_lshrrev_b16 v164, 3, v129
	s_delay_alu instid0(VALU_DEP_1) | instskip(NEXT) | instid1(VALU_DEP_1)
	v_and_b32_e32 v164, 15, v164
	v_cmp_eq_u32_e32 vcc_lo, 0, v164
	v_and_b32_e32 v66, 7, v129
	s_delay_alu instid0(VALU_DEP_1) | instskip(NEXT) | instid1(VALU_DEP_1)
	v_clz_i32_u32_e32 v147, v66
	v_min_u32_e32 v147, 32, v147
	s_delay_alu instid0(VALU_DEP_1) | instskip(SKIP_1) | instid1(VALU_DEP_2)
	v_subrev_nc_u32_e32 v160, 28, v147
	v_sub_nc_u32_e32 v147, 29, v147
	v_lshlrev_b32_e32 v160, v160, v129
	s_delay_alu instid0(VALU_DEP_1) | instskip(SKIP_1) | instid1(VALU_DEP_2)
	v_dual_cndmask_b32 v147, v164, v147 :: v_dual_and_b32 v160, 7, v160
	v_lshlrev_b32_e32 v129, 24, v129
	v_lshl_add_u32 v147, v147, 23, 0x3b800000
	s_delay_alu instid0(VALU_DEP_2) | instskip(NEXT) | instid1(VALU_DEP_1)
	v_dual_cndmask_b32 v66, v66, v160 :: v_dual_and_b32 v129, 0x80000000, v129
	v_lshlrev_b32_e32 v66, 20, v66
	s_delay_alu instid0(VALU_DEP_1)
	v_or3_b32 v66, v129, v147, v66
.LBB6_8968:                             ;   in Loop: Header=BB6_8134 Depth=2
	s_or_b32 exec_lo, exec_lo, s23
	s_delay_alu instid0(VALU_DEP_1) | instskip(NEXT) | instid1(VALU_DEP_1)
	v_add_f32_e32 v129, v134, v66
	v_and_b32_e32 v66, 0x7f800000, v129
	s_delay_alu instid0(VALU_DEP_1)
	v_cmp_ne_u32_e32 vcc_lo, 0x7f800000, v66
	v_mov_b32_e32 v66, 0x80
	s_and_saveexec_b32 s23, vcc_lo
	s_cbranch_execz .LBB6_8976
; %bb.8969:                             ;   in Loop: Header=BB6_8134 Depth=2
	v_mov_b32_e32 v66, 0
	s_mov_b32 s24, exec_lo
	v_cmpx_ne_u32_e32 0, v129
	s_cbranch_execz .LBB6_8975
; %bb.8970:                             ;   in Loop: Header=BB6_8134 Depth=2
	v_bfe_u32 v66, v129, 23, 8
	s_delay_alu instid0(VALU_DEP_1) | instskip(SKIP_1) | instid1(VALU_DEP_2)
	v_sub_nc_u32_e32 v147, 0x78, v66
	v_cmp_gt_u32_e32 vcc_lo, 0x79, v66
	v_dual_cndmask_b32 v147, 0, v147 :: v_dual_and_b32 v134, 0x7fffff, v129
	s_delay_alu instid0(VALU_DEP_1) | instskip(SKIP_2) | instid1(VALU_DEP_4)
	v_or_b32_e32 v160, 0x800000, v134
	v_cmp_eq_u32_e32 vcc_lo, 0, v66
	v_add_nc_u32_e32 v66, 0xffffff89, v66
	v_cndmask_b32_e64 v147, v147, 0x77, vcc_lo
	s_delay_alu instid0(VALU_DEP_4) | instskip(NEXT) | instid1(VALU_DEP_3)
	v_cndmask_b32_e32 v134, v160, v134, vcc_lo
	v_cndmask_b32_e64 v66, v66, 0xffffff8a, vcc_lo
	s_delay_alu instid0(VALU_DEP_3) | instskip(NEXT) | instid1(VALU_DEP_3)
	v_lshl_add_u32 v160, 0x100000, v147, -1
	v_lshrrev_b32_e32 v164, v147, v134
	v_lshlrev_b32_e64 v166, v147, 0x80000
	s_delay_alu instid0(VALU_DEP_4) | instskip(NEXT) | instid1(VALU_DEP_4)
	v_add_nc_u32_e32 v147, v147, v66
	v_and_b32_e32 v134, v160, v134
	s_delay_alu instid0(VALU_DEP_4) | instskip(NEXT) | instid1(VALU_DEP_2)
	v_bfe_u32 v165, v164, 20, 1
	v_cmp_eq_u32_e64 s7, v134, v166
	s_delay_alu instid0(VALU_DEP_2) | instskip(NEXT) | instid1(VALU_DEP_1)
	v_add_nc_u32_e32 v160, -1, v165
	v_cndmask_b32_e64 v134, 0, v160, s7
	v_lshrrev_b32_e32 v160, 23, v164
	s_mov_b32 s7, exec_lo
	s_delay_alu instid0(VALU_DEP_2) | instskip(NEXT) | instid1(VALU_DEP_2)
	v_add_nc_u32_e32 v134, v134, v164
	v_xor_b32_e32 v160, 1, v160
	s_delay_alu instid0(VALU_DEP_2) | instskip(NEXT) | instid1(VALU_DEP_1)
	v_and_b32_e32 v66, 0xfffff, v134
	v_add_nc_u32_e32 v134, v66, v164
                                        ; implicit-def: $vgpr66
	s_delay_alu instid0(VALU_DEP_3)
	v_cmpx_ne_u32_e64 v147, v160
	s_xor_b32 s7, exec_lo, s7
; %bb.8971:                             ;   in Loop: Header=BB6_8134 Depth=2
	s_delay_alu instid0(VALU_DEP_2) | instskip(SKIP_2) | instid1(VALU_DEP_2)
	v_cmp_lt_u32_e32 vcc_lo, 0xffffff, v134
	v_sub_nc_u32_e32 v66, v147, v160
	v_cndmask_b32_e64 v147, 0, 1, vcc_lo
	v_add_co_ci_u32_e32 v66, vcc_lo, 0, v66, vcc_lo
	s_delay_alu instid0(VALU_DEP_2)
	v_lshrrev_b32_e32 v134, v147, v134
; %bb.8972:                             ;   in Loop: Header=BB6_8134 Depth=2
	s_and_not1_saveexec_b32 s7, s7
; %bb.8973:                             ;   in Loop: Header=BB6_8134 Depth=2
	s_delay_alu instid0(VALU_DEP_1)
	v_bfe_u32 v66, v134, 23, 1
; %bb.8974:                             ;   in Loop: Header=BB6_8134 Depth=2
	s_or_b32 exec_lo, exec_lo, s7
	v_lshrrev_b32_e32 v134, 20, v134
	s_delay_alu instid0(VALU_DEP_2) | instskip(SKIP_2) | instid1(VALU_DEP_2)
	v_cmp_gt_i32_e32 vcc_lo, 16, v66
	v_lshrrev_b32_e32 v129, 24, v129
	v_min_i32_e32 v147, 15, v66
	v_dual_cndmask_b32 v134, 7, v134 :: v_dual_and_b32 v129, 0x80, v129
	s_delay_alu instid0(VALU_DEP_1) | instskip(SKIP_1) | instid1(VALU_DEP_2)
	v_or_b32_e32 v66, v66, v134
	v_and_b32_e32 v160, 7, v134
	v_cmp_ne_u32_e32 vcc_lo, 0, v66
	v_lshlrev_b32_e32 v147, 3, v147
	s_delay_alu instid0(VALU_DEP_1) | instskip(NEXT) | instid1(VALU_DEP_1)
	v_or3_b32 v129, v147, v129, v160
	v_cndmask_b32_e32 v66, 0, v129, vcc_lo
.LBB6_8975:                             ;   in Loop: Header=BB6_8134 Depth=2
	s_or_b32 exec_lo, exec_lo, s24
.LBB6_8976:                             ;   in Loop: Header=BB6_8134 Depth=2
	s_delay_alu instid0(SALU_CYCLE_1) | instskip(SKIP_3) | instid1(VALU_DEP_1)
	s_or_b32 exec_lo, exec_lo, s23
	v_and_b32_e32 v134, 0xff, v65
	s_mov_b32 s7, 0
	s_mov_b32 s24, exec_lo
                                        ; implicit-def: $sgpr23
	v_cmpx_lt_i16_e64 0x7f, v134
	s_xor_b32 s24, exec_lo, s24
	s_cbranch_execnz .LBB6_9393
; %bb.8977:                             ;   in Loop: Header=BB6_8134 Depth=2
	s_or_saveexec_b32 s24, s24
	v_mov_b32_e32 v129, s23
	s_xor_b32 exec_lo, exec_lo, s24
	s_cbranch_execnz .LBB6_9396
.LBB6_8978:                             ;   in Loop: Header=BB6_8134 Depth=2
	s_or_b32 exec_lo, exec_lo, s24
	s_and_saveexec_b32 s23, s7
	s_cbranch_execz .LBB6_8980
.LBB6_8979:                             ;   in Loop: Header=BB6_8134 Depth=2
	v_lshrrev_b16 v160, 3, v65
	s_delay_alu instid0(VALU_DEP_1) | instskip(NEXT) | instid1(VALU_DEP_1)
	v_and_b32_e32 v160, 15, v160
	v_cmp_eq_u32_e32 vcc_lo, 0, v160
	v_and_b32_e32 v129, 7, v65
	s_delay_alu instid0(VALU_DEP_1) | instskip(NEXT) | instid1(VALU_DEP_1)
	v_clz_i32_u32_e32 v134, v129
	v_min_u32_e32 v134, 32, v134
	s_delay_alu instid0(VALU_DEP_1) | instskip(SKIP_1) | instid1(VALU_DEP_1)
	v_subrev_nc_u32_e32 v147, 28, v134
	v_sub_nc_u32_e32 v134, 29, v134
	v_dual_cndmask_b32 v134, v160, v134 :: v_dual_lshlrev_b32 v147, v147, v65
	v_lshlrev_b32_e32 v65, 24, v65
	s_delay_alu instid0(VALU_DEP_2) | instskip(NEXT) | instid1(VALU_DEP_3)
	v_and_b32_e32 v147, 7, v147
	v_lshl_add_u32 v134, v134, 23, 0x3b800000
	s_delay_alu instid0(VALU_DEP_3) | instskip(NEXT) | instid1(VALU_DEP_3)
	v_and_b32_e32 v65, 0x80000000, v65
	v_cndmask_b32_e32 v129, v129, v147, vcc_lo
	s_delay_alu instid0(VALU_DEP_1) | instskip(NEXT) | instid1(VALU_DEP_1)
	v_lshlrev_b32_e32 v129, 20, v129
	v_or3_b32 v129, v65, v134, v129
.LBB6_8980:                             ;   in Loop: Header=BB6_8134 Depth=2
	s_or_b32 exec_lo, exec_lo, s23
	s_waitcnt vmcnt(3) lgkmcnt(3)
	v_and_b32_e32 v134, 0xff, v115
	s_mov_b32 s7, 0
	s_mov_b32 s24, exec_lo
                                        ; implicit-def: $sgpr23
	s_delay_alu instid0(VALU_DEP_1)
	v_cmpx_lt_i16_e64 0x7f, v134
	s_xor_b32 s24, exec_lo, s24
	s_cbranch_execnz .LBB6_9397
; %bb.8981:                             ;   in Loop: Header=BB6_8134 Depth=2
	s_or_saveexec_b32 s24, s24
	v_mov_b32_e32 v65, s23
	s_xor_b32 exec_lo, exec_lo, s24
	s_cbranch_execnz .LBB6_9400
.LBB6_8982:                             ;   in Loop: Header=BB6_8134 Depth=2
	s_or_b32 exec_lo, exec_lo, s24
	s_and_saveexec_b32 s23, s7
	s_cbranch_execz .LBB6_8984
.LBB6_8983:                             ;   in Loop: Header=BB6_8134 Depth=2
	v_lshrrev_b16 v160, 3, v115
	s_delay_alu instid0(VALU_DEP_1) | instskip(NEXT) | instid1(VALU_DEP_1)
	v_and_b32_e32 v160, 15, v160
	v_cmp_eq_u32_e32 vcc_lo, 0, v160
	v_and_b32_e32 v65, 7, v115
	s_delay_alu instid0(VALU_DEP_1) | instskip(NEXT) | instid1(VALU_DEP_1)
	v_clz_i32_u32_e32 v134, v65
	v_min_u32_e32 v134, 32, v134
	s_delay_alu instid0(VALU_DEP_1) | instskip(SKIP_1) | instid1(VALU_DEP_1)
	v_subrev_nc_u32_e32 v147, 28, v134
	v_sub_nc_u32_e32 v134, 29, v134
	v_dual_cndmask_b32 v134, v160, v134 :: v_dual_lshlrev_b32 v147, v147, v115
	v_lshlrev_b32_e32 v115, 24, v115
	s_delay_alu instid0(VALU_DEP_2) | instskip(NEXT) | instid1(VALU_DEP_3)
	v_and_b32_e32 v147, 7, v147
	v_lshl_add_u32 v134, v134, 23, 0x3b800000
	s_delay_alu instid0(VALU_DEP_3) | instskip(NEXT) | instid1(VALU_DEP_3)
	v_and_b32_e32 v115, 0x80000000, v115
	v_cndmask_b32_e32 v65, v65, v147, vcc_lo
	s_delay_alu instid0(VALU_DEP_1) | instskip(NEXT) | instid1(VALU_DEP_1)
	v_lshlrev_b32_e32 v65, 20, v65
	v_or3_b32 v65, v115, v134, v65
.LBB6_8984:                             ;   in Loop: Header=BB6_8134 Depth=2
	s_or_b32 exec_lo, exec_lo, s23
	s_delay_alu instid0(VALU_DEP_1) | instskip(NEXT) | instid1(VALU_DEP_1)
	v_add_f32_e32 v115, v129, v65
	v_and_b32_e32 v65, 0x7f800000, v115
	s_delay_alu instid0(VALU_DEP_1)
	v_cmp_ne_u32_e32 vcc_lo, 0x7f800000, v65
	v_mov_b32_e32 v65, 0x80
	s_and_saveexec_b32 s23, vcc_lo
	s_cbranch_execz .LBB6_8992
; %bb.8985:                             ;   in Loop: Header=BB6_8134 Depth=2
	v_mov_b32_e32 v65, 0
	s_mov_b32 s24, exec_lo
	v_cmpx_ne_u32_e32 0, v115
	s_cbranch_execz .LBB6_8991
; %bb.8986:                             ;   in Loop: Header=BB6_8134 Depth=2
	v_bfe_u32 v65, v115, 23, 8
	s_delay_alu instid0(VALU_DEP_1) | instskip(SKIP_1) | instid1(VALU_DEP_2)
	v_sub_nc_u32_e32 v134, 0x78, v65
	v_cmp_gt_u32_e32 vcc_lo, 0x79, v65
	v_dual_cndmask_b32 v134, 0, v134 :: v_dual_and_b32 v129, 0x7fffff, v115
	s_delay_alu instid0(VALU_DEP_1) | instskip(SKIP_2) | instid1(VALU_DEP_4)
	v_or_b32_e32 v147, 0x800000, v129
	v_cmp_eq_u32_e32 vcc_lo, 0, v65
	v_add_nc_u32_e32 v65, 0xffffff89, v65
	v_cndmask_b32_e64 v134, v134, 0x77, vcc_lo
	s_delay_alu instid0(VALU_DEP_4) | instskip(NEXT) | instid1(VALU_DEP_3)
	v_cndmask_b32_e32 v129, v147, v129, vcc_lo
	v_cndmask_b32_e64 v65, v65, 0xffffff8a, vcc_lo
	s_delay_alu instid0(VALU_DEP_3) | instskip(NEXT) | instid1(VALU_DEP_3)
	v_lshl_add_u32 v147, 0x100000, v134, -1
	v_lshrrev_b32_e32 v160, v134, v129
	v_lshlrev_b32_e64 v165, v134, 0x80000
	s_delay_alu instid0(VALU_DEP_4) | instskip(NEXT) | instid1(VALU_DEP_4)
	v_add_nc_u32_e32 v134, v134, v65
	v_and_b32_e32 v129, v147, v129
	s_delay_alu instid0(VALU_DEP_4) | instskip(NEXT) | instid1(VALU_DEP_2)
	v_bfe_u32 v164, v160, 20, 1
	v_cmp_eq_u32_e64 s7, v129, v165
	s_delay_alu instid0(VALU_DEP_2) | instskip(NEXT) | instid1(VALU_DEP_1)
	v_add_nc_u32_e32 v147, -1, v164
	v_cndmask_b32_e64 v129, 0, v147, s7
	v_lshrrev_b32_e32 v147, 23, v160
	s_mov_b32 s7, exec_lo
	s_delay_alu instid0(VALU_DEP_2) | instskip(NEXT) | instid1(VALU_DEP_2)
	v_add_nc_u32_e32 v129, v129, v160
	v_xor_b32_e32 v147, 1, v147
	s_delay_alu instid0(VALU_DEP_2) | instskip(NEXT) | instid1(VALU_DEP_1)
	v_and_b32_e32 v65, 0xfffff, v129
	v_add_nc_u32_e32 v129, v65, v160
                                        ; implicit-def: $vgpr65
	s_delay_alu instid0(VALU_DEP_3)
	v_cmpx_ne_u32_e64 v134, v147
	s_xor_b32 s7, exec_lo, s7
; %bb.8987:                             ;   in Loop: Header=BB6_8134 Depth=2
	s_delay_alu instid0(VALU_DEP_2) | instskip(SKIP_2) | instid1(VALU_DEP_2)
	v_cmp_lt_u32_e32 vcc_lo, 0xffffff, v129
	v_sub_nc_u32_e32 v65, v134, v147
	v_cndmask_b32_e64 v134, 0, 1, vcc_lo
	v_add_co_ci_u32_e32 v65, vcc_lo, 0, v65, vcc_lo
	s_delay_alu instid0(VALU_DEP_2)
	v_lshrrev_b32_e32 v129, v134, v129
; %bb.8988:                             ;   in Loop: Header=BB6_8134 Depth=2
	s_and_not1_saveexec_b32 s7, s7
; %bb.8989:                             ;   in Loop: Header=BB6_8134 Depth=2
	s_delay_alu instid0(VALU_DEP_1)
	v_bfe_u32 v65, v129, 23, 1
; %bb.8990:                             ;   in Loop: Header=BB6_8134 Depth=2
	s_or_b32 exec_lo, exec_lo, s7
	v_lshrrev_b32_e32 v129, 20, v129
	s_delay_alu instid0(VALU_DEP_2) | instskip(SKIP_2) | instid1(VALU_DEP_4)
	v_cmp_gt_i32_e32 vcc_lo, 16, v65
	v_lshrrev_b32_e32 v115, 24, v115
	v_min_i32_e32 v134, 15, v65
	v_cndmask_b32_e32 v129, 7, v129, vcc_lo
	s_delay_alu instid0(VALU_DEP_3) | instskip(NEXT) | instid1(VALU_DEP_3)
	v_and_b32_e32 v115, 0x80, v115
	v_lshlrev_b32_e32 v134, 3, v134
	s_delay_alu instid0(VALU_DEP_3) | instskip(SKIP_1) | instid1(VALU_DEP_2)
	v_and_b32_e32 v147, 7, v129
	v_or_b32_e32 v65, v65, v129
	v_or3_b32 v115, v134, v115, v147
	s_delay_alu instid0(VALU_DEP_2) | instskip(NEXT) | instid1(VALU_DEP_2)
	v_cmp_ne_u32_e32 vcc_lo, 0, v65
	v_cndmask_b32_e32 v65, 0, v115, vcc_lo
.LBB6_8991:                             ;   in Loop: Header=BB6_8134 Depth=2
	s_or_b32 exec_lo, exec_lo, s24
.LBB6_8992:                             ;   in Loop: Header=BB6_8134 Depth=2
	s_delay_alu instid0(SALU_CYCLE_1) | instskip(SKIP_3) | instid1(VALU_DEP_1)
	s_or_b32 exec_lo, exec_lo, s23
	v_and_b32_e32 v129, 0xff, v25
	s_mov_b32 s7, 0
	s_mov_b32 s24, exec_lo
                                        ; implicit-def: $sgpr23
	v_cmpx_lt_i16_e64 0x7f, v129
	s_xor_b32 s24, exec_lo, s24
	s_cbranch_execnz .LBB6_9401
; %bb.8993:                             ;   in Loop: Header=BB6_8134 Depth=2
	s_or_saveexec_b32 s24, s24
	v_mov_b32_e32 v115, s23
	s_xor_b32 exec_lo, exec_lo, s24
	s_cbranch_execnz .LBB6_9404
.LBB6_8994:                             ;   in Loop: Header=BB6_8134 Depth=2
	s_or_b32 exec_lo, exec_lo, s24
	s_and_saveexec_b32 s23, s7
	s_cbranch_execz .LBB6_8996
.LBB6_8995:                             ;   in Loop: Header=BB6_8134 Depth=2
	v_and_b32_e32 v115, 7, v25
	v_lshrrev_b16 v147, 3, v25
	s_delay_alu instid0(VALU_DEP_2) | instskip(NEXT) | instid1(VALU_DEP_2)
	v_clz_i32_u32_e32 v129, v115
	v_and_b32_e32 v147, 15, v147
	s_delay_alu instid0(VALU_DEP_2) | instskip(NEXT) | instid1(VALU_DEP_2)
	v_min_u32_e32 v129, 32, v129
	v_cmp_eq_u32_e32 vcc_lo, 0, v147
	s_delay_alu instid0(VALU_DEP_2) | instskip(SKIP_1) | instid1(VALU_DEP_2)
	v_subrev_nc_u32_e32 v134, 28, v129
	v_sub_nc_u32_e32 v129, 29, v129
	v_lshlrev_b32_e32 v134, v134, v25
	v_lshlrev_b32_e32 v25, 24, v25
	s_delay_alu instid0(VALU_DEP_2) | instskip(NEXT) | instid1(VALU_DEP_2)
	v_dual_cndmask_b32 v129, v147, v129 :: v_dual_and_b32 v134, 7, v134
	v_and_b32_e32 v25, 0x80000000, v25
	s_delay_alu instid0(VALU_DEP_2) | instskip(NEXT) | instid1(VALU_DEP_3)
	v_lshl_add_u32 v129, v129, 23, 0x3b800000
	v_cndmask_b32_e32 v115, v115, v134, vcc_lo
	s_delay_alu instid0(VALU_DEP_1) | instskip(NEXT) | instid1(VALU_DEP_1)
	v_lshlrev_b32_e32 v115, 20, v115
	v_or3_b32 v115, v25, v129, v115
.LBB6_8996:                             ;   in Loop: Header=BB6_8134 Depth=2
	s_or_b32 exec_lo, exec_lo, s23
	s_waitcnt vmcnt(2) lgkmcnt(2)
	v_and_b32_e32 v129, 0xff, v69
	s_mov_b32 s7, 0
	s_mov_b32 s24, exec_lo
                                        ; implicit-def: $sgpr23
	s_delay_alu instid0(VALU_DEP_1)
	v_cmpx_lt_i16_e64 0x7f, v129
	s_xor_b32 s24, exec_lo, s24
	s_cbranch_execnz .LBB6_9405
; %bb.8997:                             ;   in Loop: Header=BB6_8134 Depth=2
	s_or_saveexec_b32 s24, s24
	v_mov_b32_e32 v25, s23
	s_xor_b32 exec_lo, exec_lo, s24
	s_cbranch_execnz .LBB6_9408
.LBB6_8998:                             ;   in Loop: Header=BB6_8134 Depth=2
	s_or_b32 exec_lo, exec_lo, s24
	s_and_saveexec_b32 s23, s7
	s_cbranch_execz .LBB6_9000
.LBB6_8999:                             ;   in Loop: Header=BB6_8134 Depth=2
	v_and_b32_e32 v25, 7, v69
	v_lshrrev_b16 v147, 3, v69
	s_delay_alu instid0(VALU_DEP_2) | instskip(NEXT) | instid1(VALU_DEP_2)
	v_clz_i32_u32_e32 v129, v25
	v_and_b32_e32 v147, 15, v147
	s_delay_alu instid0(VALU_DEP_2) | instskip(NEXT) | instid1(VALU_DEP_2)
	v_min_u32_e32 v129, 32, v129
	v_cmp_eq_u32_e32 vcc_lo, 0, v147
	s_delay_alu instid0(VALU_DEP_2) | instskip(SKIP_1) | instid1(VALU_DEP_2)
	v_subrev_nc_u32_e32 v134, 28, v129
	v_sub_nc_u32_e32 v129, 29, v129
	v_lshlrev_b32_e32 v134, v134, v69
	v_lshlrev_b32_e32 v69, 24, v69
	s_delay_alu instid0(VALU_DEP_2) | instskip(NEXT) | instid1(VALU_DEP_2)
	v_dual_cndmask_b32 v129, v147, v129 :: v_dual_and_b32 v134, 7, v134
	v_and_b32_e32 v69, 0x80000000, v69
	s_delay_alu instid0(VALU_DEP_2) | instskip(NEXT) | instid1(VALU_DEP_3)
	v_lshl_add_u32 v129, v129, 23, 0x3b800000
	v_cndmask_b32_e32 v25, v25, v134, vcc_lo
	s_delay_alu instid0(VALU_DEP_1) | instskip(NEXT) | instid1(VALU_DEP_1)
	v_lshlrev_b32_e32 v25, 20, v25
	v_or3_b32 v25, v69, v129, v25
.LBB6_9000:                             ;   in Loop: Header=BB6_8134 Depth=2
	s_or_b32 exec_lo, exec_lo, s23
	s_delay_alu instid0(VALU_DEP_1) | instskip(NEXT) | instid1(VALU_DEP_1)
	v_add_f32_e32 v69, v115, v25
	v_and_b32_e32 v25, 0x7f800000, v69
	s_delay_alu instid0(VALU_DEP_1)
	v_cmp_ne_u32_e32 vcc_lo, 0x7f800000, v25
	v_mov_b32_e32 v25, 0x80
	s_and_saveexec_b32 s23, vcc_lo
	s_cbranch_execz .LBB6_9008
; %bb.9001:                             ;   in Loop: Header=BB6_8134 Depth=2
	v_mov_b32_e32 v25, 0
	s_mov_b32 s24, exec_lo
	v_cmpx_ne_u32_e32 0, v69
	s_cbranch_execz .LBB6_9007
; %bb.9002:                             ;   in Loop: Header=BB6_8134 Depth=2
	v_bfe_u32 v25, v69, 23, 8
	v_and_b32_e32 v115, 0x7fffff, v69
	s_delay_alu instid0(VALU_DEP_2) | instskip(SKIP_1) | instid1(VALU_DEP_3)
	v_sub_nc_u32_e32 v129, 0x78, v25
	v_cmp_gt_u32_e32 vcc_lo, 0x79, v25
	v_or_b32_e32 v134, 0x800000, v115
	s_delay_alu instid0(VALU_DEP_3) | instskip(SKIP_2) | instid1(VALU_DEP_3)
	v_cndmask_b32_e32 v129, 0, v129, vcc_lo
	v_cmp_eq_u32_e32 vcc_lo, 0, v25
	v_add_nc_u32_e32 v25, 0xffffff89, v25
	v_cndmask_b32_e64 v129, v129, 0x77, vcc_lo
	v_cndmask_b32_e32 v115, v134, v115, vcc_lo
	s_delay_alu instid0(VALU_DEP_3) | instskip(NEXT) | instid1(VALU_DEP_3)
	v_cndmask_b32_e64 v25, v25, 0xffffff8a, vcc_lo
	v_lshl_add_u32 v134, 0x100000, v129, -1
	s_delay_alu instid0(VALU_DEP_3) | instskip(SKIP_1) | instid1(VALU_DEP_4)
	v_lshrrev_b32_e32 v147, v129, v115
	v_lshlrev_b32_e64 v164, v129, 0x80000
	v_add_nc_u32_e32 v129, v129, v25
	s_delay_alu instid0(VALU_DEP_4) | instskip(NEXT) | instid1(VALU_DEP_4)
	v_and_b32_e32 v115, v134, v115
	v_bfe_u32 v160, v147, 20, 1
	s_delay_alu instid0(VALU_DEP_2) | instskip(NEXT) | instid1(VALU_DEP_2)
	v_cmp_eq_u32_e64 s7, v115, v164
	v_add_nc_u32_e32 v134, -1, v160
	s_delay_alu instid0(VALU_DEP_1) | instskip(SKIP_2) | instid1(VALU_DEP_2)
	v_cndmask_b32_e64 v115, 0, v134, s7
	v_lshrrev_b32_e32 v134, 23, v147
	s_mov_b32 s7, exec_lo
	v_add_nc_u32_e32 v115, v115, v147
	s_delay_alu instid0(VALU_DEP_2) | instskip(NEXT) | instid1(VALU_DEP_2)
	v_xor_b32_e32 v134, 1, v134
	v_and_b32_e32 v25, 0xfffff, v115
	s_delay_alu instid0(VALU_DEP_1) | instskip(NEXT) | instid1(VALU_DEP_3)
	v_add_nc_u32_e32 v115, v25, v147
                                        ; implicit-def: $vgpr25
	v_cmpx_ne_u32_e64 v129, v134
	s_xor_b32 s7, exec_lo, s7
; %bb.9003:                             ;   in Loop: Header=BB6_8134 Depth=2
	s_delay_alu instid0(VALU_DEP_2) | instskip(SKIP_2) | instid1(VALU_DEP_2)
	v_cmp_lt_u32_e32 vcc_lo, 0xffffff, v115
	v_sub_nc_u32_e32 v25, v129, v134
	v_cndmask_b32_e64 v129, 0, 1, vcc_lo
	v_add_co_ci_u32_e32 v25, vcc_lo, 0, v25, vcc_lo
	s_delay_alu instid0(VALU_DEP_2)
	v_lshrrev_b32_e32 v115, v129, v115
; %bb.9004:                             ;   in Loop: Header=BB6_8134 Depth=2
	s_and_not1_saveexec_b32 s7, s7
; %bb.9005:                             ;   in Loop: Header=BB6_8134 Depth=2
	s_delay_alu instid0(VALU_DEP_1)
	v_bfe_u32 v25, v115, 23, 1
; %bb.9006:                             ;   in Loop: Header=BB6_8134 Depth=2
	s_or_b32 exec_lo, exec_lo, s7
	v_lshrrev_b32_e32 v115, 20, v115
	s_delay_alu instid0(VALU_DEP_2) | instskip(SKIP_2) | instid1(VALU_DEP_4)
	v_cmp_gt_i32_e32 vcc_lo, 16, v25
	v_lshrrev_b32_e32 v69, 24, v69
	v_min_i32_e32 v129, 15, v25
	v_cndmask_b32_e32 v115, 7, v115, vcc_lo
	s_delay_alu instid0(VALU_DEP_3) | instskip(NEXT) | instid1(VALU_DEP_3)
	v_and_b32_e32 v69, 0x80, v69
	v_lshlrev_b32_e32 v129, 3, v129
	s_delay_alu instid0(VALU_DEP_3) | instskip(NEXT) | instid1(VALU_DEP_1)
	v_or_b32_e32 v25, v25, v115
	v_cmp_ne_u32_e32 vcc_lo, 0, v25
	v_and_b32_e32 v134, 7, v115
	s_delay_alu instid0(VALU_DEP_1) | instskip(NEXT) | instid1(VALU_DEP_1)
	v_or3_b32 v69, v129, v69, v134
	v_cndmask_b32_e32 v25, 0, v69, vcc_lo
.LBB6_9007:                             ;   in Loop: Header=BB6_8134 Depth=2
	s_or_b32 exec_lo, exec_lo, s24
.LBB6_9008:                             ;   in Loop: Header=BB6_8134 Depth=2
	s_delay_alu instid0(SALU_CYCLE_1) | instskip(SKIP_3) | instid1(VALU_DEP_1)
	s_or_b32 exec_lo, exec_lo, s23
	v_and_b32_e32 v115, 0xff, v23
	s_mov_b32 s7, 0
	s_mov_b32 s24, exec_lo
                                        ; implicit-def: $sgpr23
	v_cmpx_lt_i16_e32 0x7f, v115
	s_xor_b32 s24, exec_lo, s24
	s_cbranch_execnz .LBB6_9409
; %bb.9009:                             ;   in Loop: Header=BB6_8134 Depth=2
	s_or_saveexec_b32 s24, s24
	v_mov_b32_e32 v69, s23
	s_xor_b32 exec_lo, exec_lo, s24
	s_cbranch_execnz .LBB6_9412
.LBB6_9010:                             ;   in Loop: Header=BB6_8134 Depth=2
	s_or_b32 exec_lo, exec_lo, s24
	s_and_saveexec_b32 s23, s7
	s_cbranch_execz .LBB6_9012
.LBB6_9011:                             ;   in Loop: Header=BB6_8134 Depth=2
	v_and_b32_e32 v69, 7, v23
	v_lshrrev_b16 v134, 3, v23
	s_delay_alu instid0(VALU_DEP_2) | instskip(NEXT) | instid1(VALU_DEP_1)
	v_clz_i32_u32_e32 v115, v69
	v_min_u32_e32 v115, 32, v115
	s_delay_alu instid0(VALU_DEP_1) | instskip(SKIP_1) | instid1(VALU_DEP_2)
	v_subrev_nc_u32_e32 v129, 28, v115
	v_sub_nc_u32_e32 v115, 29, v115
	v_lshlrev_b32_e32 v129, v129, v23
	v_lshlrev_b32_e32 v23, 24, v23
	s_delay_alu instid0(VALU_DEP_2) | instskip(SKIP_1) | instid1(VALU_DEP_3)
	v_and_b32_e32 v129, 7, v129
	v_and_b32_e32 v134, 15, v134
	;; [unrolled: 1-line block ×3, first 2 shown]
	s_delay_alu instid0(VALU_DEP_2) | instskip(NEXT) | instid1(VALU_DEP_4)
	v_cmp_eq_u32_e32 vcc_lo, 0, v134
	v_cndmask_b32_e32 v69, v69, v129, vcc_lo
	v_cndmask_b32_e32 v115, v134, v115, vcc_lo
	s_delay_alu instid0(VALU_DEP_2) | instskip(NEXT) | instid1(VALU_DEP_2)
	v_lshlrev_b32_e32 v69, 20, v69
	v_lshl_add_u32 v115, v115, 23, 0x3b800000
	s_delay_alu instid0(VALU_DEP_1)
	v_or3_b32 v69, v23, v115, v69
.LBB6_9012:                             ;   in Loop: Header=BB6_8134 Depth=2
	s_or_b32 exec_lo, exec_lo, s23
	s_waitcnt vmcnt(1) lgkmcnt(1)
	v_and_b32_e32 v115, 0xff, v64
	s_mov_b32 s7, 0
	s_mov_b32 s24, exec_lo
                                        ; implicit-def: $sgpr23
	s_delay_alu instid0(VALU_DEP_1)
	v_cmpx_lt_i16_e32 0x7f, v115
	s_xor_b32 s24, exec_lo, s24
	s_cbranch_execnz .LBB6_9413
; %bb.9013:                             ;   in Loop: Header=BB6_8134 Depth=2
	s_or_saveexec_b32 s24, s24
	v_mov_b32_e32 v23, s23
	s_xor_b32 exec_lo, exec_lo, s24
	s_cbranch_execnz .LBB6_9416
.LBB6_9014:                             ;   in Loop: Header=BB6_8134 Depth=2
	s_or_b32 exec_lo, exec_lo, s24
	s_and_saveexec_b32 s23, s7
	s_cbranch_execz .LBB6_9016
.LBB6_9015:                             ;   in Loop: Header=BB6_8134 Depth=2
	v_and_b32_e32 v23, 7, v64
	v_lshrrev_b16 v134, 3, v64
	s_delay_alu instid0(VALU_DEP_2) | instskip(NEXT) | instid1(VALU_DEP_1)
	v_clz_i32_u32_e32 v115, v23
	v_min_u32_e32 v115, 32, v115
	s_delay_alu instid0(VALU_DEP_1) | instskip(SKIP_1) | instid1(VALU_DEP_2)
	v_subrev_nc_u32_e32 v129, 28, v115
	v_sub_nc_u32_e32 v115, 29, v115
	v_lshlrev_b32_e32 v129, v129, v64
	s_delay_alu instid0(VALU_DEP_1) | instskip(SKIP_1) | instid1(VALU_DEP_1)
	v_and_b32_e32 v129, 7, v129
	v_and_b32_e32 v134, 15, v134
	v_cmp_eq_u32_e32 vcc_lo, 0, v134
	s_delay_alu instid0(VALU_DEP_3) | instskip(SKIP_1) | instid1(VALU_DEP_2)
	v_dual_cndmask_b32 v23, v23, v129 :: v_dual_lshlrev_b32 v64, 24, v64
	v_cndmask_b32_e32 v115, v134, v115, vcc_lo
	v_lshlrev_b32_e32 v23, 20, v23
	s_delay_alu instid0(VALU_DEP_3) | instskip(NEXT) | instid1(VALU_DEP_3)
	v_and_b32_e32 v64, 0x80000000, v64
	v_lshl_add_u32 v115, v115, 23, 0x3b800000
	s_delay_alu instid0(VALU_DEP_1)
	v_or3_b32 v23, v64, v115, v23
.LBB6_9016:                             ;   in Loop: Header=BB6_8134 Depth=2
	s_or_b32 exec_lo, exec_lo, s23
	s_delay_alu instid0(VALU_DEP_1) | instskip(NEXT) | instid1(VALU_DEP_1)
	v_add_f32_e32 v64, v69, v23
	v_and_b32_e32 v23, 0x7f800000, v64
	s_delay_alu instid0(VALU_DEP_1)
	v_cmp_ne_u32_e32 vcc_lo, 0x7f800000, v23
	v_mov_b32_e32 v23, 0x80
	s_and_saveexec_b32 s23, vcc_lo
	s_cbranch_execz .LBB6_9024
; %bb.9017:                             ;   in Loop: Header=BB6_8134 Depth=2
	v_mov_b32_e32 v23, 0
	s_mov_b32 s24, exec_lo
	v_cmpx_ne_u32_e32 0, v64
	s_cbranch_execz .LBB6_9023
; %bb.9018:                             ;   in Loop: Header=BB6_8134 Depth=2
	v_bfe_u32 v23, v64, 23, 8
	v_and_b32_e32 v69, 0x7fffff, v64
	s_delay_alu instid0(VALU_DEP_2) | instskip(SKIP_1) | instid1(VALU_DEP_3)
	v_sub_nc_u32_e32 v115, 0x78, v23
	v_cmp_gt_u32_e32 vcc_lo, 0x79, v23
	v_or_b32_e32 v129, 0x800000, v69
	s_delay_alu instid0(VALU_DEP_3) | instskip(SKIP_2) | instid1(VALU_DEP_3)
	v_cndmask_b32_e32 v115, 0, v115, vcc_lo
	v_cmp_eq_u32_e32 vcc_lo, 0, v23
	v_add_nc_u32_e32 v23, 0xffffff89, v23
	v_cndmask_b32_e64 v115, v115, 0x77, vcc_lo
	v_cndmask_b32_e32 v69, v129, v69, vcc_lo
	s_delay_alu instid0(VALU_DEP_3) | instskip(NEXT) | instid1(VALU_DEP_3)
	v_cndmask_b32_e64 v23, v23, 0xffffff8a, vcc_lo
	v_lshl_add_u32 v129, 0x100000, v115, -1
	s_delay_alu instid0(VALU_DEP_3) | instskip(SKIP_1) | instid1(VALU_DEP_4)
	v_lshrrev_b32_e32 v134, v115, v69
	v_lshlrev_b32_e64 v160, v115, 0x80000
	v_add_nc_u32_e32 v115, v115, v23
	s_delay_alu instid0(VALU_DEP_4) | instskip(NEXT) | instid1(VALU_DEP_4)
	v_and_b32_e32 v69, v129, v69
	v_bfe_u32 v147, v134, 20, 1
	s_delay_alu instid0(VALU_DEP_2) | instskip(NEXT) | instid1(VALU_DEP_2)
	v_cmp_eq_u32_e64 s7, v69, v160
	v_add_nc_u32_e32 v129, -1, v147
	s_delay_alu instid0(VALU_DEP_1) | instskip(SKIP_2) | instid1(VALU_DEP_2)
	v_cndmask_b32_e64 v69, 0, v129, s7
	v_lshrrev_b32_e32 v129, 23, v134
	s_mov_b32 s7, exec_lo
	v_add_nc_u32_e32 v69, v69, v134
	s_delay_alu instid0(VALU_DEP_2) | instskip(NEXT) | instid1(VALU_DEP_2)
	v_xor_b32_e32 v129, 1, v129
	v_and_b32_e32 v23, 0xfffff, v69
	s_delay_alu instid0(VALU_DEP_1) | instskip(NEXT) | instid1(VALU_DEP_3)
	v_add_nc_u32_e32 v69, v23, v134
                                        ; implicit-def: $vgpr23
	v_cmpx_ne_u32_e64 v115, v129
	s_xor_b32 s7, exec_lo, s7
; %bb.9019:                             ;   in Loop: Header=BB6_8134 Depth=2
	s_delay_alu instid0(VALU_DEP_2) | instskip(SKIP_2) | instid1(VALU_DEP_2)
	v_cmp_lt_u32_e32 vcc_lo, 0xffffff, v69
	v_sub_nc_u32_e32 v23, v115, v129
	v_cndmask_b32_e64 v115, 0, 1, vcc_lo
	v_add_co_ci_u32_e32 v23, vcc_lo, 0, v23, vcc_lo
	s_delay_alu instid0(VALU_DEP_2)
	v_lshrrev_b32_e32 v69, v115, v69
; %bb.9020:                             ;   in Loop: Header=BB6_8134 Depth=2
	s_and_not1_saveexec_b32 s7, s7
; %bb.9021:                             ;   in Loop: Header=BB6_8134 Depth=2
	s_delay_alu instid0(VALU_DEP_1)
	v_bfe_u32 v23, v69, 23, 1
; %bb.9022:                             ;   in Loop: Header=BB6_8134 Depth=2
	s_or_b32 exec_lo, exec_lo, s7
	v_lshrrev_b32_e32 v69, 20, v69
	s_delay_alu instid0(VALU_DEP_2) | instskip(SKIP_2) | instid1(VALU_DEP_2)
	v_cmp_gt_i32_e32 vcc_lo, 16, v23
	v_lshrrev_b32_e32 v64, 24, v64
	v_min_i32_e32 v115, 15, v23
	v_dual_cndmask_b32 v69, 7, v69 :: v_dual_and_b32 v64, 0x80, v64
	s_delay_alu instid0(VALU_DEP_2) | instskip(NEXT) | instid1(VALU_DEP_2)
	v_lshlrev_b32_e32 v115, 3, v115
	v_and_b32_e32 v129, 7, v69
	v_or_b32_e32 v23, v23, v69
	s_delay_alu instid0(VALU_DEP_2) | instskip(NEXT) | instid1(VALU_DEP_2)
	v_or3_b32 v64, v115, v64, v129
	v_cmp_ne_u32_e32 vcc_lo, 0, v23
	s_delay_alu instid0(VALU_DEP_2)
	v_cndmask_b32_e32 v23, 0, v64, vcc_lo
.LBB6_9023:                             ;   in Loop: Header=BB6_8134 Depth=2
	s_or_b32 exec_lo, exec_lo, s24
.LBB6_9024:                             ;   in Loop: Header=BB6_8134 Depth=2
	s_delay_alu instid0(SALU_CYCLE_1) | instskip(SKIP_3) | instid1(VALU_DEP_1)
	s_or_b32 exec_lo, exec_lo, s23
	v_and_b32_e32 v69, 0xff, v17
	s_mov_b32 s7, 0
	s_mov_b32 s24, exec_lo
                                        ; implicit-def: $sgpr23
	v_cmpx_lt_i16_e32 0x7f, v69
	s_xor_b32 s24, exec_lo, s24
	s_cbranch_execnz .LBB6_9417
; %bb.9025:                             ;   in Loop: Header=BB6_8134 Depth=2
	s_or_saveexec_b32 s24, s24
	v_mov_b32_e32 v64, s23
	s_xor_b32 exec_lo, exec_lo, s24
	s_cbranch_execnz .LBB6_9420
.LBB6_9026:                             ;   in Loop: Header=BB6_8134 Depth=2
	s_or_b32 exec_lo, exec_lo, s24
	s_and_saveexec_b32 s23, s7
	s_cbranch_execz .LBB6_9028
.LBB6_9027:                             ;   in Loop: Header=BB6_8134 Depth=2
	v_and_b32_e32 v64, 7, v17
	v_lshrrev_b16 v129, 3, v17
	s_delay_alu instid0(VALU_DEP_2) | instskip(NEXT) | instid1(VALU_DEP_1)
	v_clz_i32_u32_e32 v69, v64
	v_min_u32_e32 v69, 32, v69
	s_delay_alu instid0(VALU_DEP_1) | instskip(SKIP_1) | instid1(VALU_DEP_2)
	v_subrev_nc_u32_e32 v115, 28, v69
	v_sub_nc_u32_e32 v69, 29, v69
	v_lshlrev_b32_e32 v115, v115, v17
	v_lshlrev_b32_e32 v17, 24, v17
	s_delay_alu instid0(VALU_DEP_2) | instskip(SKIP_1) | instid1(VALU_DEP_3)
	v_and_b32_e32 v115, 7, v115
	v_and_b32_e32 v129, 15, v129
	v_and_b32_e32 v17, 0x80000000, v17
	s_delay_alu instid0(VALU_DEP_2) | instskip(NEXT) | instid1(VALU_DEP_4)
	v_cmp_eq_u32_e32 vcc_lo, 0, v129
	v_dual_cndmask_b32 v64, v64, v115 :: v_dual_cndmask_b32 v69, v129, v69
	s_delay_alu instid0(VALU_DEP_1) | instskip(NEXT) | instid1(VALU_DEP_2)
	v_lshlrev_b32_e32 v64, 20, v64
	v_lshl_add_u32 v69, v69, 23, 0x3b800000
	s_delay_alu instid0(VALU_DEP_1)
	v_or3_b32 v64, v17, v69, v64
.LBB6_9028:                             ;   in Loop: Header=BB6_8134 Depth=2
	s_or_b32 exec_lo, exec_lo, s23
	s_waitcnt vmcnt(0) lgkmcnt(0)
	v_and_b32_e32 v69, 0xff, v16
	s_mov_b32 s7, 0
	s_mov_b32 s24, exec_lo
                                        ; implicit-def: $sgpr23
	s_delay_alu instid0(VALU_DEP_1)
	v_cmpx_lt_i16_e32 0x7f, v69
	s_xor_b32 s24, exec_lo, s24
	s_cbranch_execnz .LBB6_9421
; %bb.9029:                             ;   in Loop: Header=BB6_8134 Depth=2
	s_or_saveexec_b32 s24, s24
	v_mov_b32_e32 v17, s23
	s_xor_b32 exec_lo, exec_lo, s24
	s_cbranch_execnz .LBB6_9424
.LBB6_9030:                             ;   in Loop: Header=BB6_8134 Depth=2
	s_or_b32 exec_lo, exec_lo, s24
	s_and_saveexec_b32 s23, s7
	s_cbranch_execz .LBB6_9032
.LBB6_9031:                             ;   in Loop: Header=BB6_8134 Depth=2
	v_and_b32_e32 v17, 7, v16
	v_lshrrev_b16 v129, 3, v16
	s_delay_alu instid0(VALU_DEP_2) | instskip(NEXT) | instid1(VALU_DEP_2)
	v_clz_i32_u32_e32 v69, v17
	v_and_b32_e32 v129, 15, v129
	s_delay_alu instid0(VALU_DEP_2) | instskip(NEXT) | instid1(VALU_DEP_2)
	v_min_u32_e32 v69, 32, v69
	v_cmp_eq_u32_e32 vcc_lo, 0, v129
	s_delay_alu instid0(VALU_DEP_2) | instskip(SKIP_1) | instid1(VALU_DEP_2)
	v_subrev_nc_u32_e32 v115, 28, v69
	v_sub_nc_u32_e32 v69, 29, v69
	v_lshlrev_b32_e32 v115, v115, v16
	s_delay_alu instid0(VALU_DEP_2) | instskip(NEXT) | instid1(VALU_DEP_2)
	v_dual_cndmask_b32 v69, v129, v69 :: v_dual_lshlrev_b32 v16, 24, v16
	v_and_b32_e32 v115, 7, v115
	s_delay_alu instid0(VALU_DEP_2) | instskip(NEXT) | instid1(VALU_DEP_3)
	v_and_b32_e32 v16, 0x80000000, v16
	v_lshl_add_u32 v69, v69, 23, 0x3b800000
	s_delay_alu instid0(VALU_DEP_3) | instskip(NEXT) | instid1(VALU_DEP_1)
	v_cndmask_b32_e32 v17, v17, v115, vcc_lo
	v_lshlrev_b32_e32 v17, 20, v17
	s_delay_alu instid0(VALU_DEP_1)
	v_or3_b32 v17, v16, v69, v17
.LBB6_9032:                             ;   in Loop: Header=BB6_8134 Depth=2
	s_or_b32 exec_lo, exec_lo, s23
	s_delay_alu instid0(VALU_DEP_1) | instskip(NEXT) | instid1(VALU_DEP_1)
	v_add_f32_e32 v17, v64, v17
	v_and_b32_e32 v16, 0x7f800000, v17
	s_delay_alu instid0(VALU_DEP_1)
	v_cmp_ne_u32_e32 vcc_lo, 0x7f800000, v16
	v_mov_b32_e32 v16, 0x80
	s_and_saveexec_b32 s23, vcc_lo
	s_cbranch_execz .LBB6_9040
; %bb.9033:                             ;   in Loop: Header=BB6_8134 Depth=2
	v_mov_b32_e32 v16, 0
	s_mov_b32 s24, exec_lo
	v_cmpx_ne_u32_e32 0, v17
	s_cbranch_execz .LBB6_9039
; %bb.9034:                             ;   in Loop: Header=BB6_8134 Depth=2
	v_bfe_u32 v16, v17, 23, 8
	v_and_b32_e32 v64, 0x7fffff, v17
	s_delay_alu instid0(VALU_DEP_2) | instskip(SKIP_1) | instid1(VALU_DEP_3)
	v_sub_nc_u32_e32 v69, 0x78, v16
	v_cmp_gt_u32_e32 vcc_lo, 0x79, v16
	v_or_b32_e32 v115, 0x800000, v64
	s_delay_alu instid0(VALU_DEP_3) | instskip(SKIP_2) | instid1(VALU_DEP_4)
	v_cndmask_b32_e32 v69, 0, v69, vcc_lo
	v_cmp_eq_u32_e32 vcc_lo, 0, v16
	v_add_nc_u32_e32 v16, 0xffffff89, v16
	v_cndmask_b32_e32 v64, v115, v64, vcc_lo
	s_delay_alu instid0(VALU_DEP_4) | instskip(NEXT) | instid1(VALU_DEP_3)
	v_cndmask_b32_e64 v69, v69, 0x77, vcc_lo
	v_cndmask_b32_e64 v16, v16, 0xffffff8a, vcc_lo
	s_delay_alu instid0(VALU_DEP_2) | instskip(SKIP_2) | instid1(VALU_DEP_4)
	v_lshrrev_b32_e32 v129, v69, v64
	v_lshl_add_u32 v115, 0x100000, v69, -1
	v_lshlrev_b32_e64 v147, v69, 0x80000
	v_add_nc_u32_e32 v69, v69, v16
	s_delay_alu instid0(VALU_DEP_4) | instskip(NEXT) | instid1(VALU_DEP_4)
	v_bfe_u32 v134, v129, 20, 1
	v_and_b32_e32 v64, v115, v64
	s_delay_alu instid0(VALU_DEP_2) | instskip(NEXT) | instid1(VALU_DEP_2)
	v_add_nc_u32_e32 v115, -1, v134
	v_cmp_eq_u32_e64 s7, v64, v147
	s_delay_alu instid0(VALU_DEP_1) | instskip(SKIP_2) | instid1(VALU_DEP_2)
	v_cndmask_b32_e64 v64, 0, v115, s7
	v_lshrrev_b32_e32 v115, 23, v129
	s_mov_b32 s7, exec_lo
	v_add_nc_u32_e32 v64, v64, v129
	s_delay_alu instid0(VALU_DEP_2) | instskip(NEXT) | instid1(VALU_DEP_2)
	v_xor_b32_e32 v115, 1, v115
	v_and_b32_e32 v16, 0xfffff, v64
	s_delay_alu instid0(VALU_DEP_1) | instskip(NEXT) | instid1(VALU_DEP_3)
	v_add_nc_u32_e32 v64, v16, v129
                                        ; implicit-def: $vgpr16
	v_cmpx_ne_u32_e64 v69, v115
	s_xor_b32 s7, exec_lo, s7
; %bb.9035:                             ;   in Loop: Header=BB6_8134 Depth=2
	s_delay_alu instid0(VALU_DEP_2) | instskip(SKIP_2) | instid1(VALU_DEP_2)
	v_cmp_lt_u32_e32 vcc_lo, 0xffffff, v64
	v_sub_nc_u32_e32 v16, v69, v115
	v_cndmask_b32_e64 v69, 0, 1, vcc_lo
	v_add_co_ci_u32_e32 v16, vcc_lo, 0, v16, vcc_lo
	s_delay_alu instid0(VALU_DEP_2)
	v_lshrrev_b32_e32 v64, v69, v64
; %bb.9036:                             ;   in Loop: Header=BB6_8134 Depth=2
	s_and_not1_saveexec_b32 s7, s7
; %bb.9037:                             ;   in Loop: Header=BB6_8134 Depth=2
	s_delay_alu instid0(VALU_DEP_1)
	v_bfe_u32 v16, v64, 23, 1
; %bb.9038:                             ;   in Loop: Header=BB6_8134 Depth=2
	s_or_b32 exec_lo, exec_lo, s7
	v_lshrrev_b32_e32 v64, 20, v64
	s_delay_alu instid0(VALU_DEP_2) | instskip(SKIP_2) | instid1(VALU_DEP_2)
	v_cmp_gt_i32_e32 vcc_lo, 16, v16
	v_lshrrev_b32_e32 v17, 24, v17
	v_min_i32_e32 v69, 15, v16
	v_dual_cndmask_b32 v64, 7, v64 :: v_dual_and_b32 v17, 0x80, v17
	s_delay_alu instid0(VALU_DEP_2) | instskip(NEXT) | instid1(VALU_DEP_2)
	v_lshlrev_b32_e32 v69, 3, v69
	v_or_b32_e32 v16, v16, v64
	s_delay_alu instid0(VALU_DEP_1) | instskip(SKIP_1) | instid1(VALU_DEP_1)
	v_cmp_ne_u32_e32 vcc_lo, 0, v16
	v_and_b32_e32 v115, 7, v64
	v_or3_b32 v17, v69, v17, v115
	s_delay_alu instid0(VALU_DEP_1)
	v_cndmask_b32_e32 v16, 0, v17, vcc_lo
.LBB6_9039:                             ;   in Loop: Header=BB6_8134 Depth=2
	s_or_b32 exec_lo, exec_lo, s24
.LBB6_9040:                             ;   in Loop: Header=BB6_8134 Depth=2
	s_delay_alu instid0(SALU_CYCLE_1)
	s_or_b32 exec_lo, exec_lo, s23
	v_add_co_u32 v164, vcc_lo, 0xfffffc20, v14
	v_add_co_ci_u32_e32 v165, vcc_lo, -1, v15, vcc_lo
	v_sub_nc_u32_e32 v21, v21, v70
	flat_store_b8 v[164:165], v24 glc slc dlc
	v_add_co_u32 v164, vcc_lo, 0xfffffc40, v14
	v_add_co_ci_u32_e32 v165, vcc_lo, -1, v15, vcc_lo
	v_add_co_u32 v166, vcc_lo, 0xfffffc60, v14
	v_add_co_ci_u32_e32 v167, vcc_lo, -1, v15, vcc_lo
	;; [unrolled: 2-line block ×5, first 2 shown]
	flat_store_b8 v[164:165], v67 glc slc dlc
	flat_store_b8 v[166:167], v113 glc slc dlc
	;; [unrolled: 1-line block ×5, first 2 shown]
	v_add_co_u32 v164, vcc_lo, 0xfffffce0, v14
	v_add_co_ci_u32_e32 v165, vcc_lo, -1, v15, vcc_lo
	v_add_co_u32 v166, vcc_lo, 0xfffffd00, v14
	v_add_co_ci_u32_e32 v167, vcc_lo, -1, v15, vcc_lo
	v_add_co_u32 v176, vcc_lo, 0xfffffd20, v14
	v_add_co_ci_u32_e32 v177, vcc_lo, -1, v15, vcc_lo
	v_add_co_u32 v178, vcc_lo, 0xfffffd40, v14
	v_add_co_ci_u32_e32 v179, vcc_lo, -1, v15, vcc_lo
	v_add_co_u32 v180, vcc_lo, 0xfffffd60, v14
	v_add_co_ci_u32_e32 v181, vcc_lo, -1, v15, vcc_lo
	v_add_co_u32 v160, vcc_lo, 0xfffffd80, v14
	flat_store_b8 v[164:165], v149 glc slc dlc
	flat_store_b8 v[166:167], v162 glc slc dlc
	flat_store_b8 v[176:177], v163 glc slc dlc
	flat_store_b8 v[178:179], v161 glc slc dlc
	flat_store_b8 v[180:181], v151 glc slc dlc
	v_add_co_ci_u32_e32 v161, vcc_lo, -1, v15, vcc_lo
	v_add_co_u32 v162, vcc_lo, 0xfffffda0, v14
	v_add_co_ci_u32_e32 v163, vcc_lo, -1, v15, vcc_lo
	v_add_co_u32 v164, vcc_lo, 0xfffffdc0, v14
	v_add_co_ci_u32_e32 v165, vcc_lo, -1, v15, vcc_lo
	v_add_co_u32 v166, vcc_lo, 0xfffffde0, v14
	v_add_co_ci_u32_e32 v167, vcc_lo, -1, v15, vcc_lo
	v_add_co_u32 v176, vcc_lo, 0xfffffe00, v14
	v_add_co_ci_u32_e32 v177, vcc_lo, -1, v15, vcc_lo
	v_add_co_u32 v134, vcc_lo, 0xfffffe20, v14
	flat_store_b8 v[160:161], v150 glc slc dlc
	flat_store_b8 v[162:163], v148 glc slc dlc
	flat_store_b8 v[164:165], v146 glc slc dlc
	flat_store_b8 v[166:167], v145 glc slc dlc
	flat_store_b8 v[176:177], v135 glc slc dlc
	v_add_co_ci_u32_e32 v135, vcc_lo, -1, v15, vcc_lo
	v_add_co_u32 v144, vcc_lo, 0xfffffe40, v14
	v_add_co_ci_u32_e32 v145, vcc_lo, -1, v15, vcc_lo
	v_add_co_u32 v146, vcc_lo, 0xfffffe60, v14
	v_add_co_ci_u32_e32 v147, vcc_lo, -1, v15, vcc_lo
	v_add_co_u32 v148, vcc_lo, 0xfffffe80, v14
	v_add_co_ci_u32_e32 v149, vcc_lo, -1, v15, vcc_lo
	v_add_co_u32 v150, vcc_lo, 0xfffffea0, v14
	v_add_co_ci_u32_e32 v151, vcc_lo, -1, v15, vcc_lo
	;; [unrolled: 15-line block ×3, first 2 shown]
	flat_store_b8 v[118:119], v117 glc slc dlc
	flat_store_b8 v[128:129], v116 glc slc dlc
	;; [unrolled: 1-line block ×5, first 2 shown]
	v_add_co_u32 v112, vcc_lo, 0xffffff60, v14
	v_add_co_ci_u32_e32 v113, vcc_lo, -1, v15, vcc_lo
	v_add_co_u32 v114, vcc_lo, 0xffffff80, v14
	v_add_co_ci_u32_e32 v115, vcc_lo, -1, v15, vcc_lo
	;; [unrolled: 2-line block ×5, first 2 shown]
	v_add_co_u32 v10, vcc_lo, v10, v99
	v_add_co_ci_u32_e32 v11, vcc_lo, v11, v100, vcc_lo
	v_add_co_u32 v12, vcc_lo, v12, v99
	v_add_co_ci_u32_e32 v13, vcc_lo, v13, v100, vcc_lo
	flat_store_b8 v[112:113], v68 glc slc dlc
	flat_store_b8 v[114:115], v66 glc slc dlc
	;; [unrolled: 1-line block ×6, first 2 shown]
	v_cmp_gt_i32_e32 vcc_lo, 1, v21
	v_add_co_u32 v14, s7, v14, v99
	s_delay_alu instid0(VALU_DEP_1) | instskip(SKIP_1) | instid1(SALU_CYCLE_1)
	v_add_co_ci_u32_e64 v15, s7, v15, v100, s7
	s_or_b32 s22, vcc_lo, s22
	s_and_not1_b32 exec_lo, exec_lo, s22
	s_cbranch_execnz .LBB6_8134
	s_branch .LBB6_9425
.LBB6_9041:                             ;   in Loop: Header=BB6_8134 Depth=2
	s_mov_b32 s7, -1
	s_mov_b32 s25, exec_lo
                                        ; implicit-def: $sgpr23
	v_cmpx_eq_u16_e32 0x80, v16
; %bb.9042:                             ;   in Loop: Header=BB6_8134 Depth=2
	s_mov_b32 s23, 0x7f800001
	s_xor_b32 s7, exec_lo, -1
; %bb.9043:                             ;   in Loop: Header=BB6_8134 Depth=2
	s_or_b32 exec_lo, exec_lo, s25
	s_delay_alu instid0(SALU_CYCLE_1)
	s_and_b32 s7, s7, exec_lo
	s_or_saveexec_b32 s24, s24
	v_mov_b32_e32 v23, s23
	s_xor_b32 exec_lo, exec_lo, s24
	s_cbranch_execz .LBB6_8146
.LBB6_9044:                             ;   in Loop: Header=BB6_8134 Depth=2
	v_cmp_ne_u16_e32 vcc_lo, 0, v16
	v_mov_b32_e32 v23, 0
	s_and_not1_b32 s7, s7, exec_lo
	s_and_b32 s23, vcc_lo, exec_lo
	s_delay_alu instid0(SALU_CYCLE_1)
	s_or_b32 s7, s7, s23
	s_or_b32 exec_lo, exec_lo, s24
	s_and_saveexec_b32 s23, s7
	s_cbranch_execnz .LBB6_8147
	s_branch .LBB6_8148
.LBB6_9045:                             ;   in Loop: Header=BB6_8134 Depth=2
	s_mov_b32 s7, -1
	s_mov_b32 s25, exec_lo
                                        ; implicit-def: $sgpr23
	v_cmpx_eq_u16_e32 0x80, v16
; %bb.9046:                             ;   in Loop: Header=BB6_8134 Depth=2
	s_mov_b32 s23, 0x7f800001
	s_xor_b32 s7, exec_lo, -1
; %bb.9047:                             ;   in Loop: Header=BB6_8134 Depth=2
	s_or_b32 exec_lo, exec_lo, s25
	s_delay_alu instid0(SALU_CYCLE_1)
	s_and_b32 s7, s7, exec_lo
	s_or_saveexec_b32 s24, s24
	v_mov_b32_e32 v23, s23
	s_xor_b32 exec_lo, exec_lo, s24
	s_cbranch_execz .LBB6_8158
.LBB6_9048:                             ;   in Loop: Header=BB6_8134 Depth=2
	v_cmp_ne_u16_e32 vcc_lo, 0, v16
	v_mov_b32_e32 v23, 0
	s_and_not1_b32 s7, s7, exec_lo
	s_and_b32 s23, vcc_lo, exec_lo
	s_delay_alu instid0(SALU_CYCLE_1)
	s_or_b32 s7, s7, s23
	s_or_b32 exec_lo, exec_lo, s24
	s_and_saveexec_b32 s23, s7
	s_cbranch_execnz .LBB6_8159
	s_branch .LBB6_8160
.LBB6_9049:                             ;   in Loop: Header=BB6_8134 Depth=2
	s_mov_b32 s7, -1
	s_mov_b32 s25, exec_lo
                                        ; implicit-def: $sgpr23
	v_cmpx_eq_u16_e32 0x80, v16
; %bb.9050:                             ;   in Loop: Header=BB6_8134 Depth=2
	s_mov_b32 s23, 0x7f800001
	s_xor_b32 s7, exec_lo, -1
; %bb.9051:                             ;   in Loop: Header=BB6_8134 Depth=2
	s_or_b32 exec_lo, exec_lo, s25
	s_delay_alu instid0(SALU_CYCLE_1)
	s_and_b32 s7, s7, exec_lo
	s_or_saveexec_b32 s24, s24
	v_mov_b32_e32 v23, s23
	s_xor_b32 exec_lo, exec_lo, s24
	s_cbranch_execz .LBB6_8170
.LBB6_9052:                             ;   in Loop: Header=BB6_8134 Depth=2
	v_cmp_ne_u16_e32 vcc_lo, 0, v16
	v_mov_b32_e32 v23, 0
	s_and_not1_b32 s7, s7, exec_lo
	s_and_b32 s23, vcc_lo, exec_lo
	s_delay_alu instid0(SALU_CYCLE_1)
	s_or_b32 s7, s7, s23
	s_or_b32 exec_lo, exec_lo, s24
	s_and_saveexec_b32 s23, s7
	s_cbranch_execnz .LBB6_8171
	s_branch .LBB6_8172
.LBB6_9053:                             ;   in Loop: Header=BB6_8134 Depth=2
	s_mov_b32 s7, -1
	s_mov_b32 s25, exec_lo
                                        ; implicit-def: $sgpr23
	v_cmpx_eq_u16_e32 0x80, v16
; %bb.9054:                             ;   in Loop: Header=BB6_8134 Depth=2
	s_mov_b32 s23, 0x7f800001
	s_xor_b32 s7, exec_lo, -1
; %bb.9055:                             ;   in Loop: Header=BB6_8134 Depth=2
	s_or_b32 exec_lo, exec_lo, s25
	s_delay_alu instid0(SALU_CYCLE_1)
	s_and_b32 s7, s7, exec_lo
	s_or_saveexec_b32 s24, s24
	v_mov_b32_e32 v23, s23
	s_xor_b32 exec_lo, exec_lo, s24
	s_cbranch_execz .LBB6_8182
.LBB6_9056:                             ;   in Loop: Header=BB6_8134 Depth=2
	v_cmp_ne_u16_e32 vcc_lo, 0, v16
	v_mov_b32_e32 v23, 0
	s_and_not1_b32 s7, s7, exec_lo
	s_and_b32 s23, vcc_lo, exec_lo
	s_delay_alu instid0(SALU_CYCLE_1)
	s_or_b32 s7, s7, s23
	s_or_b32 exec_lo, exec_lo, s24
	s_and_saveexec_b32 s23, s7
	s_cbranch_execnz .LBB6_8183
	s_branch .LBB6_8184
.LBB6_9057:                             ;   in Loop: Header=BB6_8134 Depth=2
	s_mov_b32 s7, -1
	s_mov_b32 s25, exec_lo
                                        ; implicit-def: $sgpr23
	v_cmpx_eq_u16_e32 0x80, v16
; %bb.9058:                             ;   in Loop: Header=BB6_8134 Depth=2
	s_mov_b32 s23, 0x7f800001
	s_xor_b32 s7, exec_lo, -1
; %bb.9059:                             ;   in Loop: Header=BB6_8134 Depth=2
	s_or_b32 exec_lo, exec_lo, s25
	s_delay_alu instid0(SALU_CYCLE_1)
	s_and_b32 s7, s7, exec_lo
	s_or_saveexec_b32 s24, s24
	v_mov_b32_e32 v23, s23
	s_xor_b32 exec_lo, exec_lo, s24
	s_cbranch_execz .LBB6_8194
.LBB6_9060:                             ;   in Loop: Header=BB6_8134 Depth=2
	v_cmp_ne_u16_e32 vcc_lo, 0, v16
	v_mov_b32_e32 v23, 0
	s_and_not1_b32 s7, s7, exec_lo
	s_and_b32 s23, vcc_lo, exec_lo
	s_delay_alu instid0(SALU_CYCLE_1)
	s_or_b32 s7, s7, s23
	s_or_b32 exec_lo, exec_lo, s24
	s_and_saveexec_b32 s23, s7
	s_cbranch_execnz .LBB6_8195
	s_branch .LBB6_8196
.LBB6_9061:                             ;   in Loop: Header=BB6_8134 Depth=2
	s_mov_b32 s7, -1
	s_mov_b32 s25, exec_lo
                                        ; implicit-def: $sgpr23
	v_cmpx_eq_u16_e32 0x80, v16
; %bb.9062:                             ;   in Loop: Header=BB6_8134 Depth=2
	s_mov_b32 s23, 0x7f800001
	s_xor_b32 s7, exec_lo, -1
; %bb.9063:                             ;   in Loop: Header=BB6_8134 Depth=2
	s_or_b32 exec_lo, exec_lo, s25
	s_delay_alu instid0(SALU_CYCLE_1)
	s_and_b32 s7, s7, exec_lo
	s_or_saveexec_b32 s24, s24
	v_mov_b32_e32 v23, s23
	s_xor_b32 exec_lo, exec_lo, s24
	s_cbranch_execz .LBB6_8206
.LBB6_9064:                             ;   in Loop: Header=BB6_8134 Depth=2
	v_cmp_ne_u16_e32 vcc_lo, 0, v16
	v_mov_b32_e32 v23, 0
	s_and_not1_b32 s7, s7, exec_lo
	s_and_b32 s23, vcc_lo, exec_lo
	s_delay_alu instid0(SALU_CYCLE_1)
	s_or_b32 s7, s7, s23
	s_or_b32 exec_lo, exec_lo, s24
	s_and_saveexec_b32 s23, s7
	s_cbranch_execnz .LBB6_8207
	s_branch .LBB6_8208
.LBB6_9065:                             ;   in Loop: Header=BB6_8134 Depth=2
	s_mov_b32 s7, -1
	s_mov_b32 s25, exec_lo
                                        ; implicit-def: $sgpr23
	v_cmpx_eq_u16_e32 0x80, v16
; %bb.9066:                             ;   in Loop: Header=BB6_8134 Depth=2
	s_mov_b32 s23, 0x7f800001
	s_xor_b32 s7, exec_lo, -1
; %bb.9067:                             ;   in Loop: Header=BB6_8134 Depth=2
	s_or_b32 exec_lo, exec_lo, s25
	s_delay_alu instid0(SALU_CYCLE_1)
	s_and_b32 s7, s7, exec_lo
	s_or_saveexec_b32 s24, s24
	v_mov_b32_e32 v23, s23
	s_xor_b32 exec_lo, exec_lo, s24
	s_cbranch_execz .LBB6_8218
.LBB6_9068:                             ;   in Loop: Header=BB6_8134 Depth=2
	v_cmp_ne_u16_e32 vcc_lo, 0, v16
	v_mov_b32_e32 v23, 0
	s_and_not1_b32 s7, s7, exec_lo
	s_and_b32 s23, vcc_lo, exec_lo
	s_delay_alu instid0(SALU_CYCLE_1)
	s_or_b32 s7, s7, s23
	s_or_b32 exec_lo, exec_lo, s24
	s_and_saveexec_b32 s23, s7
	s_cbranch_execnz .LBB6_8219
	s_branch .LBB6_8220
.LBB6_9069:                             ;   in Loop: Header=BB6_8134 Depth=2
	s_mov_b32 s7, -1
	s_mov_b32 s25, exec_lo
                                        ; implicit-def: $sgpr23
	v_cmpx_eq_u16_e32 0x80, v16
; %bb.9070:                             ;   in Loop: Header=BB6_8134 Depth=2
	s_mov_b32 s23, 0x7f800001
	s_xor_b32 s7, exec_lo, -1
; %bb.9071:                             ;   in Loop: Header=BB6_8134 Depth=2
	s_or_b32 exec_lo, exec_lo, s25
	s_delay_alu instid0(SALU_CYCLE_1)
	s_and_b32 s7, s7, exec_lo
	s_or_saveexec_b32 s24, s24
	v_mov_b32_e32 v23, s23
	s_xor_b32 exec_lo, exec_lo, s24
	s_cbranch_execz .LBB6_8230
.LBB6_9072:                             ;   in Loop: Header=BB6_8134 Depth=2
	v_cmp_ne_u16_e32 vcc_lo, 0, v16
	v_mov_b32_e32 v23, 0
	s_and_not1_b32 s7, s7, exec_lo
	s_and_b32 s23, vcc_lo, exec_lo
	s_delay_alu instid0(SALU_CYCLE_1)
	s_or_b32 s7, s7, s23
	s_or_b32 exec_lo, exec_lo, s24
	s_and_saveexec_b32 s23, s7
	s_cbranch_execnz .LBB6_8231
	s_branch .LBB6_8232
.LBB6_9073:                             ;   in Loop: Header=BB6_8134 Depth=2
	s_mov_b32 s7, -1
	s_mov_b32 s25, exec_lo
                                        ; implicit-def: $sgpr23
	v_cmpx_eq_u16_e32 0x80, v16
; %bb.9074:                             ;   in Loop: Header=BB6_8134 Depth=2
	s_mov_b32 s23, 0x7f800001
	s_xor_b32 s7, exec_lo, -1
; %bb.9075:                             ;   in Loop: Header=BB6_8134 Depth=2
	s_or_b32 exec_lo, exec_lo, s25
	s_delay_alu instid0(SALU_CYCLE_1)
	s_and_b32 s7, s7, exec_lo
	s_or_saveexec_b32 s24, s24
	v_mov_b32_e32 v23, s23
	s_xor_b32 exec_lo, exec_lo, s24
	s_cbranch_execz .LBB6_8242
.LBB6_9076:                             ;   in Loop: Header=BB6_8134 Depth=2
	v_cmp_ne_u16_e32 vcc_lo, 0, v16
	v_mov_b32_e32 v23, 0
	s_and_not1_b32 s7, s7, exec_lo
	s_and_b32 s23, vcc_lo, exec_lo
	s_delay_alu instid0(SALU_CYCLE_1)
	s_or_b32 s7, s7, s23
	s_or_b32 exec_lo, exec_lo, s24
	s_and_saveexec_b32 s23, s7
	s_cbranch_execnz .LBB6_8243
	s_branch .LBB6_8244
.LBB6_9077:                             ;   in Loop: Header=BB6_8134 Depth=2
	s_mov_b32 s7, -1
	s_mov_b32 s25, exec_lo
                                        ; implicit-def: $sgpr23
	v_cmpx_eq_u16_e32 0x80, v16
; %bb.9078:                             ;   in Loop: Header=BB6_8134 Depth=2
	s_mov_b32 s23, 0x7f800001
	s_xor_b32 s7, exec_lo, -1
; %bb.9079:                             ;   in Loop: Header=BB6_8134 Depth=2
	s_or_b32 exec_lo, exec_lo, s25
	s_delay_alu instid0(SALU_CYCLE_1)
	s_and_b32 s7, s7, exec_lo
	s_or_saveexec_b32 s24, s24
	v_mov_b32_e32 v23, s23
	s_xor_b32 exec_lo, exec_lo, s24
	s_cbranch_execz .LBB6_8254
.LBB6_9080:                             ;   in Loop: Header=BB6_8134 Depth=2
	v_cmp_ne_u16_e32 vcc_lo, 0, v16
	v_mov_b32_e32 v23, 0
	s_and_not1_b32 s7, s7, exec_lo
	s_and_b32 s23, vcc_lo, exec_lo
	s_delay_alu instid0(SALU_CYCLE_1)
	s_or_b32 s7, s7, s23
	s_or_b32 exec_lo, exec_lo, s24
	s_and_saveexec_b32 s23, s7
	s_cbranch_execnz .LBB6_8255
	s_branch .LBB6_8256
.LBB6_9081:                             ;   in Loop: Header=BB6_8134 Depth=2
	s_mov_b32 s7, -1
	s_mov_b32 s25, exec_lo
                                        ; implicit-def: $sgpr23
	v_cmpx_eq_u16_e32 0x80, v16
; %bb.9082:                             ;   in Loop: Header=BB6_8134 Depth=2
	s_mov_b32 s23, 0x7f800001
	s_xor_b32 s7, exec_lo, -1
; %bb.9083:                             ;   in Loop: Header=BB6_8134 Depth=2
	s_or_b32 exec_lo, exec_lo, s25
	s_delay_alu instid0(SALU_CYCLE_1)
	s_and_b32 s7, s7, exec_lo
	s_or_saveexec_b32 s24, s24
	v_mov_b32_e32 v23, s23
	s_xor_b32 exec_lo, exec_lo, s24
	s_cbranch_execz .LBB6_8266
.LBB6_9084:                             ;   in Loop: Header=BB6_8134 Depth=2
	v_cmp_ne_u16_e32 vcc_lo, 0, v16
	v_mov_b32_e32 v23, 0
	s_and_not1_b32 s7, s7, exec_lo
	s_and_b32 s23, vcc_lo, exec_lo
	s_delay_alu instid0(SALU_CYCLE_1)
	s_or_b32 s7, s7, s23
	s_or_b32 exec_lo, exec_lo, s24
	s_and_saveexec_b32 s23, s7
	s_cbranch_execnz .LBB6_8267
	s_branch .LBB6_8268
.LBB6_9085:                             ;   in Loop: Header=BB6_8134 Depth=2
	s_mov_b32 s7, -1
	s_mov_b32 s25, exec_lo
                                        ; implicit-def: $sgpr23
	v_cmpx_eq_u16_e32 0x80, v16
; %bb.9086:                             ;   in Loop: Header=BB6_8134 Depth=2
	s_mov_b32 s23, 0x7f800001
	s_xor_b32 s7, exec_lo, -1
; %bb.9087:                             ;   in Loop: Header=BB6_8134 Depth=2
	s_or_b32 exec_lo, exec_lo, s25
	s_delay_alu instid0(SALU_CYCLE_1)
	s_and_b32 s7, s7, exec_lo
	s_or_saveexec_b32 s24, s24
	v_mov_b32_e32 v23, s23
	s_xor_b32 exec_lo, exec_lo, s24
	s_cbranch_execz .LBB6_8278
.LBB6_9088:                             ;   in Loop: Header=BB6_8134 Depth=2
	v_cmp_ne_u16_e32 vcc_lo, 0, v16
	v_mov_b32_e32 v23, 0
	s_and_not1_b32 s7, s7, exec_lo
	s_and_b32 s23, vcc_lo, exec_lo
	s_delay_alu instid0(SALU_CYCLE_1)
	s_or_b32 s7, s7, s23
	s_or_b32 exec_lo, exec_lo, s24
	s_and_saveexec_b32 s23, s7
	s_cbranch_execnz .LBB6_8279
	s_branch .LBB6_8280
.LBB6_9089:                             ;   in Loop: Header=BB6_8134 Depth=2
	s_mov_b32 s7, -1
	s_mov_b32 s25, exec_lo
                                        ; implicit-def: $sgpr23
	v_cmpx_eq_u16_e32 0x80, v16
; %bb.9090:                             ;   in Loop: Header=BB6_8134 Depth=2
	s_mov_b32 s23, 0x7f800001
	s_xor_b32 s7, exec_lo, -1
; %bb.9091:                             ;   in Loop: Header=BB6_8134 Depth=2
	s_or_b32 exec_lo, exec_lo, s25
	s_delay_alu instid0(SALU_CYCLE_1)
	s_and_b32 s7, s7, exec_lo
	s_or_saveexec_b32 s24, s24
	v_mov_b32_e32 v23, s23
	s_xor_b32 exec_lo, exec_lo, s24
	s_cbranch_execz .LBB6_8290
.LBB6_9092:                             ;   in Loop: Header=BB6_8134 Depth=2
	v_cmp_ne_u16_e32 vcc_lo, 0, v16
	v_mov_b32_e32 v23, 0
	s_and_not1_b32 s7, s7, exec_lo
	s_and_b32 s23, vcc_lo, exec_lo
	s_delay_alu instid0(SALU_CYCLE_1)
	s_or_b32 s7, s7, s23
	s_or_b32 exec_lo, exec_lo, s24
	s_and_saveexec_b32 s23, s7
	s_cbranch_execnz .LBB6_8291
	s_branch .LBB6_8292
.LBB6_9093:                             ;   in Loop: Header=BB6_8134 Depth=2
	s_mov_b32 s7, -1
	s_mov_b32 s25, exec_lo
                                        ; implicit-def: $sgpr23
	v_cmpx_eq_u16_e32 0x80, v16
; %bb.9094:                             ;   in Loop: Header=BB6_8134 Depth=2
	s_mov_b32 s23, 0x7f800001
	s_xor_b32 s7, exec_lo, -1
; %bb.9095:                             ;   in Loop: Header=BB6_8134 Depth=2
	s_or_b32 exec_lo, exec_lo, s25
	s_delay_alu instid0(SALU_CYCLE_1)
	s_and_b32 s7, s7, exec_lo
	s_or_saveexec_b32 s24, s24
	v_mov_b32_e32 v23, s23
	s_xor_b32 exec_lo, exec_lo, s24
	s_cbranch_execz .LBB6_8302
.LBB6_9096:                             ;   in Loop: Header=BB6_8134 Depth=2
	v_cmp_ne_u16_e32 vcc_lo, 0, v16
	v_mov_b32_e32 v23, 0
	s_and_not1_b32 s7, s7, exec_lo
	s_and_b32 s23, vcc_lo, exec_lo
	s_delay_alu instid0(SALU_CYCLE_1)
	s_or_b32 s7, s7, s23
	s_or_b32 exec_lo, exec_lo, s24
	s_and_saveexec_b32 s23, s7
	s_cbranch_execnz .LBB6_8303
	s_branch .LBB6_8304
.LBB6_9097:                             ;   in Loop: Header=BB6_8134 Depth=2
	s_mov_b32 s7, -1
	s_mov_b32 s25, exec_lo
                                        ; implicit-def: $sgpr23
	v_cmpx_eq_u16_e32 0x80, v16
; %bb.9098:                             ;   in Loop: Header=BB6_8134 Depth=2
	s_mov_b32 s23, 0x7f800001
	s_xor_b32 s7, exec_lo, -1
; %bb.9099:                             ;   in Loop: Header=BB6_8134 Depth=2
	s_or_b32 exec_lo, exec_lo, s25
	s_delay_alu instid0(SALU_CYCLE_1)
	s_and_b32 s7, s7, exec_lo
	s_or_saveexec_b32 s24, s24
	v_mov_b32_e32 v23, s23
	s_xor_b32 exec_lo, exec_lo, s24
	s_cbranch_execz .LBB6_8314
.LBB6_9100:                             ;   in Loop: Header=BB6_8134 Depth=2
	v_cmp_ne_u16_e32 vcc_lo, 0, v16
	v_mov_b32_e32 v23, 0
	s_and_not1_b32 s7, s7, exec_lo
	s_and_b32 s23, vcc_lo, exec_lo
	s_delay_alu instid0(SALU_CYCLE_1)
	s_or_b32 s7, s7, s23
	s_or_b32 exec_lo, exec_lo, s24
	s_and_saveexec_b32 s23, s7
	s_cbranch_execnz .LBB6_8315
	s_branch .LBB6_8316
.LBB6_9101:                             ;   in Loop: Header=BB6_8134 Depth=2
	s_mov_b32 s7, -1
	s_mov_b32 s25, exec_lo
                                        ; implicit-def: $sgpr23
	v_cmpx_eq_u16_e32 0x80, v16
; %bb.9102:                             ;   in Loop: Header=BB6_8134 Depth=2
	s_mov_b32 s23, 0x7f800001
	s_xor_b32 s7, exec_lo, -1
; %bb.9103:                             ;   in Loop: Header=BB6_8134 Depth=2
	s_or_b32 exec_lo, exec_lo, s25
	s_delay_alu instid0(SALU_CYCLE_1)
	s_and_b32 s7, s7, exec_lo
	s_or_saveexec_b32 s24, s24
	v_mov_b32_e32 v23, s23
	s_xor_b32 exec_lo, exec_lo, s24
	s_cbranch_execz .LBB6_8326
.LBB6_9104:                             ;   in Loop: Header=BB6_8134 Depth=2
	v_cmp_ne_u16_e32 vcc_lo, 0, v16
	v_mov_b32_e32 v23, 0
	s_and_not1_b32 s7, s7, exec_lo
	s_and_b32 s23, vcc_lo, exec_lo
	s_delay_alu instid0(SALU_CYCLE_1)
	s_or_b32 s7, s7, s23
	s_or_b32 exec_lo, exec_lo, s24
	s_and_saveexec_b32 s23, s7
	s_cbranch_execnz .LBB6_8327
	s_branch .LBB6_8328
.LBB6_9105:                             ;   in Loop: Header=BB6_8134 Depth=2
	s_mov_b32 s7, -1
	s_mov_b32 s25, exec_lo
                                        ; implicit-def: $sgpr23
	v_cmpx_eq_u16_e32 0x80, v16
; %bb.9106:                             ;   in Loop: Header=BB6_8134 Depth=2
	s_mov_b32 s23, 0x7f800001
	s_xor_b32 s7, exec_lo, -1
; %bb.9107:                             ;   in Loop: Header=BB6_8134 Depth=2
	s_or_b32 exec_lo, exec_lo, s25
	s_delay_alu instid0(SALU_CYCLE_1)
	s_and_b32 s7, s7, exec_lo
	s_or_saveexec_b32 s24, s24
	v_mov_b32_e32 v23, s23
	s_xor_b32 exec_lo, exec_lo, s24
	s_cbranch_execz .LBB6_8338
.LBB6_9108:                             ;   in Loop: Header=BB6_8134 Depth=2
	v_cmp_ne_u16_e32 vcc_lo, 0, v16
	v_mov_b32_e32 v23, 0
	s_and_not1_b32 s7, s7, exec_lo
	s_and_b32 s23, vcc_lo, exec_lo
	s_delay_alu instid0(SALU_CYCLE_1)
	s_or_b32 s7, s7, s23
	s_or_b32 exec_lo, exec_lo, s24
	s_and_saveexec_b32 s23, s7
	s_cbranch_execnz .LBB6_8339
	s_branch .LBB6_8340
.LBB6_9109:                             ;   in Loop: Header=BB6_8134 Depth=2
	s_mov_b32 s7, -1
	s_mov_b32 s25, exec_lo
                                        ; implicit-def: $sgpr23
	v_cmpx_eq_u16_e32 0x80, v16
; %bb.9110:                             ;   in Loop: Header=BB6_8134 Depth=2
	s_mov_b32 s23, 0x7f800001
	s_xor_b32 s7, exec_lo, -1
; %bb.9111:                             ;   in Loop: Header=BB6_8134 Depth=2
	s_or_b32 exec_lo, exec_lo, s25
	s_delay_alu instid0(SALU_CYCLE_1)
	s_and_b32 s7, s7, exec_lo
	s_or_saveexec_b32 s24, s24
	v_mov_b32_e32 v23, s23
	s_xor_b32 exec_lo, exec_lo, s24
	s_cbranch_execz .LBB6_8350
.LBB6_9112:                             ;   in Loop: Header=BB6_8134 Depth=2
	v_cmp_ne_u16_e32 vcc_lo, 0, v16
	v_mov_b32_e32 v23, 0
	s_and_not1_b32 s7, s7, exec_lo
	s_and_b32 s23, vcc_lo, exec_lo
	s_delay_alu instid0(SALU_CYCLE_1)
	s_or_b32 s7, s7, s23
	s_or_b32 exec_lo, exec_lo, s24
	s_and_saveexec_b32 s23, s7
	s_cbranch_execnz .LBB6_8351
	s_branch .LBB6_8352
.LBB6_9113:                             ;   in Loop: Header=BB6_8134 Depth=2
	s_mov_b32 s7, -1
	s_mov_b32 s25, exec_lo
                                        ; implicit-def: $sgpr23
	v_cmpx_eq_u16_e32 0x80, v16
; %bb.9114:                             ;   in Loop: Header=BB6_8134 Depth=2
	s_mov_b32 s23, 0x7f800001
	s_xor_b32 s7, exec_lo, -1
; %bb.9115:                             ;   in Loop: Header=BB6_8134 Depth=2
	s_or_b32 exec_lo, exec_lo, s25
	s_delay_alu instid0(SALU_CYCLE_1)
	s_and_b32 s7, s7, exec_lo
	s_or_saveexec_b32 s24, s24
	v_mov_b32_e32 v23, s23
	s_xor_b32 exec_lo, exec_lo, s24
	s_cbranch_execz .LBB6_8362
.LBB6_9116:                             ;   in Loop: Header=BB6_8134 Depth=2
	v_cmp_ne_u16_e32 vcc_lo, 0, v16
	v_mov_b32_e32 v23, 0
	s_and_not1_b32 s7, s7, exec_lo
	s_and_b32 s23, vcc_lo, exec_lo
	s_delay_alu instid0(SALU_CYCLE_1)
	s_or_b32 s7, s7, s23
	s_or_b32 exec_lo, exec_lo, s24
	s_and_saveexec_b32 s23, s7
	s_cbranch_execnz .LBB6_8363
	s_branch .LBB6_8364
.LBB6_9117:                             ;   in Loop: Header=BB6_8134 Depth=2
	s_mov_b32 s7, -1
	s_mov_b32 s25, exec_lo
                                        ; implicit-def: $sgpr23
	v_cmpx_eq_u16_e32 0x80, v16
; %bb.9118:                             ;   in Loop: Header=BB6_8134 Depth=2
	s_mov_b32 s23, 0x7f800001
	s_xor_b32 s7, exec_lo, -1
; %bb.9119:                             ;   in Loop: Header=BB6_8134 Depth=2
	s_or_b32 exec_lo, exec_lo, s25
	s_delay_alu instid0(SALU_CYCLE_1)
	s_and_b32 s7, s7, exec_lo
	s_or_saveexec_b32 s24, s24
	v_mov_b32_e32 v23, s23
	s_xor_b32 exec_lo, exec_lo, s24
	s_cbranch_execz .LBB6_8374
.LBB6_9120:                             ;   in Loop: Header=BB6_8134 Depth=2
	v_cmp_ne_u16_e32 vcc_lo, 0, v16
	v_mov_b32_e32 v23, 0
	s_and_not1_b32 s7, s7, exec_lo
	s_and_b32 s23, vcc_lo, exec_lo
	s_delay_alu instid0(SALU_CYCLE_1)
	s_or_b32 s7, s7, s23
	s_or_b32 exec_lo, exec_lo, s24
	s_and_saveexec_b32 s23, s7
	s_cbranch_execnz .LBB6_8375
	s_branch .LBB6_8376
.LBB6_9121:                             ;   in Loop: Header=BB6_8134 Depth=2
	s_mov_b32 s7, -1
	s_mov_b32 s25, exec_lo
                                        ; implicit-def: $sgpr23
	v_cmpx_eq_u16_e32 0x80, v16
; %bb.9122:                             ;   in Loop: Header=BB6_8134 Depth=2
	s_mov_b32 s23, 0x7f800001
	s_xor_b32 s7, exec_lo, -1
; %bb.9123:                             ;   in Loop: Header=BB6_8134 Depth=2
	s_or_b32 exec_lo, exec_lo, s25
	s_delay_alu instid0(SALU_CYCLE_1)
	s_and_b32 s7, s7, exec_lo
	s_or_saveexec_b32 s24, s24
	v_mov_b32_e32 v23, s23
	s_xor_b32 exec_lo, exec_lo, s24
	s_cbranch_execz .LBB6_8386
.LBB6_9124:                             ;   in Loop: Header=BB6_8134 Depth=2
	v_cmp_ne_u16_e32 vcc_lo, 0, v16
	v_mov_b32_e32 v23, 0
	s_and_not1_b32 s7, s7, exec_lo
	s_and_b32 s23, vcc_lo, exec_lo
	s_delay_alu instid0(SALU_CYCLE_1)
	s_or_b32 s7, s7, s23
	s_or_b32 exec_lo, exec_lo, s24
	s_and_saveexec_b32 s23, s7
	s_cbranch_execnz .LBB6_8387
	s_branch .LBB6_8388
.LBB6_9125:                             ;   in Loop: Header=BB6_8134 Depth=2
	s_mov_b32 s7, -1
	s_mov_b32 s25, exec_lo
                                        ; implicit-def: $sgpr23
	v_cmpx_eq_u16_e32 0x80, v16
; %bb.9126:                             ;   in Loop: Header=BB6_8134 Depth=2
	s_mov_b32 s23, 0x7f800001
	s_xor_b32 s7, exec_lo, -1
; %bb.9127:                             ;   in Loop: Header=BB6_8134 Depth=2
	s_or_b32 exec_lo, exec_lo, s25
	s_delay_alu instid0(SALU_CYCLE_1)
	s_and_b32 s7, s7, exec_lo
	s_or_saveexec_b32 s24, s24
	v_mov_b32_e32 v23, s23
	s_xor_b32 exec_lo, exec_lo, s24
	s_cbranch_execz .LBB6_8398
.LBB6_9128:                             ;   in Loop: Header=BB6_8134 Depth=2
	v_cmp_ne_u16_e32 vcc_lo, 0, v16
	v_mov_b32_e32 v23, 0
	s_and_not1_b32 s7, s7, exec_lo
	s_and_b32 s23, vcc_lo, exec_lo
	s_delay_alu instid0(SALU_CYCLE_1)
	s_or_b32 s7, s7, s23
	s_or_b32 exec_lo, exec_lo, s24
	s_and_saveexec_b32 s23, s7
	s_cbranch_execnz .LBB6_8399
	s_branch .LBB6_8400
.LBB6_9129:                             ;   in Loop: Header=BB6_8134 Depth=2
	s_mov_b32 s7, -1
	s_mov_b32 s25, exec_lo
                                        ; implicit-def: $sgpr23
	v_cmpx_eq_u16_e32 0x80, v16
; %bb.9130:                             ;   in Loop: Header=BB6_8134 Depth=2
	s_mov_b32 s23, 0x7f800001
	s_xor_b32 s7, exec_lo, -1
; %bb.9131:                             ;   in Loop: Header=BB6_8134 Depth=2
	s_or_b32 exec_lo, exec_lo, s25
	s_delay_alu instid0(SALU_CYCLE_1)
	s_and_b32 s7, s7, exec_lo
	s_or_saveexec_b32 s24, s24
	v_mov_b32_e32 v23, s23
	s_xor_b32 exec_lo, exec_lo, s24
	s_cbranch_execz .LBB6_8410
.LBB6_9132:                             ;   in Loop: Header=BB6_8134 Depth=2
	v_cmp_ne_u16_e32 vcc_lo, 0, v16
	v_mov_b32_e32 v23, 0
	s_and_not1_b32 s7, s7, exec_lo
	s_and_b32 s23, vcc_lo, exec_lo
	s_delay_alu instid0(SALU_CYCLE_1)
	s_or_b32 s7, s7, s23
	s_or_b32 exec_lo, exec_lo, s24
	s_and_saveexec_b32 s23, s7
	s_cbranch_execnz .LBB6_8411
	s_branch .LBB6_8412
.LBB6_9133:                             ;   in Loop: Header=BB6_8134 Depth=2
	s_mov_b32 s7, -1
	s_mov_b32 s25, exec_lo
                                        ; implicit-def: $sgpr23
	v_cmpx_eq_u16_e32 0x80, v16
; %bb.9134:                             ;   in Loop: Header=BB6_8134 Depth=2
	s_mov_b32 s23, 0x7f800001
	s_xor_b32 s7, exec_lo, -1
; %bb.9135:                             ;   in Loop: Header=BB6_8134 Depth=2
	s_or_b32 exec_lo, exec_lo, s25
	s_delay_alu instid0(SALU_CYCLE_1)
	s_and_b32 s7, s7, exec_lo
	s_or_saveexec_b32 s24, s24
	v_mov_b32_e32 v23, s23
	s_xor_b32 exec_lo, exec_lo, s24
	s_cbranch_execz .LBB6_8422
.LBB6_9136:                             ;   in Loop: Header=BB6_8134 Depth=2
	v_cmp_ne_u16_e32 vcc_lo, 0, v16
	v_mov_b32_e32 v23, 0
	s_and_not1_b32 s7, s7, exec_lo
	s_and_b32 s23, vcc_lo, exec_lo
	s_delay_alu instid0(SALU_CYCLE_1)
	s_or_b32 s7, s7, s23
	s_or_b32 exec_lo, exec_lo, s24
	s_and_saveexec_b32 s23, s7
	s_cbranch_execnz .LBB6_8423
	s_branch .LBB6_8424
.LBB6_9137:                             ;   in Loop: Header=BB6_8134 Depth=2
	s_mov_b32 s7, -1
	s_mov_b32 s25, exec_lo
                                        ; implicit-def: $sgpr23
	v_cmpx_eq_u16_e32 0x80, v16
; %bb.9138:                             ;   in Loop: Header=BB6_8134 Depth=2
	s_mov_b32 s23, 0x7f800001
	s_xor_b32 s7, exec_lo, -1
; %bb.9139:                             ;   in Loop: Header=BB6_8134 Depth=2
	s_or_b32 exec_lo, exec_lo, s25
	s_delay_alu instid0(SALU_CYCLE_1)
	s_and_b32 s7, s7, exec_lo
	s_or_saveexec_b32 s24, s24
	v_mov_b32_e32 v23, s23
	s_xor_b32 exec_lo, exec_lo, s24
	s_cbranch_execz .LBB6_8434
.LBB6_9140:                             ;   in Loop: Header=BB6_8134 Depth=2
	v_cmp_ne_u16_e32 vcc_lo, 0, v16
	v_mov_b32_e32 v23, 0
	s_and_not1_b32 s7, s7, exec_lo
	s_and_b32 s23, vcc_lo, exec_lo
	s_delay_alu instid0(SALU_CYCLE_1)
	s_or_b32 s7, s7, s23
	s_or_b32 exec_lo, exec_lo, s24
	s_and_saveexec_b32 s23, s7
	s_cbranch_execnz .LBB6_8435
	s_branch .LBB6_8436
.LBB6_9141:                             ;   in Loop: Header=BB6_8134 Depth=2
	s_mov_b32 s7, -1
	s_mov_b32 s25, exec_lo
                                        ; implicit-def: $sgpr23
	v_cmpx_eq_u16_e32 0x80, v16
; %bb.9142:                             ;   in Loop: Header=BB6_8134 Depth=2
	s_mov_b32 s23, 0x7f800001
	s_xor_b32 s7, exec_lo, -1
; %bb.9143:                             ;   in Loop: Header=BB6_8134 Depth=2
	s_or_b32 exec_lo, exec_lo, s25
	s_delay_alu instid0(SALU_CYCLE_1)
	s_and_b32 s7, s7, exec_lo
	s_or_saveexec_b32 s24, s24
	v_mov_b32_e32 v23, s23
	s_xor_b32 exec_lo, exec_lo, s24
	s_cbranch_execz .LBB6_8446
.LBB6_9144:                             ;   in Loop: Header=BB6_8134 Depth=2
	v_cmp_ne_u16_e32 vcc_lo, 0, v16
	v_mov_b32_e32 v23, 0
	s_and_not1_b32 s7, s7, exec_lo
	s_and_b32 s23, vcc_lo, exec_lo
	s_delay_alu instid0(SALU_CYCLE_1)
	s_or_b32 s7, s7, s23
	s_or_b32 exec_lo, exec_lo, s24
	s_and_saveexec_b32 s23, s7
	s_cbranch_execnz .LBB6_8447
	s_branch .LBB6_8448
.LBB6_9145:                             ;   in Loop: Header=BB6_8134 Depth=2
	s_mov_b32 s7, -1
	s_mov_b32 s25, exec_lo
                                        ; implicit-def: $sgpr23
	v_cmpx_eq_u16_e32 0x80, v16
; %bb.9146:                             ;   in Loop: Header=BB6_8134 Depth=2
	s_mov_b32 s23, 0x7f800001
	s_xor_b32 s7, exec_lo, -1
; %bb.9147:                             ;   in Loop: Header=BB6_8134 Depth=2
	s_or_b32 exec_lo, exec_lo, s25
	s_delay_alu instid0(SALU_CYCLE_1)
	s_and_b32 s7, s7, exec_lo
	s_or_saveexec_b32 s24, s24
	v_mov_b32_e32 v23, s23
	s_xor_b32 exec_lo, exec_lo, s24
	s_cbranch_execz .LBB6_8458
.LBB6_9148:                             ;   in Loop: Header=BB6_8134 Depth=2
	v_cmp_ne_u16_e32 vcc_lo, 0, v16
	v_mov_b32_e32 v23, 0
	s_and_not1_b32 s7, s7, exec_lo
	s_and_b32 s23, vcc_lo, exec_lo
	s_delay_alu instid0(SALU_CYCLE_1)
	s_or_b32 s7, s7, s23
	s_or_b32 exec_lo, exec_lo, s24
	s_and_saveexec_b32 s23, s7
	s_cbranch_execnz .LBB6_8459
	s_branch .LBB6_8460
.LBB6_9149:                             ;   in Loop: Header=BB6_8134 Depth=2
	s_mov_b32 s7, -1
	s_mov_b32 s25, exec_lo
                                        ; implicit-def: $sgpr23
	v_cmpx_eq_u16_e32 0x80, v16
; %bb.9150:                             ;   in Loop: Header=BB6_8134 Depth=2
	s_mov_b32 s23, 0x7f800001
	s_xor_b32 s7, exec_lo, -1
; %bb.9151:                             ;   in Loop: Header=BB6_8134 Depth=2
	s_or_b32 exec_lo, exec_lo, s25
	s_delay_alu instid0(SALU_CYCLE_1)
	s_and_b32 s7, s7, exec_lo
	s_or_saveexec_b32 s24, s24
	v_mov_b32_e32 v23, s23
	s_xor_b32 exec_lo, exec_lo, s24
	s_cbranch_execz .LBB6_8470
.LBB6_9152:                             ;   in Loop: Header=BB6_8134 Depth=2
	v_cmp_ne_u16_e32 vcc_lo, 0, v16
	v_mov_b32_e32 v23, 0
	s_and_not1_b32 s7, s7, exec_lo
	s_and_b32 s23, vcc_lo, exec_lo
	s_delay_alu instid0(SALU_CYCLE_1)
	s_or_b32 s7, s7, s23
	s_or_b32 exec_lo, exec_lo, s24
	s_and_saveexec_b32 s23, s7
	s_cbranch_execnz .LBB6_8471
	s_branch .LBB6_8472
.LBB6_9153:                             ;   in Loop: Header=BB6_8134 Depth=2
	s_mov_b32 s7, -1
	s_mov_b32 s25, exec_lo
                                        ; implicit-def: $sgpr23
	v_cmpx_eq_u16_e32 0x80, v16
; %bb.9154:                             ;   in Loop: Header=BB6_8134 Depth=2
	s_mov_b32 s23, 0x7f800001
	s_xor_b32 s7, exec_lo, -1
; %bb.9155:                             ;   in Loop: Header=BB6_8134 Depth=2
	s_or_b32 exec_lo, exec_lo, s25
	s_delay_alu instid0(SALU_CYCLE_1)
	s_and_b32 s7, s7, exec_lo
	s_or_saveexec_b32 s24, s24
	v_mov_b32_e32 v23, s23
	s_xor_b32 exec_lo, exec_lo, s24
	s_cbranch_execz .LBB6_8482
.LBB6_9156:                             ;   in Loop: Header=BB6_8134 Depth=2
	v_cmp_ne_u16_e32 vcc_lo, 0, v16
	v_mov_b32_e32 v23, 0
	s_and_not1_b32 s7, s7, exec_lo
	s_and_b32 s23, vcc_lo, exec_lo
	s_delay_alu instid0(SALU_CYCLE_1)
	s_or_b32 s7, s7, s23
	s_or_b32 exec_lo, exec_lo, s24
	s_and_saveexec_b32 s23, s7
	s_cbranch_execnz .LBB6_8483
	s_branch .LBB6_8484
.LBB6_9157:                             ;   in Loop: Header=BB6_8134 Depth=2
	s_mov_b32 s7, -1
	s_mov_b32 s25, exec_lo
                                        ; implicit-def: $sgpr23
	v_cmpx_eq_u16_e32 0x80, v16
; %bb.9158:                             ;   in Loop: Header=BB6_8134 Depth=2
	s_mov_b32 s23, 0x7f800001
	s_xor_b32 s7, exec_lo, -1
; %bb.9159:                             ;   in Loop: Header=BB6_8134 Depth=2
	s_or_b32 exec_lo, exec_lo, s25
	s_delay_alu instid0(SALU_CYCLE_1)
	s_and_b32 s7, s7, exec_lo
	s_or_saveexec_b32 s24, s24
	v_mov_b32_e32 v23, s23
	s_xor_b32 exec_lo, exec_lo, s24
	s_cbranch_execz .LBB6_8494
.LBB6_9160:                             ;   in Loop: Header=BB6_8134 Depth=2
	v_cmp_ne_u16_e32 vcc_lo, 0, v16
	v_mov_b32_e32 v23, 0
	s_and_not1_b32 s7, s7, exec_lo
	s_and_b32 s23, vcc_lo, exec_lo
	s_delay_alu instid0(SALU_CYCLE_1)
	s_or_b32 s7, s7, s23
	s_or_b32 exec_lo, exec_lo, s24
	s_and_saveexec_b32 s23, s7
	s_cbranch_execnz .LBB6_8495
	s_branch .LBB6_8496
.LBB6_9161:                             ;   in Loop: Header=BB6_8134 Depth=2
	s_mov_b32 s7, -1
	s_mov_b32 s25, exec_lo
                                        ; implicit-def: $sgpr23
	v_cmpx_eq_u16_e32 0x80, v16
; %bb.9162:                             ;   in Loop: Header=BB6_8134 Depth=2
	s_mov_b32 s23, 0x7f800001
	s_xor_b32 s7, exec_lo, -1
; %bb.9163:                             ;   in Loop: Header=BB6_8134 Depth=2
	s_or_b32 exec_lo, exec_lo, s25
	s_delay_alu instid0(SALU_CYCLE_1)
	s_and_b32 s7, s7, exec_lo
	s_or_saveexec_b32 s24, s24
	v_mov_b32_e32 v23, s23
	s_xor_b32 exec_lo, exec_lo, s24
	s_cbranch_execz .LBB6_8506
.LBB6_9164:                             ;   in Loop: Header=BB6_8134 Depth=2
	v_cmp_ne_u16_e32 vcc_lo, 0, v16
	v_mov_b32_e32 v23, 0
	s_and_not1_b32 s7, s7, exec_lo
	s_and_b32 s23, vcc_lo, exec_lo
	s_delay_alu instid0(SALU_CYCLE_1)
	s_or_b32 s7, s7, s23
	s_or_b32 exec_lo, exec_lo, s24
	s_and_saveexec_b32 s23, s7
	s_cbranch_execnz .LBB6_8507
	s_branch .LBB6_8508
.LBB6_9165:                             ;   in Loop: Header=BB6_8134 Depth=2
	s_mov_b32 s7, -1
	s_mov_b32 s25, exec_lo
                                        ; implicit-def: $sgpr23
	v_cmpx_eq_u16_e32 0x80, v16
; %bb.9166:                             ;   in Loop: Header=BB6_8134 Depth=2
	s_mov_b32 s23, 0x7f800001
	s_xor_b32 s7, exec_lo, -1
; %bb.9167:                             ;   in Loop: Header=BB6_8134 Depth=2
	s_or_b32 exec_lo, exec_lo, s25
	s_delay_alu instid0(SALU_CYCLE_1)
	s_and_b32 s7, s7, exec_lo
	s_or_saveexec_b32 s24, s24
	v_mov_b32_e32 v64, s23
	s_xor_b32 exec_lo, exec_lo, s24
	s_cbranch_execz .LBB6_8518
.LBB6_9168:                             ;   in Loop: Header=BB6_8134 Depth=2
	v_cmp_ne_u16_e32 vcc_lo, 0, v16
	v_mov_b32_e32 v64, 0
	s_and_not1_b32 s7, s7, exec_lo
	s_and_b32 s23, vcc_lo, exec_lo
	s_delay_alu instid0(SALU_CYCLE_1)
	s_or_b32 s7, s7, s23
	s_or_b32 exec_lo, exec_lo, s24
	s_and_saveexec_b32 s23, s7
	s_cbranch_execnz .LBB6_8519
	s_branch .LBB6_8520
.LBB6_9169:                             ;   in Loop: Header=BB6_8134 Depth=2
	s_mov_b32 s7, -1
	s_mov_b32 s25, exec_lo
                                        ; implicit-def: $sgpr23
	v_cmpx_eq_u16_e32 0x80, v61
; %bb.9170:                             ;   in Loop: Header=BB6_8134 Depth=2
	s_mov_b32 s23, 0x7f800001
	s_xor_b32 s7, exec_lo, -1
; %bb.9171:                             ;   in Loop: Header=BB6_8134 Depth=2
	s_or_b32 exec_lo, exec_lo, s25
	s_delay_alu instid0(SALU_CYCLE_1)
	s_and_b32 s7, s7, exec_lo
                                        ; implicit-def: $vgpr61
	s_or_saveexec_b32 s24, s24
	v_mov_b32_e32 v60, s23
	s_xor_b32 exec_lo, exec_lo, s24
	s_cbranch_execz .LBB6_8530
.LBB6_9172:                             ;   in Loop: Header=BB6_8134 Depth=2
	v_cmp_ne_u16_e32 vcc_lo, 0, v61
	v_mov_b32_e32 v60, 0
	s_and_not1_b32 s7, s7, exec_lo
	s_and_b32 s23, vcc_lo, exec_lo
	s_delay_alu instid0(SALU_CYCLE_1)
	s_or_b32 s7, s7, s23
	s_or_b32 exec_lo, exec_lo, s24
	s_and_saveexec_b32 s23, s7
	s_cbranch_execnz .LBB6_8531
	s_branch .LBB6_8532
.LBB6_9173:                             ;   in Loop: Header=BB6_8134 Depth=2
	s_mov_b32 s7, -1
	s_mov_b32 s25, exec_lo
                                        ; implicit-def: $sgpr23
	v_cmpx_eq_u16_e32 0x80, v61
; %bb.9174:                             ;   in Loop: Header=BB6_8134 Depth=2
	s_mov_b32 s23, 0x7f800001
	s_xor_b32 s7, exec_lo, -1
; %bb.9175:                             ;   in Loop: Header=BB6_8134 Depth=2
	s_or_b32 exec_lo, exec_lo, s25
	s_delay_alu instid0(SALU_CYCLE_1)
	s_and_b32 s7, s7, exec_lo
                                        ; implicit-def: $vgpr61
	s_or_saveexec_b32 s24, s24
	v_mov_b32_e32 v24, s23
	s_xor_b32 exec_lo, exec_lo, s24
	s_cbranch_execz .LBB6_8534
.LBB6_9176:                             ;   in Loop: Header=BB6_8134 Depth=2
	v_cmp_ne_u16_e32 vcc_lo, 0, v61
	v_mov_b32_e32 v24, 0
	s_and_not1_b32 s7, s7, exec_lo
	s_and_b32 s23, vcc_lo, exec_lo
	s_delay_alu instid0(SALU_CYCLE_1)
	s_or_b32 s7, s7, s23
	s_or_b32 exec_lo, exec_lo, s24
	s_and_saveexec_b32 s23, s7
	s_cbranch_execnz .LBB6_8535
	s_branch .LBB6_8536
.LBB6_9177:                             ;   in Loop: Header=BB6_8134 Depth=2
	s_mov_b32 s7, -1
	s_mov_b32 s25, exec_lo
                                        ; implicit-def: $sgpr23
	v_cmpx_eq_u16_e32 0x80, v60
; %bb.9178:                             ;   in Loop: Header=BB6_8134 Depth=2
	s_mov_b32 s23, 0x7f800001
	s_xor_b32 s7, exec_lo, -1
; %bb.9179:                             ;   in Loop: Header=BB6_8134 Depth=2
	s_or_b32 exec_lo, exec_lo, s25
	s_delay_alu instid0(SALU_CYCLE_1)
	s_and_b32 s7, s7, exec_lo
                                        ; implicit-def: $vgpr60
	s_or_saveexec_b32 s24, s24
	v_mov_b32_e32 v59, s23
	s_xor_b32 exec_lo, exec_lo, s24
	s_cbranch_execz .LBB6_8546
.LBB6_9180:                             ;   in Loop: Header=BB6_8134 Depth=2
	v_cmp_ne_u16_e32 vcc_lo, 0, v60
	v_mov_b32_e32 v59, 0
	s_and_not1_b32 s7, s7, exec_lo
	s_and_b32 s23, vcc_lo, exec_lo
	s_delay_alu instid0(SALU_CYCLE_1)
	s_or_b32 s7, s7, s23
	s_or_b32 exec_lo, exec_lo, s24
	s_and_saveexec_b32 s23, s7
	s_cbranch_execnz .LBB6_8547
	s_branch .LBB6_8548
.LBB6_9181:                             ;   in Loop: Header=BB6_8134 Depth=2
	s_mov_b32 s7, -1
	s_mov_b32 s25, exec_lo
                                        ; implicit-def: $sgpr23
	v_cmpx_eq_u16_e32 0x80, v60
; %bb.9182:                             ;   in Loop: Header=BB6_8134 Depth=2
	s_mov_b32 s23, 0x7f800001
	s_xor_b32 s7, exec_lo, -1
; %bb.9183:                             ;   in Loop: Header=BB6_8134 Depth=2
	s_or_b32 exec_lo, exec_lo, s25
	s_delay_alu instid0(SALU_CYCLE_1)
	s_and_b32 s7, s7, exec_lo
                                        ; implicit-def: $vgpr60
	s_or_saveexec_b32 s24, s24
	v_mov_b32_e32 v67, s23
	s_xor_b32 exec_lo, exec_lo, s24
	s_cbranch_execz .LBB6_8550
.LBB6_9184:                             ;   in Loop: Header=BB6_8134 Depth=2
	v_cmp_ne_u16_e32 vcc_lo, 0, v60
	v_mov_b32_e32 v67, 0
	s_and_not1_b32 s7, s7, exec_lo
	s_and_b32 s23, vcc_lo, exec_lo
	s_delay_alu instid0(SALU_CYCLE_1)
	s_or_b32 s7, s7, s23
	s_or_b32 exec_lo, exec_lo, s24
	s_and_saveexec_b32 s23, s7
	s_cbranch_execnz .LBB6_8551
	s_branch .LBB6_8552
.LBB6_9185:                             ;   in Loop: Header=BB6_8134 Depth=2
	s_mov_b32 s7, -1
	s_mov_b32 s25, exec_lo
                                        ; implicit-def: $sgpr23
	v_cmpx_eq_u16_e32 0x80, v59
; %bb.9186:                             ;   in Loop: Header=BB6_8134 Depth=2
	s_mov_b32 s23, 0x7f800001
	s_xor_b32 s7, exec_lo, -1
; %bb.9187:                             ;   in Loop: Header=BB6_8134 Depth=2
	s_or_b32 exec_lo, exec_lo, s25
	s_delay_alu instid0(SALU_CYCLE_1)
	s_and_b32 s7, s7, exec_lo
                                        ; implicit-def: $vgpr59
	s_or_saveexec_b32 s24, s24
	v_mov_b32_e32 v58, s23
	s_xor_b32 exec_lo, exec_lo, s24
	s_cbranch_execz .LBB6_8562
.LBB6_9188:                             ;   in Loop: Header=BB6_8134 Depth=2
	v_cmp_ne_u16_e32 vcc_lo, 0, v59
	v_mov_b32_e32 v58, 0
	s_and_not1_b32 s7, s7, exec_lo
	s_and_b32 s23, vcc_lo, exec_lo
	s_delay_alu instid0(SALU_CYCLE_1)
	s_or_b32 s7, s7, s23
	s_or_b32 exec_lo, exec_lo, s24
	s_and_saveexec_b32 s23, s7
	s_cbranch_execnz .LBB6_8563
	s_branch .LBB6_8564
.LBB6_9189:                             ;   in Loop: Header=BB6_8134 Depth=2
	s_mov_b32 s7, -1
	s_mov_b32 s25, exec_lo
                                        ; implicit-def: $sgpr23
	v_cmpx_eq_u16_e32 0x80, v59
; %bb.9190:                             ;   in Loop: Header=BB6_8134 Depth=2
	s_mov_b32 s23, 0x7f800001
	s_xor_b32 s7, exec_lo, -1
; %bb.9191:                             ;   in Loop: Header=BB6_8134 Depth=2
	s_or_b32 exec_lo, exec_lo, s25
	s_delay_alu instid0(SALU_CYCLE_1)
	s_and_b32 s7, s7, exec_lo
                                        ; implicit-def: $vgpr59
	s_or_saveexec_b32 s24, s24
	v_mov_b32_e32 v113, s23
	s_xor_b32 exec_lo, exec_lo, s24
	s_cbranch_execz .LBB6_8566
.LBB6_9192:                             ;   in Loop: Header=BB6_8134 Depth=2
	v_cmp_ne_u16_e32 vcc_lo, 0, v59
	v_mov_b32_e32 v113, 0
	s_and_not1_b32 s7, s7, exec_lo
	s_and_b32 s23, vcc_lo, exec_lo
	s_delay_alu instid0(SALU_CYCLE_1)
	s_or_b32 s7, s7, s23
	s_or_b32 exec_lo, exec_lo, s24
	s_and_saveexec_b32 s23, s7
	s_cbranch_execnz .LBB6_8567
	s_branch .LBB6_8568
.LBB6_9193:                             ;   in Loop: Header=BB6_8134 Depth=2
	s_mov_b32 s7, -1
	s_mov_b32 s25, exec_lo
                                        ; implicit-def: $sgpr23
	v_cmpx_eq_u16_e32 0x80, v58
; %bb.9194:                             ;   in Loop: Header=BB6_8134 Depth=2
	s_mov_b32 s23, 0x7f800001
	s_xor_b32 s7, exec_lo, -1
; %bb.9195:                             ;   in Loop: Header=BB6_8134 Depth=2
	s_or_b32 exec_lo, exec_lo, s25
	s_delay_alu instid0(SALU_CYCLE_1)
	s_and_b32 s7, s7, exec_lo
                                        ; implicit-def: $vgpr58
	s_or_saveexec_b32 s24, s24
	v_mov_b32_e32 v57, s23
	s_xor_b32 exec_lo, exec_lo, s24
	s_cbranch_execz .LBB6_8578
.LBB6_9196:                             ;   in Loop: Header=BB6_8134 Depth=2
	v_cmp_ne_u16_e32 vcc_lo, 0, v58
	v_mov_b32_e32 v57, 0
	s_and_not1_b32 s7, s7, exec_lo
	s_and_b32 s23, vcc_lo, exec_lo
	s_delay_alu instid0(SALU_CYCLE_1)
	s_or_b32 s7, s7, s23
	s_or_b32 exec_lo, exec_lo, s24
	s_and_saveexec_b32 s23, s7
	s_cbranch_execnz .LBB6_8579
	s_branch .LBB6_8580
.LBB6_9197:                             ;   in Loop: Header=BB6_8134 Depth=2
	s_mov_b32 s7, -1
	s_mov_b32 s25, exec_lo
                                        ; implicit-def: $sgpr23
	v_cmpx_eq_u16_e32 0x80, v58
; %bb.9198:                             ;   in Loop: Header=BB6_8134 Depth=2
	s_mov_b32 s23, 0x7f800001
	s_xor_b32 s7, exec_lo, -1
; %bb.9199:                             ;   in Loop: Header=BB6_8134 Depth=2
	s_or_b32 exec_lo, exec_lo, s25
	s_delay_alu instid0(SALU_CYCLE_1)
	s_and_b32 s7, s7, exec_lo
                                        ; implicit-def: $vgpr58
	s_or_saveexec_b32 s24, s24
	v_mov_b32_e32 v118, s23
	s_xor_b32 exec_lo, exec_lo, s24
	s_cbranch_execz .LBB6_8582
.LBB6_9200:                             ;   in Loop: Header=BB6_8134 Depth=2
	v_cmp_ne_u16_e32 vcc_lo, 0, v58
	v_mov_b32_e32 v118, 0
	s_and_not1_b32 s7, s7, exec_lo
	s_and_b32 s23, vcc_lo, exec_lo
	s_delay_alu instid0(SALU_CYCLE_1)
	s_or_b32 s7, s7, s23
	s_or_b32 exec_lo, exec_lo, s24
	s_and_saveexec_b32 s23, s7
	s_cbranch_execnz .LBB6_8583
	s_branch .LBB6_8584
.LBB6_9201:                             ;   in Loop: Header=BB6_8134 Depth=2
	s_mov_b32 s7, -1
	s_mov_b32 s25, exec_lo
                                        ; implicit-def: $sgpr23
	v_cmpx_eq_u16_e32 0x80, v57
; %bb.9202:                             ;   in Loop: Header=BB6_8134 Depth=2
	s_mov_b32 s23, 0x7f800001
	s_xor_b32 s7, exec_lo, -1
; %bb.9203:                             ;   in Loop: Header=BB6_8134 Depth=2
	s_or_b32 exec_lo, exec_lo, s25
	s_delay_alu instid0(SALU_CYCLE_1)
	s_and_b32 s7, s7, exec_lo
                                        ; implicit-def: $vgpr57
	s_or_saveexec_b32 s24, s24
	v_mov_b32_e32 v56, s23
	s_xor_b32 exec_lo, exec_lo, s24
	s_cbranch_execz .LBB6_8594
.LBB6_9204:                             ;   in Loop: Header=BB6_8134 Depth=2
	v_cmp_ne_u16_e32 vcc_lo, 0, v57
	v_mov_b32_e32 v56, 0
	s_and_not1_b32 s7, s7, exec_lo
	s_and_b32 s23, vcc_lo, exec_lo
	s_delay_alu instid0(SALU_CYCLE_1)
	s_or_b32 s7, s7, s23
	s_or_b32 exec_lo, exec_lo, s24
	s_and_saveexec_b32 s23, s7
	s_cbranch_execnz .LBB6_8595
	s_branch .LBB6_8596
.LBB6_9205:                             ;   in Loop: Header=BB6_8134 Depth=2
	s_mov_b32 s7, -1
	s_mov_b32 s25, exec_lo
                                        ; implicit-def: $sgpr23
	v_cmpx_eq_u16_e32 0x80, v57
; %bb.9206:                             ;   in Loop: Header=BB6_8134 Depth=2
	s_mov_b32 s23, 0x7f800001
	s_xor_b32 s7, exec_lo, -1
; %bb.9207:                             ;   in Loop: Header=BB6_8134 Depth=2
	s_or_b32 exec_lo, exec_lo, s25
	s_delay_alu instid0(SALU_CYCLE_1)
	s_and_b32 s7, s7, exec_lo
                                        ; implicit-def: $vgpr57
	s_or_saveexec_b32 s24, s24
	v_mov_b32_e32 v131, s23
	s_xor_b32 exec_lo, exec_lo, s24
	s_cbranch_execz .LBB6_8598
.LBB6_9208:                             ;   in Loop: Header=BB6_8134 Depth=2
	v_cmp_ne_u16_e32 vcc_lo, 0, v57
	v_mov_b32_e32 v131, 0
	s_and_not1_b32 s7, s7, exec_lo
	s_and_b32 s23, vcc_lo, exec_lo
	s_delay_alu instid0(SALU_CYCLE_1)
	s_or_b32 s7, s7, s23
	s_or_b32 exec_lo, exec_lo, s24
	s_and_saveexec_b32 s23, s7
	s_cbranch_execnz .LBB6_8599
	s_branch .LBB6_8600
.LBB6_9209:                             ;   in Loop: Header=BB6_8134 Depth=2
	s_mov_b32 s7, -1
	s_mov_b32 s25, exec_lo
                                        ; implicit-def: $sgpr23
	v_cmpx_eq_u16_e32 0x80, v56
; %bb.9210:                             ;   in Loop: Header=BB6_8134 Depth=2
	s_mov_b32 s23, 0x7f800001
	s_xor_b32 s7, exec_lo, -1
; %bb.9211:                             ;   in Loop: Header=BB6_8134 Depth=2
	s_or_b32 exec_lo, exec_lo, s25
	s_delay_alu instid0(SALU_CYCLE_1)
	s_and_b32 s7, s7, exec_lo
                                        ; implicit-def: $vgpr56
	s_or_saveexec_b32 s24, s24
	v_mov_b32_e32 v47, s23
	s_xor_b32 exec_lo, exec_lo, s24
	s_cbranch_execz .LBB6_8610
.LBB6_9212:                             ;   in Loop: Header=BB6_8134 Depth=2
	v_cmp_ne_u16_e32 vcc_lo, 0, v56
	v_mov_b32_e32 v47, 0
	s_and_not1_b32 s7, s7, exec_lo
	s_and_b32 s23, vcc_lo, exec_lo
	s_delay_alu instid0(SALU_CYCLE_1)
	s_or_b32 s7, s7, s23
	s_or_b32 exec_lo, exec_lo, s24
	s_and_saveexec_b32 s23, s7
	s_cbranch_execnz .LBB6_8611
	s_branch .LBB6_8612
.LBB6_9213:                             ;   in Loop: Header=BB6_8134 Depth=2
	s_mov_b32 s7, -1
	s_mov_b32 s25, exec_lo
                                        ; implicit-def: $sgpr23
	v_cmpx_eq_u16_e32 0x80, v56
; %bb.9214:                             ;   in Loop: Header=BB6_8134 Depth=2
	s_mov_b32 s23, 0x7f800001
	s_xor_b32 s7, exec_lo, -1
; %bb.9215:                             ;   in Loop: Header=BB6_8134 Depth=2
	s_or_b32 exec_lo, exec_lo, s25
	s_delay_alu instid0(SALU_CYCLE_1)
	s_and_b32 s7, s7, exec_lo
                                        ; implicit-def: $vgpr56
	s_or_saveexec_b32 s24, s24
	v_mov_b32_e32 v144, s23
	s_xor_b32 exec_lo, exec_lo, s24
	s_cbranch_execz .LBB6_8614
.LBB6_9216:                             ;   in Loop: Header=BB6_8134 Depth=2
	v_cmp_ne_u16_e32 vcc_lo, 0, v56
	v_mov_b32_e32 v144, 0
	s_and_not1_b32 s7, s7, exec_lo
	s_and_b32 s23, vcc_lo, exec_lo
	s_delay_alu instid0(SALU_CYCLE_1)
	s_or_b32 s7, s7, s23
	s_or_b32 exec_lo, exec_lo, s24
	s_and_saveexec_b32 s23, s7
	s_cbranch_execnz .LBB6_8615
	s_branch .LBB6_8616
.LBB6_9217:                             ;   in Loop: Header=BB6_8134 Depth=2
	s_mov_b32 s7, -1
	s_mov_b32 s25, exec_lo
                                        ; implicit-def: $sgpr23
	v_cmpx_eq_u16_e32 0x80, v47
; %bb.9218:                             ;   in Loop: Header=BB6_8134 Depth=2
	s_mov_b32 s23, 0x7f800001
	s_xor_b32 s7, exec_lo, -1
; %bb.9219:                             ;   in Loop: Header=BB6_8134 Depth=2
	s_or_b32 exec_lo, exec_lo, s25
	s_delay_alu instid0(SALU_CYCLE_1)
	s_and_b32 s7, s7, exec_lo
                                        ; implicit-def: $vgpr47
	s_or_saveexec_b32 s24, s24
	v_mov_b32_e32 v46, s23
	s_xor_b32 exec_lo, exec_lo, s24
	s_cbranch_execz .LBB6_8626
.LBB6_9220:                             ;   in Loop: Header=BB6_8134 Depth=2
	v_cmp_ne_u16_e32 vcc_lo, 0, v47
	v_mov_b32_e32 v46, 0
	s_and_not1_b32 s7, s7, exec_lo
	s_and_b32 s23, vcc_lo, exec_lo
	s_delay_alu instid0(SALU_CYCLE_1)
	s_or_b32 s7, s7, s23
	s_or_b32 exec_lo, exec_lo, s24
	s_and_saveexec_b32 s23, s7
	s_cbranch_execnz .LBB6_8627
	s_branch .LBB6_8628
.LBB6_9221:                             ;   in Loop: Header=BB6_8134 Depth=2
	s_mov_b32 s7, -1
	s_mov_b32 s25, exec_lo
                                        ; implicit-def: $sgpr23
	v_cmpx_eq_u16_e32 0x80, v47
; %bb.9222:                             ;   in Loop: Header=BB6_8134 Depth=2
	s_mov_b32 s23, 0x7f800001
	s_xor_b32 s7, exec_lo, -1
; %bb.9223:                             ;   in Loop: Header=BB6_8134 Depth=2
	s_or_b32 exec_lo, exec_lo, s25
	s_delay_alu instid0(SALU_CYCLE_1)
	s_and_b32 s7, s7, exec_lo
                                        ; implicit-def: $vgpr47
	s_or_saveexec_b32 s24, s24
	v_mov_b32_e32 v149, s23
	s_xor_b32 exec_lo, exec_lo, s24
	s_cbranch_execz .LBB6_8630
.LBB6_9224:                             ;   in Loop: Header=BB6_8134 Depth=2
	v_cmp_ne_u16_e32 vcc_lo, 0, v47
	v_mov_b32_e32 v149, 0
	s_and_not1_b32 s7, s7, exec_lo
	s_and_b32 s23, vcc_lo, exec_lo
	s_delay_alu instid0(SALU_CYCLE_1)
	s_or_b32 s7, s7, s23
	s_or_b32 exec_lo, exec_lo, s24
	s_and_saveexec_b32 s23, s7
	s_cbranch_execnz .LBB6_8631
	s_branch .LBB6_8632
.LBB6_9225:                             ;   in Loop: Header=BB6_8134 Depth=2
	s_mov_b32 s7, -1
	s_mov_b32 s25, exec_lo
                                        ; implicit-def: $sgpr23
	v_cmpx_eq_u16_e32 0x80, v46
; %bb.9226:                             ;   in Loop: Header=BB6_8134 Depth=2
	s_mov_b32 s23, 0x7f800001
	s_xor_b32 s7, exec_lo, -1
; %bb.9227:                             ;   in Loop: Header=BB6_8134 Depth=2
	s_or_b32 exec_lo, exec_lo, s25
	s_delay_alu instid0(SALU_CYCLE_1)
	s_and_b32 s7, s7, exec_lo
                                        ; implicit-def: $vgpr46
	s_or_saveexec_b32 s24, s24
	v_mov_b32_e32 v45, s23
	s_xor_b32 exec_lo, exec_lo, s24
	s_cbranch_execz .LBB6_8642
.LBB6_9228:                             ;   in Loop: Header=BB6_8134 Depth=2
	v_cmp_ne_u16_e32 vcc_lo, 0, v46
	v_mov_b32_e32 v45, 0
	s_and_not1_b32 s7, s7, exec_lo
	s_and_b32 s23, vcc_lo, exec_lo
	s_delay_alu instid0(SALU_CYCLE_1)
	s_or_b32 s7, s7, s23
	s_or_b32 exec_lo, exec_lo, s24
	s_and_saveexec_b32 s23, s7
	s_cbranch_execnz .LBB6_8643
	s_branch .LBB6_8644
.LBB6_9229:                             ;   in Loop: Header=BB6_8134 Depth=2
	s_mov_b32 s7, -1
	s_mov_b32 s25, exec_lo
                                        ; implicit-def: $sgpr23
	v_cmpx_eq_u16_e32 0x80, v46
; %bb.9230:                             ;   in Loop: Header=BB6_8134 Depth=2
	s_mov_b32 s23, 0x7f800001
	s_xor_b32 s7, exec_lo, -1
; %bb.9231:                             ;   in Loop: Header=BB6_8134 Depth=2
	s_or_b32 exec_lo, exec_lo, s25
	s_delay_alu instid0(SALU_CYCLE_1)
	s_and_b32 s7, s7, exec_lo
                                        ; implicit-def: $vgpr46
	s_or_saveexec_b32 s24, s24
	v_mov_b32_e32 v162, s23
	s_xor_b32 exec_lo, exec_lo, s24
	s_cbranch_execz .LBB6_8646
.LBB6_9232:                             ;   in Loop: Header=BB6_8134 Depth=2
	v_cmp_ne_u16_e32 vcc_lo, 0, v46
	v_mov_b32_e32 v162, 0
	s_and_not1_b32 s7, s7, exec_lo
	s_and_b32 s23, vcc_lo, exec_lo
	s_delay_alu instid0(SALU_CYCLE_1)
	s_or_b32 s7, s7, s23
	s_or_b32 exec_lo, exec_lo, s24
	s_and_saveexec_b32 s23, s7
	s_cbranch_execnz .LBB6_8647
	s_branch .LBB6_8648
.LBB6_9233:                             ;   in Loop: Header=BB6_8134 Depth=2
	s_mov_b32 s7, -1
	s_mov_b32 s25, exec_lo
                                        ; implicit-def: $sgpr23
	v_cmpx_eq_u16_e32 0x80, v45
; %bb.9234:                             ;   in Loop: Header=BB6_8134 Depth=2
	s_mov_b32 s23, 0x7f800001
	s_xor_b32 s7, exec_lo, -1
; %bb.9235:                             ;   in Loop: Header=BB6_8134 Depth=2
	s_or_b32 exec_lo, exec_lo, s25
	s_delay_alu instid0(SALU_CYCLE_1)
	s_and_b32 s7, s7, exec_lo
                                        ; implicit-def: $vgpr45
	s_or_saveexec_b32 s24, s24
	v_mov_b32_e32 v44, s23
	s_xor_b32 exec_lo, exec_lo, s24
	s_cbranch_execz .LBB6_8658
.LBB6_9236:                             ;   in Loop: Header=BB6_8134 Depth=2
	v_cmp_ne_u16_e32 vcc_lo, 0, v45
	v_mov_b32_e32 v44, 0
	s_and_not1_b32 s7, s7, exec_lo
	s_and_b32 s23, vcc_lo, exec_lo
	s_delay_alu instid0(SALU_CYCLE_1)
	s_or_b32 s7, s7, s23
	s_or_b32 exec_lo, exec_lo, s24
	s_and_saveexec_b32 s23, s7
	s_cbranch_execnz .LBB6_8659
	s_branch .LBB6_8660
.LBB6_9237:                             ;   in Loop: Header=BB6_8134 Depth=2
	s_mov_b32 s7, -1
	s_mov_b32 s25, exec_lo
                                        ; implicit-def: $sgpr23
	v_cmpx_eq_u16_e32 0x80, v45
; %bb.9238:                             ;   in Loop: Header=BB6_8134 Depth=2
	s_mov_b32 s23, 0x7f800001
	s_xor_b32 s7, exec_lo, -1
; %bb.9239:                             ;   in Loop: Header=BB6_8134 Depth=2
	s_or_b32 exec_lo, exec_lo, s25
	s_delay_alu instid0(SALU_CYCLE_1)
	s_and_b32 s7, s7, exec_lo
                                        ; implicit-def: $vgpr45
	s_or_saveexec_b32 s24, s24
	v_mov_b32_e32 v163, s23
	s_xor_b32 exec_lo, exec_lo, s24
	s_cbranch_execz .LBB6_8662
.LBB6_9240:                             ;   in Loop: Header=BB6_8134 Depth=2
	v_cmp_ne_u16_e32 vcc_lo, 0, v45
	v_mov_b32_e32 v163, 0
	s_and_not1_b32 s7, s7, exec_lo
	s_and_b32 s23, vcc_lo, exec_lo
	s_delay_alu instid0(SALU_CYCLE_1)
	s_or_b32 s7, s7, s23
	s_or_b32 exec_lo, exec_lo, s24
	s_and_saveexec_b32 s23, s7
	s_cbranch_execnz .LBB6_8663
	s_branch .LBB6_8664
.LBB6_9241:                             ;   in Loop: Header=BB6_8134 Depth=2
	s_mov_b32 s7, -1
	s_mov_b32 s25, exec_lo
                                        ; implicit-def: $sgpr23
	v_cmpx_eq_u16_e32 0x80, v44
; %bb.9242:                             ;   in Loop: Header=BB6_8134 Depth=2
	s_mov_b32 s23, 0x7f800001
	s_xor_b32 s7, exec_lo, -1
; %bb.9243:                             ;   in Loop: Header=BB6_8134 Depth=2
	s_or_b32 exec_lo, exec_lo, s25
	s_delay_alu instid0(SALU_CYCLE_1)
	s_and_b32 s7, s7, exec_lo
                                        ; implicit-def: $vgpr44
	s_or_saveexec_b32 s24, s24
	v_mov_b32_e32 v43, s23
	s_xor_b32 exec_lo, exec_lo, s24
	s_cbranch_execz .LBB6_8674
.LBB6_9244:                             ;   in Loop: Header=BB6_8134 Depth=2
	v_cmp_ne_u16_e32 vcc_lo, 0, v44
	v_mov_b32_e32 v43, 0
	s_and_not1_b32 s7, s7, exec_lo
	s_and_b32 s23, vcc_lo, exec_lo
	s_delay_alu instid0(SALU_CYCLE_1)
	s_or_b32 s7, s7, s23
	s_or_b32 exec_lo, exec_lo, s24
	s_and_saveexec_b32 s23, s7
	s_cbranch_execnz .LBB6_8675
	s_branch .LBB6_8676
.LBB6_9245:                             ;   in Loop: Header=BB6_8134 Depth=2
	s_mov_b32 s7, -1
	s_mov_b32 s25, exec_lo
                                        ; implicit-def: $sgpr23
	v_cmpx_eq_u16_e32 0x80, v44
; %bb.9246:                             ;   in Loop: Header=BB6_8134 Depth=2
	s_mov_b32 s23, 0x7f800001
	s_xor_b32 s7, exec_lo, -1
; %bb.9247:                             ;   in Loop: Header=BB6_8134 Depth=2
	s_or_b32 exec_lo, exec_lo, s25
	s_delay_alu instid0(SALU_CYCLE_1)
	s_and_b32 s7, s7, exec_lo
                                        ; implicit-def: $vgpr44
	s_or_saveexec_b32 s24, s24
	v_mov_b32_e32 v161, s23
	s_xor_b32 exec_lo, exec_lo, s24
	s_cbranch_execz .LBB6_8678
.LBB6_9248:                             ;   in Loop: Header=BB6_8134 Depth=2
	v_cmp_ne_u16_e32 vcc_lo, 0, v44
	v_mov_b32_e32 v161, 0
	s_and_not1_b32 s7, s7, exec_lo
	s_and_b32 s23, vcc_lo, exec_lo
	s_delay_alu instid0(SALU_CYCLE_1)
	s_or_b32 s7, s7, s23
	s_or_b32 exec_lo, exec_lo, s24
	s_and_saveexec_b32 s23, s7
	s_cbranch_execnz .LBB6_8679
	s_branch .LBB6_8680
.LBB6_9249:                             ;   in Loop: Header=BB6_8134 Depth=2
	s_mov_b32 s7, -1
	s_mov_b32 s25, exec_lo
                                        ; implicit-def: $sgpr23
	v_cmpx_eq_u16_e32 0x80, v43
; %bb.9250:                             ;   in Loop: Header=BB6_8134 Depth=2
	s_mov_b32 s23, 0x7f800001
	s_xor_b32 s7, exec_lo, -1
; %bb.9251:                             ;   in Loop: Header=BB6_8134 Depth=2
	s_or_b32 exec_lo, exec_lo, s25
	s_delay_alu instid0(SALU_CYCLE_1)
	s_and_b32 s7, s7, exec_lo
                                        ; implicit-def: $vgpr43
	s_or_saveexec_b32 s24, s24
	v_mov_b32_e32 v42, s23
	s_xor_b32 exec_lo, exec_lo, s24
	s_cbranch_execz .LBB6_8690
.LBB6_9252:                             ;   in Loop: Header=BB6_8134 Depth=2
	v_cmp_ne_u16_e32 vcc_lo, 0, v43
	v_mov_b32_e32 v42, 0
	s_and_not1_b32 s7, s7, exec_lo
	s_and_b32 s23, vcc_lo, exec_lo
	s_delay_alu instid0(SALU_CYCLE_1)
	s_or_b32 s7, s7, s23
	s_or_b32 exec_lo, exec_lo, s24
	s_and_saveexec_b32 s23, s7
	s_cbranch_execnz .LBB6_8691
	s_branch .LBB6_8692
.LBB6_9253:                             ;   in Loop: Header=BB6_8134 Depth=2
	s_mov_b32 s7, -1
	s_mov_b32 s25, exec_lo
                                        ; implicit-def: $sgpr23
	v_cmpx_eq_u16_e32 0x80, v43
; %bb.9254:                             ;   in Loop: Header=BB6_8134 Depth=2
	s_mov_b32 s23, 0x7f800001
	s_xor_b32 s7, exec_lo, -1
; %bb.9255:                             ;   in Loop: Header=BB6_8134 Depth=2
	s_or_b32 exec_lo, exec_lo, s25
	s_delay_alu instid0(SALU_CYCLE_1)
	s_and_b32 s7, s7, exec_lo
                                        ; implicit-def: $vgpr43
	s_or_saveexec_b32 s24, s24
	v_mov_b32_e32 v151, s23
	s_xor_b32 exec_lo, exec_lo, s24
	s_cbranch_execz .LBB6_8694
.LBB6_9256:                             ;   in Loop: Header=BB6_8134 Depth=2
	v_cmp_ne_u16_e32 vcc_lo, 0, v43
	v_mov_b32_e32 v151, 0
	s_and_not1_b32 s7, s7, exec_lo
	s_and_b32 s23, vcc_lo, exec_lo
	s_delay_alu instid0(SALU_CYCLE_1)
	s_or_b32 s7, s7, s23
	s_or_b32 exec_lo, exec_lo, s24
	s_and_saveexec_b32 s23, s7
	s_cbranch_execnz .LBB6_8695
	s_branch .LBB6_8696
.LBB6_9257:                             ;   in Loop: Header=BB6_8134 Depth=2
	s_mov_b32 s7, -1
	s_mov_b32 s25, exec_lo
                                        ; implicit-def: $sgpr23
	v_cmpx_eq_u16_e32 0x80, v42
; %bb.9258:                             ;   in Loop: Header=BB6_8134 Depth=2
	s_mov_b32 s23, 0x7f800001
	s_xor_b32 s7, exec_lo, -1
; %bb.9259:                             ;   in Loop: Header=BB6_8134 Depth=2
	s_or_b32 exec_lo, exec_lo, s25
	s_delay_alu instid0(SALU_CYCLE_1)
	s_and_b32 s7, s7, exec_lo
                                        ; implicit-def: $vgpr42
	s_or_saveexec_b32 s24, s24
	v_mov_b32_e32 v41, s23
	s_xor_b32 exec_lo, exec_lo, s24
	s_cbranch_execz .LBB6_8706
.LBB6_9260:                             ;   in Loop: Header=BB6_8134 Depth=2
	v_cmp_ne_u16_e32 vcc_lo, 0, v42
	v_mov_b32_e32 v41, 0
	s_and_not1_b32 s7, s7, exec_lo
	s_and_b32 s23, vcc_lo, exec_lo
	s_delay_alu instid0(SALU_CYCLE_1)
	s_or_b32 s7, s7, s23
	s_or_b32 exec_lo, exec_lo, s24
	s_and_saveexec_b32 s23, s7
	s_cbranch_execnz .LBB6_8707
	s_branch .LBB6_8708
.LBB6_9261:                             ;   in Loop: Header=BB6_8134 Depth=2
	s_mov_b32 s7, -1
	s_mov_b32 s25, exec_lo
                                        ; implicit-def: $sgpr23
	v_cmpx_eq_u16_e32 0x80, v42
; %bb.9262:                             ;   in Loop: Header=BB6_8134 Depth=2
	s_mov_b32 s23, 0x7f800001
	s_xor_b32 s7, exec_lo, -1
; %bb.9263:                             ;   in Loop: Header=BB6_8134 Depth=2
	s_or_b32 exec_lo, exec_lo, s25
	s_delay_alu instid0(SALU_CYCLE_1)
	s_and_b32 s7, s7, exec_lo
                                        ; implicit-def: $vgpr42
	s_or_saveexec_b32 s24, s24
	v_mov_b32_e32 v150, s23
	s_xor_b32 exec_lo, exec_lo, s24
	s_cbranch_execz .LBB6_8710
.LBB6_9264:                             ;   in Loop: Header=BB6_8134 Depth=2
	v_cmp_ne_u16_e32 vcc_lo, 0, v42
	v_mov_b32_e32 v150, 0
	s_and_not1_b32 s7, s7, exec_lo
	s_and_b32 s23, vcc_lo, exec_lo
	s_delay_alu instid0(SALU_CYCLE_1)
	s_or_b32 s7, s7, s23
	s_or_b32 exec_lo, exec_lo, s24
	s_and_saveexec_b32 s23, s7
	s_cbranch_execnz .LBB6_8711
	s_branch .LBB6_8712
.LBB6_9265:                             ;   in Loop: Header=BB6_8134 Depth=2
	s_mov_b32 s7, -1
	s_mov_b32 s25, exec_lo
                                        ; implicit-def: $sgpr23
	v_cmpx_eq_u16_e32 0x80, v41
; %bb.9266:                             ;   in Loop: Header=BB6_8134 Depth=2
	s_mov_b32 s23, 0x7f800001
	s_xor_b32 s7, exec_lo, -1
; %bb.9267:                             ;   in Loop: Header=BB6_8134 Depth=2
	s_or_b32 exec_lo, exec_lo, s25
	s_delay_alu instid0(SALU_CYCLE_1)
	s_and_b32 s7, s7, exec_lo
                                        ; implicit-def: $vgpr41
	s_or_saveexec_b32 s24, s24
	v_mov_b32_e32 v40, s23
	s_xor_b32 exec_lo, exec_lo, s24
	s_cbranch_execz .LBB6_8722
.LBB6_9268:                             ;   in Loop: Header=BB6_8134 Depth=2
	v_cmp_ne_u16_e32 vcc_lo, 0, v41
	v_mov_b32_e32 v40, 0
	s_and_not1_b32 s7, s7, exec_lo
	s_and_b32 s23, vcc_lo, exec_lo
	s_delay_alu instid0(SALU_CYCLE_1)
	s_or_b32 s7, s7, s23
	s_or_b32 exec_lo, exec_lo, s24
	s_and_saveexec_b32 s23, s7
	s_cbranch_execnz .LBB6_8723
	s_branch .LBB6_8724
.LBB6_9269:                             ;   in Loop: Header=BB6_8134 Depth=2
	s_mov_b32 s7, -1
	s_mov_b32 s25, exec_lo
                                        ; implicit-def: $sgpr23
	v_cmpx_eq_u16_e32 0x80, v41
; %bb.9270:                             ;   in Loop: Header=BB6_8134 Depth=2
	s_mov_b32 s23, 0x7f800001
	s_xor_b32 s7, exec_lo, -1
; %bb.9271:                             ;   in Loop: Header=BB6_8134 Depth=2
	s_or_b32 exec_lo, exec_lo, s25
	s_delay_alu instid0(SALU_CYCLE_1)
	s_and_b32 s7, s7, exec_lo
                                        ; implicit-def: $vgpr41
	s_or_saveexec_b32 s24, s24
	v_mov_b32_e32 v148, s23
	s_xor_b32 exec_lo, exec_lo, s24
	s_cbranch_execz .LBB6_8726
.LBB6_9272:                             ;   in Loop: Header=BB6_8134 Depth=2
	v_cmp_ne_u16_e32 vcc_lo, 0, v41
	v_mov_b32_e32 v148, 0
	s_and_not1_b32 s7, s7, exec_lo
	s_and_b32 s23, vcc_lo, exec_lo
	s_delay_alu instid0(SALU_CYCLE_1)
	s_or_b32 s7, s7, s23
	s_or_b32 exec_lo, exec_lo, s24
	s_and_saveexec_b32 s23, s7
	s_cbranch_execnz .LBB6_8727
	s_branch .LBB6_8728
.LBB6_9273:                             ;   in Loop: Header=BB6_8134 Depth=2
	s_mov_b32 s7, -1
	s_mov_b32 s25, exec_lo
                                        ; implicit-def: $sgpr23
	v_cmpx_eq_u16_e32 0x80, v40
; %bb.9274:                             ;   in Loop: Header=BB6_8134 Depth=2
	s_mov_b32 s23, 0x7f800001
	s_xor_b32 s7, exec_lo, -1
; %bb.9275:                             ;   in Loop: Header=BB6_8134 Depth=2
	s_or_b32 exec_lo, exec_lo, s25
	s_delay_alu instid0(SALU_CYCLE_1)
	s_and_b32 s7, s7, exec_lo
                                        ; implicit-def: $vgpr40
	s_or_saveexec_b32 s24, s24
	v_mov_b32_e32 v183, s23
	s_xor_b32 exec_lo, exec_lo, s24
	s_cbranch_execz .LBB6_8738
.LBB6_9276:                             ;   in Loop: Header=BB6_8134 Depth=2
	v_cmp_ne_u16_e32 vcc_lo, 0, v40
	v_mov_b32_e32 v183, 0
	s_and_not1_b32 s7, s7, exec_lo
	s_and_b32 s23, vcc_lo, exec_lo
	s_delay_alu instid0(SALU_CYCLE_1)
	s_or_b32 s7, s7, s23
	s_or_b32 exec_lo, exec_lo, s24
	s_and_saveexec_b32 s23, s7
	s_cbranch_execnz .LBB6_8739
	s_branch .LBB6_8740
.LBB6_9277:                             ;   in Loop: Header=BB6_8134 Depth=2
	s_mov_b32 s7, -1
	s_mov_b32 s25, exec_lo
                                        ; implicit-def: $sgpr23
	v_cmpx_eq_u16_e32 0x80, v40
; %bb.9278:                             ;   in Loop: Header=BB6_8134 Depth=2
	s_mov_b32 s23, 0x7f800001
	s_xor_b32 s7, exec_lo, -1
; %bb.9279:                             ;   in Loop: Header=BB6_8134 Depth=2
	s_or_b32 exec_lo, exec_lo, s25
	s_delay_alu instid0(SALU_CYCLE_1)
	s_and_b32 s7, s7, exec_lo
                                        ; implicit-def: $vgpr40
	s_or_saveexec_b32 s24, s24
	v_mov_b32_e32 v146, s23
	s_xor_b32 exec_lo, exec_lo, s24
	s_cbranch_execz .LBB6_8742
.LBB6_9280:                             ;   in Loop: Header=BB6_8134 Depth=2
	v_cmp_ne_u16_e32 vcc_lo, 0, v40
	v_mov_b32_e32 v146, 0
	s_and_not1_b32 s7, s7, exec_lo
	s_and_b32 s23, vcc_lo, exec_lo
	s_delay_alu instid0(SALU_CYCLE_1)
	s_or_b32 s7, s7, s23
	s_or_b32 exec_lo, exec_lo, s24
	s_and_saveexec_b32 s23, s7
	s_cbranch_execnz .LBB6_8743
	s_branch .LBB6_8744
.LBB6_9281:                             ;   in Loop: Header=BB6_8134 Depth=2
	s_mov_b32 s7, -1
	s_mov_b32 s25, exec_lo
                                        ; implicit-def: $sgpr23
	v_cmpx_eq_u16_e64 0x80, v183
; %bb.9282:                             ;   in Loop: Header=BB6_8134 Depth=2
	s_mov_b32 s23, 0x7f800001
	s_xor_b32 s7, exec_lo, -1
; %bb.9283:                             ;   in Loop: Header=BB6_8134 Depth=2
	s_or_b32 exec_lo, exec_lo, s25
	s_delay_alu instid0(SALU_CYCLE_1)
	s_and_b32 s7, s7, exec_lo
                                        ; implicit-def: $vgpr183
	s_or_saveexec_b32 s24, s24
	v_mov_b32_e32 v182, s23
	s_xor_b32 exec_lo, exec_lo, s24
	s_cbranch_execz .LBB6_8754
.LBB6_9284:                             ;   in Loop: Header=BB6_8134 Depth=2
	v_cmp_ne_u16_e64 vcc_lo, 0, v183
	v_mov_b32_e32 v182, 0
	s_and_not1_b32 s7, s7, exec_lo
	s_delay_alu instid0(VALU_DEP_2) | instskip(NEXT) | instid1(SALU_CYCLE_1)
	s_and_b32 s23, vcc_lo, exec_lo
	s_or_b32 s7, s7, s23
	s_or_b32 exec_lo, exec_lo, s24
	s_and_saveexec_b32 s23, s7
	s_cbranch_execnz .LBB6_8755
	s_branch .LBB6_8756
.LBB6_9285:                             ;   in Loop: Header=BB6_8134 Depth=2
	s_mov_b32 s7, -1
	s_mov_b32 s25, exec_lo
                                        ; implicit-def: $sgpr23
	v_cmpx_eq_u16_e64 0x80, v183
; %bb.9286:                             ;   in Loop: Header=BB6_8134 Depth=2
	s_mov_b32 s23, 0x7f800001
	s_xor_b32 s7, exec_lo, -1
; %bb.9287:                             ;   in Loop: Header=BB6_8134 Depth=2
	s_or_b32 exec_lo, exec_lo, s25
	s_delay_alu instid0(SALU_CYCLE_1)
	s_and_b32 s7, s7, exec_lo
                                        ; implicit-def: $vgpr183
	s_or_saveexec_b32 s24, s24
	v_mov_b32_e32 v145, s23
	s_xor_b32 exec_lo, exec_lo, s24
	s_cbranch_execz .LBB6_8758
.LBB6_9288:                             ;   in Loop: Header=BB6_8134 Depth=2
	v_cmp_ne_u16_e64 vcc_lo, 0, v183
	v_mov_b32_e32 v145, 0
	s_and_not1_b32 s7, s7, exec_lo
	s_delay_alu instid0(VALU_DEP_2) | instskip(NEXT) | instid1(SALU_CYCLE_1)
	s_and_b32 s23, vcc_lo, exec_lo
	s_or_b32 s7, s7, s23
	s_or_b32 exec_lo, exec_lo, s24
	s_and_saveexec_b32 s23, s7
	s_cbranch_execnz .LBB6_8759
	s_branch .LBB6_8760
.LBB6_9289:                             ;   in Loop: Header=BB6_8134 Depth=2
	s_mov_b32 s7, -1
	s_mov_b32 s25, exec_lo
                                        ; implicit-def: $sgpr23
	v_cmpx_eq_u16_e64 0x80, v182
; %bb.9290:                             ;   in Loop: Header=BB6_8134 Depth=2
	s_mov_b32 s23, 0x7f800001
	s_xor_b32 s7, exec_lo, -1
; %bb.9291:                             ;   in Loop: Header=BB6_8134 Depth=2
	s_or_b32 exec_lo, exec_lo, s25
	s_delay_alu instid0(SALU_CYCLE_1)
	s_and_b32 s7, s7, exec_lo
                                        ; implicit-def: $vgpr182
	s_or_saveexec_b32 s24, s24
	v_mov_b32_e32 v181, s23
	s_xor_b32 exec_lo, exec_lo, s24
	s_cbranch_execz .LBB6_8770
.LBB6_9292:                             ;   in Loop: Header=BB6_8134 Depth=2
	v_cmp_ne_u16_e64 vcc_lo, 0, v182
	v_mov_b32_e32 v181, 0
	s_and_not1_b32 s7, s7, exec_lo
	s_delay_alu instid0(VALU_DEP_2) | instskip(NEXT) | instid1(SALU_CYCLE_1)
	s_and_b32 s23, vcc_lo, exec_lo
	s_or_b32 s7, s7, s23
	s_or_b32 exec_lo, exec_lo, s24
	s_and_saveexec_b32 s23, s7
	s_cbranch_execnz .LBB6_8771
	s_branch .LBB6_8772
.LBB6_9293:                             ;   in Loop: Header=BB6_8134 Depth=2
	s_mov_b32 s7, -1
	s_mov_b32 s25, exec_lo
                                        ; implicit-def: $sgpr23
	v_cmpx_eq_u16_e64 0x80, v182
; %bb.9294:                             ;   in Loop: Header=BB6_8134 Depth=2
	s_mov_b32 s23, 0x7f800001
	s_xor_b32 s7, exec_lo, -1
; %bb.9295:                             ;   in Loop: Header=BB6_8134 Depth=2
	s_or_b32 exec_lo, exec_lo, s25
	s_delay_alu instid0(SALU_CYCLE_1)
	s_and_b32 s7, s7, exec_lo
                                        ; implicit-def: $vgpr182
	s_or_saveexec_b32 s24, s24
	v_mov_b32_e32 v135, s23
	s_xor_b32 exec_lo, exec_lo, s24
	s_cbranch_execz .LBB6_8774
.LBB6_9296:                             ;   in Loop: Header=BB6_8134 Depth=2
	v_cmp_ne_u16_e64 vcc_lo, 0, v182
	v_mov_b32_e32 v135, 0
	s_and_not1_b32 s7, s7, exec_lo
	s_delay_alu instid0(VALU_DEP_2) | instskip(NEXT) | instid1(SALU_CYCLE_1)
	s_and_b32 s23, vcc_lo, exec_lo
	s_or_b32 s7, s7, s23
	s_or_b32 exec_lo, exec_lo, s24
	s_and_saveexec_b32 s23, s7
	s_cbranch_execnz .LBB6_8775
	s_branch .LBB6_8776
.LBB6_9297:                             ;   in Loop: Header=BB6_8134 Depth=2
	s_mov_b32 s7, -1
	s_mov_b32 s25, exec_lo
                                        ; implicit-def: $sgpr23
	v_cmpx_eq_u16_e64 0x80, v181
; %bb.9298:                             ;   in Loop: Header=BB6_8134 Depth=2
	s_mov_b32 s23, 0x7f800001
	s_xor_b32 s7, exec_lo, -1
; %bb.9299:                             ;   in Loop: Header=BB6_8134 Depth=2
	s_or_b32 exec_lo, exec_lo, s25
	s_delay_alu instid0(SALU_CYCLE_1)
	s_and_b32 s7, s7, exec_lo
                                        ; implicit-def: $vgpr181
	s_or_saveexec_b32 s24, s24
	v_mov_b32_e32 v180, s23
	s_xor_b32 exec_lo, exec_lo, s24
	s_cbranch_execz .LBB6_8786
.LBB6_9300:                             ;   in Loop: Header=BB6_8134 Depth=2
	v_cmp_ne_u16_e64 vcc_lo, 0, v181
	v_mov_b32_e32 v180, 0
	s_and_not1_b32 s7, s7, exec_lo
	s_delay_alu instid0(VALU_DEP_2) | instskip(NEXT) | instid1(SALU_CYCLE_1)
	s_and_b32 s23, vcc_lo, exec_lo
	s_or_b32 s7, s7, s23
	s_or_b32 exec_lo, exec_lo, s24
	s_and_saveexec_b32 s23, s7
	s_cbranch_execnz .LBB6_8787
	s_branch .LBB6_8788
.LBB6_9301:                             ;   in Loop: Header=BB6_8134 Depth=2
	s_mov_b32 s7, -1
	s_mov_b32 s25, exec_lo
                                        ; implicit-def: $sgpr23
	v_cmpx_eq_u16_e64 0x80, v181
; %bb.9302:                             ;   in Loop: Header=BB6_8134 Depth=2
	s_mov_b32 s23, 0x7f800001
	s_xor_b32 s7, exec_lo, -1
; %bb.9303:                             ;   in Loop: Header=BB6_8134 Depth=2
	s_or_b32 exec_lo, exec_lo, s25
	s_delay_alu instid0(SALU_CYCLE_1)
	s_and_b32 s7, s7, exec_lo
                                        ; implicit-def: $vgpr181
	s_or_saveexec_b32 s24, s24
	v_mov_b32_e32 v133, s23
	s_xor_b32 exec_lo, exec_lo, s24
	s_cbranch_execz .LBB6_8790
.LBB6_9304:                             ;   in Loop: Header=BB6_8134 Depth=2
	v_cmp_ne_u16_e64 vcc_lo, 0, v181
	v_mov_b32_e32 v133, 0
	s_and_not1_b32 s7, s7, exec_lo
	s_delay_alu instid0(VALU_DEP_2) | instskip(NEXT) | instid1(SALU_CYCLE_1)
	s_and_b32 s23, vcc_lo, exec_lo
	s_or_b32 s7, s7, s23
	s_or_b32 exec_lo, exec_lo, s24
	s_and_saveexec_b32 s23, s7
	s_cbranch_execnz .LBB6_8791
	s_branch .LBB6_8792
.LBB6_9305:                             ;   in Loop: Header=BB6_8134 Depth=2
	s_mov_b32 s7, -1
	s_mov_b32 s25, exec_lo
                                        ; implicit-def: $sgpr23
	v_cmpx_eq_u16_e64 0x80, v180
; %bb.9306:                             ;   in Loop: Header=BB6_8134 Depth=2
	s_mov_b32 s23, 0x7f800001
	s_xor_b32 s7, exec_lo, -1
; %bb.9307:                             ;   in Loop: Header=BB6_8134 Depth=2
	s_or_b32 exec_lo, exec_lo, s25
	s_delay_alu instid0(SALU_CYCLE_1)
	s_and_b32 s7, s7, exec_lo
                                        ; implicit-def: $vgpr180
	s_or_saveexec_b32 s24, s24
	v_mov_b32_e32 v179, s23
	s_xor_b32 exec_lo, exec_lo, s24
	s_cbranch_execz .LBB6_8802
.LBB6_9308:                             ;   in Loop: Header=BB6_8134 Depth=2
	v_cmp_ne_u16_e64 vcc_lo, 0, v180
	v_mov_b32_e32 v179, 0
	s_and_not1_b32 s7, s7, exec_lo
	s_delay_alu instid0(VALU_DEP_2) | instskip(NEXT) | instid1(SALU_CYCLE_1)
	s_and_b32 s23, vcc_lo, exec_lo
	s_or_b32 s7, s7, s23
	s_or_b32 exec_lo, exec_lo, s24
	s_and_saveexec_b32 s23, s7
	s_cbranch_execnz .LBB6_8803
	s_branch .LBB6_8804
.LBB6_9309:                             ;   in Loop: Header=BB6_8134 Depth=2
	s_mov_b32 s7, -1
	s_mov_b32 s25, exec_lo
                                        ; implicit-def: $sgpr23
	v_cmpx_eq_u16_e64 0x80, v180
; %bb.9310:                             ;   in Loop: Header=BB6_8134 Depth=2
	s_mov_b32 s23, 0x7f800001
	s_xor_b32 s7, exec_lo, -1
; %bb.9311:                             ;   in Loop: Header=BB6_8134 Depth=2
	s_or_b32 exec_lo, exec_lo, s25
	s_delay_alu instid0(SALU_CYCLE_1)
	s_and_b32 s7, s7, exec_lo
                                        ; implicit-def: $vgpr180
	s_or_saveexec_b32 s24, s24
	v_mov_b32_e32 v132, s23
	s_xor_b32 exec_lo, exec_lo, s24
	s_cbranch_execz .LBB6_8806
.LBB6_9312:                             ;   in Loop: Header=BB6_8134 Depth=2
	v_cmp_ne_u16_e64 vcc_lo, 0, v180
	v_mov_b32_e32 v132, 0
	s_and_not1_b32 s7, s7, exec_lo
	s_delay_alu instid0(VALU_DEP_2) | instskip(NEXT) | instid1(SALU_CYCLE_1)
	s_and_b32 s23, vcc_lo, exec_lo
	s_or_b32 s7, s7, s23
	s_or_b32 exec_lo, exec_lo, s24
	s_and_saveexec_b32 s23, s7
	s_cbranch_execnz .LBB6_8807
	s_branch .LBB6_8808
.LBB6_9313:                             ;   in Loop: Header=BB6_8134 Depth=2
	s_mov_b32 s7, -1
	s_mov_b32 s25, exec_lo
                                        ; implicit-def: $sgpr23
	v_cmpx_eq_u16_e64 0x80, v179
; %bb.9314:                             ;   in Loop: Header=BB6_8134 Depth=2
	s_mov_b32 s23, 0x7f800001
	s_xor_b32 s7, exec_lo, -1
; %bb.9315:                             ;   in Loop: Header=BB6_8134 Depth=2
	s_or_b32 exec_lo, exec_lo, s25
	s_delay_alu instid0(SALU_CYCLE_1)
	s_and_b32 s7, s7, exec_lo
                                        ; implicit-def: $vgpr179
	s_or_saveexec_b32 s24, s24
	v_mov_b32_e32 v178, s23
	s_xor_b32 exec_lo, exec_lo, s24
	s_cbranch_execz .LBB6_8818
.LBB6_9316:                             ;   in Loop: Header=BB6_8134 Depth=2
	v_cmp_ne_u16_e64 vcc_lo, 0, v179
	v_mov_b32_e32 v178, 0
	s_and_not1_b32 s7, s7, exec_lo
	s_delay_alu instid0(VALU_DEP_2) | instskip(NEXT) | instid1(SALU_CYCLE_1)
	s_and_b32 s23, vcc_lo, exec_lo
	s_or_b32 s7, s7, s23
	s_or_b32 exec_lo, exec_lo, s24
	s_and_saveexec_b32 s23, s7
	s_cbranch_execnz .LBB6_8819
	s_branch .LBB6_8820
.LBB6_9317:                             ;   in Loop: Header=BB6_8134 Depth=2
	s_mov_b32 s7, -1
	s_mov_b32 s25, exec_lo
                                        ; implicit-def: $sgpr23
	v_cmpx_eq_u16_e64 0x80, v179
; %bb.9318:                             ;   in Loop: Header=BB6_8134 Depth=2
	s_mov_b32 s23, 0x7f800001
	s_xor_b32 s7, exec_lo, -1
; %bb.9319:                             ;   in Loop: Header=BB6_8134 Depth=2
	s_or_b32 exec_lo, exec_lo, s25
	s_delay_alu instid0(SALU_CYCLE_1)
	s_and_b32 s7, s7, exec_lo
                                        ; implicit-def: $vgpr179
	s_or_saveexec_b32 s24, s24
	v_mov_b32_e32 v130, s23
	s_xor_b32 exec_lo, exec_lo, s24
	s_cbranch_execz .LBB6_8822
.LBB6_9320:                             ;   in Loop: Header=BB6_8134 Depth=2
	v_cmp_ne_u16_e64 vcc_lo, 0, v179
	v_mov_b32_e32 v130, 0
	s_and_not1_b32 s7, s7, exec_lo
	s_delay_alu instid0(VALU_DEP_2) | instskip(NEXT) | instid1(SALU_CYCLE_1)
	s_and_b32 s23, vcc_lo, exec_lo
	s_or_b32 s7, s7, s23
	s_or_b32 exec_lo, exec_lo, s24
	s_and_saveexec_b32 s23, s7
	s_cbranch_execnz .LBB6_8823
	s_branch .LBB6_8824
.LBB6_9321:                             ;   in Loop: Header=BB6_8134 Depth=2
	s_mov_b32 s7, -1
	s_mov_b32 s25, exec_lo
                                        ; implicit-def: $sgpr23
	v_cmpx_eq_u16_e64 0x80, v178
; %bb.9322:                             ;   in Loop: Header=BB6_8134 Depth=2
	s_mov_b32 s23, 0x7f800001
	s_xor_b32 s7, exec_lo, -1
; %bb.9323:                             ;   in Loop: Header=BB6_8134 Depth=2
	s_or_b32 exec_lo, exec_lo, s25
	s_delay_alu instid0(SALU_CYCLE_1)
	s_and_b32 s7, s7, exec_lo
                                        ; implicit-def: $vgpr178
	s_or_saveexec_b32 s24, s24
	v_mov_b32_e32 v177, s23
	s_xor_b32 exec_lo, exec_lo, s24
	s_cbranch_execz .LBB6_8834
.LBB6_9324:                             ;   in Loop: Header=BB6_8134 Depth=2
	v_cmp_ne_u16_e64 vcc_lo, 0, v178
	v_mov_b32_e32 v177, 0
	s_and_not1_b32 s7, s7, exec_lo
	s_delay_alu instid0(VALU_DEP_2) | instskip(NEXT) | instid1(SALU_CYCLE_1)
	s_and_b32 s23, vcc_lo, exec_lo
	s_or_b32 s7, s7, s23
	s_or_b32 exec_lo, exec_lo, s24
	s_and_saveexec_b32 s23, s7
	s_cbranch_execnz .LBB6_8835
	s_branch .LBB6_8836
.LBB6_9325:                             ;   in Loop: Header=BB6_8134 Depth=2
	s_mov_b32 s7, -1
	s_mov_b32 s25, exec_lo
                                        ; implicit-def: $sgpr23
	v_cmpx_eq_u16_e64 0x80, v178
; %bb.9326:                             ;   in Loop: Header=BB6_8134 Depth=2
	s_mov_b32 s23, 0x7f800001
	s_xor_b32 s7, exec_lo, -1
; %bb.9327:                             ;   in Loop: Header=BB6_8134 Depth=2
	s_or_b32 exec_lo, exec_lo, s25
	s_delay_alu instid0(SALU_CYCLE_1)
	s_and_b32 s7, s7, exec_lo
                                        ; implicit-def: $vgpr178
	s_or_saveexec_b32 s24, s24
	v_mov_b32_e32 v128, s23
	s_xor_b32 exec_lo, exec_lo, s24
	s_cbranch_execz .LBB6_8838
.LBB6_9328:                             ;   in Loop: Header=BB6_8134 Depth=2
	v_cmp_ne_u16_e64 vcc_lo, 0, v178
	v_mov_b32_e32 v128, 0
	s_and_not1_b32 s7, s7, exec_lo
	s_delay_alu instid0(VALU_DEP_2) | instskip(NEXT) | instid1(SALU_CYCLE_1)
	s_and_b32 s23, vcc_lo, exec_lo
	s_or_b32 s7, s7, s23
	s_or_b32 exec_lo, exec_lo, s24
	s_and_saveexec_b32 s23, s7
	s_cbranch_execnz .LBB6_8839
	s_branch .LBB6_8840
.LBB6_9329:                             ;   in Loop: Header=BB6_8134 Depth=2
	s_mov_b32 s7, -1
	s_mov_b32 s25, exec_lo
                                        ; implicit-def: $sgpr23
	v_cmpx_eq_u16_e64 0x80, v177
; %bb.9330:                             ;   in Loop: Header=BB6_8134 Depth=2
	s_mov_b32 s23, 0x7f800001
	s_xor_b32 s7, exec_lo, -1
; %bb.9331:                             ;   in Loop: Header=BB6_8134 Depth=2
	s_or_b32 exec_lo, exec_lo, s25
	s_delay_alu instid0(SALU_CYCLE_1)
	s_and_b32 s7, s7, exec_lo
                                        ; implicit-def: $vgpr177
	s_or_saveexec_b32 s24, s24
	v_mov_b32_e32 v176, s23
	s_xor_b32 exec_lo, exec_lo, s24
	s_cbranch_execz .LBB6_8850
.LBB6_9332:                             ;   in Loop: Header=BB6_8134 Depth=2
	v_cmp_ne_u16_e64 vcc_lo, 0, v177
	v_mov_b32_e32 v176, 0
	s_and_not1_b32 s7, s7, exec_lo
	s_delay_alu instid0(VALU_DEP_2) | instskip(NEXT) | instid1(SALU_CYCLE_1)
	s_and_b32 s23, vcc_lo, exec_lo
	s_or_b32 s7, s7, s23
	s_or_b32 exec_lo, exec_lo, s24
	s_and_saveexec_b32 s23, s7
	s_cbranch_execnz .LBB6_8851
	s_branch .LBB6_8852
.LBB6_9333:                             ;   in Loop: Header=BB6_8134 Depth=2
	s_mov_b32 s7, -1
	s_mov_b32 s25, exec_lo
                                        ; implicit-def: $sgpr23
	v_cmpx_eq_u16_e64 0x80, v177
; %bb.9334:                             ;   in Loop: Header=BB6_8134 Depth=2
	s_mov_b32 s23, 0x7f800001
	s_xor_b32 s7, exec_lo, -1
; %bb.9335:                             ;   in Loop: Header=BB6_8134 Depth=2
	s_or_b32 exec_lo, exec_lo, s25
	s_delay_alu instid0(SALU_CYCLE_1)
	s_and_b32 s7, s7, exec_lo
                                        ; implicit-def: $vgpr177
	s_or_saveexec_b32 s24, s24
	v_mov_b32_e32 v119, s23
	s_xor_b32 exec_lo, exec_lo, s24
	s_cbranch_execz .LBB6_8854
.LBB6_9336:                             ;   in Loop: Header=BB6_8134 Depth=2
	v_cmp_ne_u16_e64 vcc_lo, 0, v177
	v_mov_b32_e32 v119, 0
	s_and_not1_b32 s7, s7, exec_lo
	s_delay_alu instid0(VALU_DEP_2) | instskip(NEXT) | instid1(SALU_CYCLE_1)
	s_and_b32 s23, vcc_lo, exec_lo
	s_or_b32 s7, s7, s23
	s_or_b32 exec_lo, exec_lo, s24
	s_and_saveexec_b32 s23, s7
	s_cbranch_execnz .LBB6_8855
	s_branch .LBB6_8856
.LBB6_9337:                             ;   in Loop: Header=BB6_8134 Depth=2
	s_mov_b32 s7, -1
	s_mov_b32 s25, exec_lo
                                        ; implicit-def: $sgpr23
	v_cmpx_eq_u16_e64 0x80, v176
; %bb.9338:                             ;   in Loop: Header=BB6_8134 Depth=2
	s_mov_b32 s23, 0x7f800001
	s_xor_b32 s7, exec_lo, -1
; %bb.9339:                             ;   in Loop: Header=BB6_8134 Depth=2
	s_or_b32 exec_lo, exec_lo, s25
	s_delay_alu instid0(SALU_CYCLE_1)
	s_and_b32 s7, s7, exec_lo
                                        ; implicit-def: $vgpr176
	s_or_saveexec_b32 s24, s24
	v_mov_b32_e32 v167, s23
	s_xor_b32 exec_lo, exec_lo, s24
	s_cbranch_execz .LBB6_8866
.LBB6_9340:                             ;   in Loop: Header=BB6_8134 Depth=2
	v_cmp_ne_u16_e64 vcc_lo, 0, v176
	v_mov_b32_e32 v167, 0
	s_and_not1_b32 s7, s7, exec_lo
	s_delay_alu instid0(VALU_DEP_2) | instskip(NEXT) | instid1(SALU_CYCLE_1)
	s_and_b32 s23, vcc_lo, exec_lo
	s_or_b32 s7, s7, s23
	s_or_b32 exec_lo, exec_lo, s24
	s_and_saveexec_b32 s23, s7
	s_cbranch_execnz .LBB6_8867
	s_branch .LBB6_8868
.LBB6_9341:                             ;   in Loop: Header=BB6_8134 Depth=2
	s_mov_b32 s7, -1
	s_mov_b32 s25, exec_lo
                                        ; implicit-def: $sgpr23
	v_cmpx_eq_u16_e64 0x80, v176
; %bb.9342:                             ;   in Loop: Header=BB6_8134 Depth=2
	s_mov_b32 s23, 0x7f800001
	s_xor_b32 s7, exec_lo, -1
; %bb.9343:                             ;   in Loop: Header=BB6_8134 Depth=2
	s_or_b32 exec_lo, exec_lo, s25
	s_delay_alu instid0(SALU_CYCLE_1)
	s_and_b32 s7, s7, exec_lo
                                        ; implicit-def: $vgpr176
	s_or_saveexec_b32 s24, s24
	v_mov_b32_e32 v117, s23
	s_xor_b32 exec_lo, exec_lo, s24
	s_cbranch_execz .LBB6_8870
.LBB6_9344:                             ;   in Loop: Header=BB6_8134 Depth=2
	v_cmp_ne_u16_e64 vcc_lo, 0, v176
	v_mov_b32_e32 v117, 0
	s_and_not1_b32 s7, s7, exec_lo
	s_delay_alu instid0(VALU_DEP_2) | instskip(NEXT) | instid1(SALU_CYCLE_1)
	s_and_b32 s23, vcc_lo, exec_lo
	s_or_b32 s7, s7, s23
	s_or_b32 exec_lo, exec_lo, s24
	s_and_saveexec_b32 s23, s7
	s_cbranch_execnz .LBB6_8871
	s_branch .LBB6_8872
.LBB6_9345:                             ;   in Loop: Header=BB6_8134 Depth=2
	s_mov_b32 s7, -1
	s_mov_b32 s25, exec_lo
                                        ; implicit-def: $sgpr23
	v_cmpx_eq_u16_e64 0x80, v167
; %bb.9346:                             ;   in Loop: Header=BB6_8134 Depth=2
	s_mov_b32 s23, 0x7f800001
	s_xor_b32 s7, exec_lo, -1
; %bb.9347:                             ;   in Loop: Header=BB6_8134 Depth=2
	s_or_b32 exec_lo, exec_lo, s25
	s_delay_alu instid0(SALU_CYCLE_1)
	s_and_b32 s7, s7, exec_lo
                                        ; implicit-def: $vgpr167
	s_or_saveexec_b32 s24, s24
	v_mov_b32_e32 v166, s23
	s_xor_b32 exec_lo, exec_lo, s24
	s_cbranch_execz .LBB6_8882
.LBB6_9348:                             ;   in Loop: Header=BB6_8134 Depth=2
	v_cmp_ne_u16_e64 vcc_lo, 0, v167
	v_mov_b32_e32 v166, 0
	s_and_not1_b32 s7, s7, exec_lo
	s_delay_alu instid0(VALU_DEP_2) | instskip(NEXT) | instid1(SALU_CYCLE_1)
	s_and_b32 s23, vcc_lo, exec_lo
	s_or_b32 s7, s7, s23
	s_or_b32 exec_lo, exec_lo, s24
	s_and_saveexec_b32 s23, s7
	s_cbranch_execnz .LBB6_8883
	s_branch .LBB6_8884
.LBB6_9349:                             ;   in Loop: Header=BB6_8134 Depth=2
	s_mov_b32 s7, -1
	s_mov_b32 s25, exec_lo
                                        ; implicit-def: $sgpr23
	v_cmpx_eq_u16_e64 0x80, v167
; %bb.9350:                             ;   in Loop: Header=BB6_8134 Depth=2
	s_mov_b32 s23, 0x7f800001
	s_xor_b32 s7, exec_lo, -1
; %bb.9351:                             ;   in Loop: Header=BB6_8134 Depth=2
	s_or_b32 exec_lo, exec_lo, s25
	s_delay_alu instid0(SALU_CYCLE_1)
	s_and_b32 s7, s7, exec_lo
                                        ; implicit-def: $vgpr167
	s_or_saveexec_b32 s24, s24
	v_mov_b32_e32 v116, s23
	s_xor_b32 exec_lo, exec_lo, s24
	s_cbranch_execz .LBB6_8886
.LBB6_9352:                             ;   in Loop: Header=BB6_8134 Depth=2
	v_cmp_ne_u16_e64 vcc_lo, 0, v167
	v_mov_b32_e32 v116, 0
	s_and_not1_b32 s7, s7, exec_lo
	s_delay_alu instid0(VALU_DEP_2) | instskip(NEXT) | instid1(SALU_CYCLE_1)
	s_and_b32 s23, vcc_lo, exec_lo
	s_or_b32 s7, s7, s23
	s_or_b32 exec_lo, exec_lo, s24
	s_and_saveexec_b32 s23, s7
	s_cbranch_execnz .LBB6_8887
	s_branch .LBB6_8888
.LBB6_9353:                             ;   in Loop: Header=BB6_8134 Depth=2
	s_mov_b32 s7, -1
	s_mov_b32 s25, exec_lo
                                        ; implicit-def: $sgpr23
	v_cmpx_eq_u16_e64 0x80, v166
; %bb.9354:                             ;   in Loop: Header=BB6_8134 Depth=2
	s_mov_b32 s23, 0x7f800001
	s_xor_b32 s7, exec_lo, -1
; %bb.9355:                             ;   in Loop: Header=BB6_8134 Depth=2
	s_or_b32 exec_lo, exec_lo, s25
	s_delay_alu instid0(SALU_CYCLE_1)
	s_and_b32 s7, s7, exec_lo
                                        ; implicit-def: $vgpr166
	s_or_saveexec_b32 s24, s24
	v_mov_b32_e32 v165, s23
	s_xor_b32 exec_lo, exec_lo, s24
	s_cbranch_execz .LBB6_8898
.LBB6_9356:                             ;   in Loop: Header=BB6_8134 Depth=2
	v_cmp_ne_u16_e64 vcc_lo, 0, v166
	v_mov_b32_e32 v165, 0
	s_and_not1_b32 s7, s7, exec_lo
	s_delay_alu instid0(VALU_DEP_2) | instskip(NEXT) | instid1(SALU_CYCLE_1)
	s_and_b32 s23, vcc_lo, exec_lo
	s_or_b32 s7, s7, s23
	s_or_b32 exec_lo, exec_lo, s24
	s_and_saveexec_b32 s23, s7
	s_cbranch_execnz .LBB6_8899
	s_branch .LBB6_8900
.LBB6_9357:                             ;   in Loop: Header=BB6_8134 Depth=2
	s_mov_b32 s7, -1
	s_mov_b32 s25, exec_lo
                                        ; implicit-def: $sgpr23
	v_cmpx_eq_u16_e64 0x80, v166
; %bb.9358:                             ;   in Loop: Header=BB6_8134 Depth=2
	s_mov_b32 s23, 0x7f800001
	s_xor_b32 s7, exec_lo, -1
; %bb.9359:                             ;   in Loop: Header=BB6_8134 Depth=2
	s_or_b32 exec_lo, exec_lo, s25
	s_delay_alu instid0(SALU_CYCLE_1)
	s_and_b32 s7, s7, exec_lo
                                        ; implicit-def: $vgpr166
	s_or_saveexec_b32 s24, s24
	v_mov_b32_e32 v114, s23
	s_xor_b32 exec_lo, exec_lo, s24
	s_cbranch_execz .LBB6_8902
.LBB6_9360:                             ;   in Loop: Header=BB6_8134 Depth=2
	v_cmp_ne_u16_e64 vcc_lo, 0, v166
	v_mov_b32_e32 v114, 0
	s_and_not1_b32 s7, s7, exec_lo
	s_delay_alu instid0(VALU_DEP_2) | instskip(NEXT) | instid1(SALU_CYCLE_1)
	s_and_b32 s23, vcc_lo, exec_lo
	s_or_b32 s7, s7, s23
	s_or_b32 exec_lo, exec_lo, s24
	s_and_saveexec_b32 s23, s7
	s_cbranch_execnz .LBB6_8903
	s_branch .LBB6_8904
.LBB6_9361:                             ;   in Loop: Header=BB6_8134 Depth=2
	s_mov_b32 s7, -1
	s_mov_b32 s25, exec_lo
                                        ; implicit-def: $sgpr23
	v_cmpx_eq_u16_e64 0x80, v165
; %bb.9362:                             ;   in Loop: Header=BB6_8134 Depth=2
	s_mov_b32 s23, 0x7f800001
	s_xor_b32 s7, exec_lo, -1
; %bb.9363:                             ;   in Loop: Header=BB6_8134 Depth=2
	s_or_b32 exec_lo, exec_lo, s25
	s_delay_alu instid0(SALU_CYCLE_1)
	s_and_b32 s7, s7, exec_lo
                                        ; implicit-def: $vgpr165
	s_or_saveexec_b32 s24, s24
	v_mov_b32_e32 v164, s23
	s_xor_b32 exec_lo, exec_lo, s24
	s_cbranch_execz .LBB6_8914
.LBB6_9364:                             ;   in Loop: Header=BB6_8134 Depth=2
	v_cmp_ne_u16_e64 vcc_lo, 0, v165
	v_mov_b32_e32 v164, 0
	s_and_not1_b32 s7, s7, exec_lo
	s_delay_alu instid0(VALU_DEP_2) | instskip(NEXT) | instid1(SALU_CYCLE_1)
	s_and_b32 s23, vcc_lo, exec_lo
	s_or_b32 s7, s7, s23
	s_or_b32 exec_lo, exec_lo, s24
	s_and_saveexec_b32 s23, s7
	s_cbranch_execnz .LBB6_8915
	s_branch .LBB6_8916
.LBB6_9365:                             ;   in Loop: Header=BB6_8134 Depth=2
	s_mov_b32 s7, -1
	s_mov_b32 s25, exec_lo
                                        ; implicit-def: $sgpr23
	v_cmpx_eq_u16_e64 0x80, v165
; %bb.9366:                             ;   in Loop: Header=BB6_8134 Depth=2
	s_mov_b32 s23, 0x7f800001
	s_xor_b32 s7, exec_lo, -1
; %bb.9367:                             ;   in Loop: Header=BB6_8134 Depth=2
	s_or_b32 exec_lo, exec_lo, s25
	s_delay_alu instid0(SALU_CYCLE_1)
	s_and_b32 s7, s7, exec_lo
                                        ; implicit-def: $vgpr165
	s_or_saveexec_b32 s24, s24
	v_mov_b32_e32 v112, s23
	s_xor_b32 exec_lo, exec_lo, s24
	s_cbranch_execz .LBB6_8918
.LBB6_9368:                             ;   in Loop: Header=BB6_8134 Depth=2
	v_cmp_ne_u16_e64 vcc_lo, 0, v165
	v_mov_b32_e32 v112, 0
	s_and_not1_b32 s7, s7, exec_lo
	s_delay_alu instid0(VALU_DEP_2) | instskip(NEXT) | instid1(SALU_CYCLE_1)
	s_and_b32 s23, vcc_lo, exec_lo
	s_or_b32 s7, s7, s23
	s_or_b32 exec_lo, exec_lo, s24
	s_and_saveexec_b32 s23, s7
	s_cbranch_execnz .LBB6_8919
	s_branch .LBB6_8920
.LBB6_9369:                             ;   in Loop: Header=BB6_8134 Depth=2
	s_mov_b32 s7, -1
	s_mov_b32 s25, exec_lo
                                        ; implicit-def: $sgpr23
	v_cmpx_eq_u16_e64 0x80, v164
; %bb.9370:                             ;   in Loop: Header=BB6_8134 Depth=2
	s_mov_b32 s23, 0x7f800001
	s_xor_b32 s7, exec_lo, -1
; %bb.9371:                             ;   in Loop: Header=BB6_8134 Depth=2
	s_or_b32 exec_lo, exec_lo, s25
	s_delay_alu instid0(SALU_CYCLE_1)
	s_and_b32 s7, s7, exec_lo
                                        ; implicit-def: $vgpr164
	s_or_saveexec_b32 s24, s24
	v_mov_b32_e32 v160, s23
	s_xor_b32 exec_lo, exec_lo, s24
	s_cbranch_execz .LBB6_8930
.LBB6_9372:                             ;   in Loop: Header=BB6_8134 Depth=2
	v_cmp_ne_u16_e64 vcc_lo, 0, v164
	v_mov_b32_e32 v160, 0
	s_and_not1_b32 s7, s7, exec_lo
	s_delay_alu instid0(VALU_DEP_2) | instskip(NEXT) | instid1(SALU_CYCLE_1)
	s_and_b32 s23, vcc_lo, exec_lo
	s_or_b32 s7, s7, s23
	s_or_b32 exec_lo, exec_lo, s24
	s_and_saveexec_b32 s23, s7
	s_cbranch_execnz .LBB6_8931
	s_branch .LBB6_8932
.LBB6_9373:                             ;   in Loop: Header=BB6_8134 Depth=2
	s_mov_b32 s7, -1
	s_mov_b32 s25, exec_lo
                                        ; implicit-def: $sgpr23
	v_cmpx_eq_u16_e64 0x80, v164
; %bb.9374:                             ;   in Loop: Header=BB6_8134 Depth=2
	s_mov_b32 s23, 0x7f800001
	s_xor_b32 s7, exec_lo, -1
; %bb.9375:                             ;   in Loop: Header=BB6_8134 Depth=2
	s_or_b32 exec_lo, exec_lo, s25
	s_delay_alu instid0(SALU_CYCLE_1)
	s_and_b32 s7, s7, exec_lo
                                        ; implicit-def: $vgpr164
	s_or_saveexec_b32 s24, s24
	v_mov_b32_e32 v103, s23
	s_xor_b32 exec_lo, exec_lo, s24
	s_cbranch_execz .LBB6_8934
.LBB6_9376:                             ;   in Loop: Header=BB6_8134 Depth=2
	v_cmp_ne_u16_e64 vcc_lo, 0, v164
	v_mov_b32_e32 v103, 0
	s_and_not1_b32 s7, s7, exec_lo
	s_delay_alu instid0(VALU_DEP_2) | instskip(NEXT) | instid1(SALU_CYCLE_1)
	s_and_b32 s23, vcc_lo, exec_lo
	s_or_b32 s7, s7, s23
	s_or_b32 exec_lo, exec_lo, s24
	s_and_saveexec_b32 s23, s7
	s_cbranch_execnz .LBB6_8935
	s_branch .LBB6_8936
.LBB6_9377:                             ;   in Loop: Header=BB6_8134 Depth=2
	s_mov_b32 s7, -1
	s_mov_b32 s25, exec_lo
                                        ; implicit-def: $sgpr23
	v_cmpx_eq_u16_e64 0x80, v160
; %bb.9378:                             ;   in Loop: Header=BB6_8134 Depth=2
	s_mov_b32 s23, 0x7f800001
	s_xor_b32 s7, exec_lo, -1
; %bb.9379:                             ;   in Loop: Header=BB6_8134 Depth=2
	s_or_b32 exec_lo, exec_lo, s25
	s_delay_alu instid0(SALU_CYCLE_1)
	s_and_b32 s7, s7, exec_lo
                                        ; implicit-def: $vgpr160
	s_or_saveexec_b32 s24, s24
	v_mov_b32_e32 v147, s23
	s_xor_b32 exec_lo, exec_lo, s24
	s_cbranch_execz .LBB6_8946
.LBB6_9380:                             ;   in Loop: Header=BB6_8134 Depth=2
	v_cmp_ne_u16_e64 vcc_lo, 0, v160
	v_mov_b32_e32 v147, 0
	s_and_not1_b32 s7, s7, exec_lo
	s_delay_alu instid0(VALU_DEP_2) | instskip(NEXT) | instid1(SALU_CYCLE_1)
	s_and_b32 s23, vcc_lo, exec_lo
	s_or_b32 s7, s7, s23
	s_or_b32 exec_lo, exec_lo, s24
	s_and_saveexec_b32 s23, s7
	s_cbranch_execnz .LBB6_8947
	s_branch .LBB6_8948
.LBB6_9381:                             ;   in Loop: Header=BB6_8134 Depth=2
	s_mov_b32 s7, -1
	s_mov_b32 s25, exec_lo
                                        ; implicit-def: $sgpr23
	v_cmpx_eq_u16_e64 0x80, v160
; %bb.9382:                             ;   in Loop: Header=BB6_8134 Depth=2
	s_mov_b32 s23, 0x7f800001
	s_xor_b32 s7, exec_lo, -1
; %bb.9383:                             ;   in Loop: Header=BB6_8134 Depth=2
	s_or_b32 exec_lo, exec_lo, s25
	s_delay_alu instid0(SALU_CYCLE_1)
	s_and_b32 s7, s7, exec_lo
                                        ; implicit-def: $vgpr160
	s_or_saveexec_b32 s24, s24
	v_mov_b32_e32 v68, s23
	s_xor_b32 exec_lo, exec_lo, s24
	s_cbranch_execz .LBB6_8950
.LBB6_9384:                             ;   in Loop: Header=BB6_8134 Depth=2
	v_cmp_ne_u16_e64 vcc_lo, 0, v160
	v_mov_b32_e32 v68, 0
	s_and_not1_b32 s7, s7, exec_lo
	s_delay_alu instid0(VALU_DEP_2) | instskip(NEXT) | instid1(SALU_CYCLE_1)
	s_and_b32 s23, vcc_lo, exec_lo
	s_or_b32 s7, s7, s23
	s_or_b32 exec_lo, exec_lo, s24
	s_and_saveexec_b32 s23, s7
	s_cbranch_execnz .LBB6_8951
	s_branch .LBB6_8952
.LBB6_9385:                             ;   in Loop: Header=BB6_8134 Depth=2
	s_mov_b32 s7, -1
	s_mov_b32 s25, exec_lo
                                        ; implicit-def: $sgpr23
	v_cmpx_eq_u16_e64 0x80, v147
; %bb.9386:                             ;   in Loop: Header=BB6_8134 Depth=2
	s_mov_b32 s23, 0x7f800001
	s_xor_b32 s7, exec_lo, -1
; %bb.9387:                             ;   in Loop: Header=BB6_8134 Depth=2
	s_or_b32 exec_lo, exec_lo, s25
	s_delay_alu instid0(SALU_CYCLE_1)
	s_and_b32 s7, s7, exec_lo
                                        ; implicit-def: $vgpr147
	s_or_saveexec_b32 s24, s24
	v_mov_b32_e32 v134, s23
	s_xor_b32 exec_lo, exec_lo, s24
	s_cbranch_execz .LBB6_8962
.LBB6_9388:                             ;   in Loop: Header=BB6_8134 Depth=2
	v_cmp_ne_u16_e64 vcc_lo, 0, v147
	v_mov_b32_e32 v134, 0
	s_and_not1_b32 s7, s7, exec_lo
	s_delay_alu instid0(VALU_DEP_2) | instskip(NEXT) | instid1(SALU_CYCLE_1)
	s_and_b32 s23, vcc_lo, exec_lo
	s_or_b32 s7, s7, s23
	s_or_b32 exec_lo, exec_lo, s24
	s_and_saveexec_b32 s23, s7
	s_cbranch_execnz .LBB6_8963
	s_branch .LBB6_8964
.LBB6_9389:                             ;   in Loop: Header=BB6_8134 Depth=2
	s_mov_b32 s7, -1
	s_mov_b32 s25, exec_lo
                                        ; implicit-def: $sgpr23
	v_cmpx_eq_u16_e64 0x80, v147
; %bb.9390:                             ;   in Loop: Header=BB6_8134 Depth=2
	s_mov_b32 s23, 0x7f800001
	s_xor_b32 s7, exec_lo, -1
; %bb.9391:                             ;   in Loop: Header=BB6_8134 Depth=2
	s_or_b32 exec_lo, exec_lo, s25
	s_delay_alu instid0(SALU_CYCLE_1)
	s_and_b32 s7, s7, exec_lo
                                        ; implicit-def: $vgpr147
	s_or_saveexec_b32 s24, s24
	v_mov_b32_e32 v66, s23
	s_xor_b32 exec_lo, exec_lo, s24
	s_cbranch_execz .LBB6_8966
.LBB6_9392:                             ;   in Loop: Header=BB6_8134 Depth=2
	v_cmp_ne_u16_e64 vcc_lo, 0, v147
	v_mov_b32_e32 v66, 0
	s_and_not1_b32 s7, s7, exec_lo
	s_delay_alu instid0(VALU_DEP_2) | instskip(NEXT) | instid1(SALU_CYCLE_1)
	s_and_b32 s23, vcc_lo, exec_lo
	s_or_b32 s7, s7, s23
	s_or_b32 exec_lo, exec_lo, s24
	s_and_saveexec_b32 s23, s7
	s_cbranch_execnz .LBB6_8967
	s_branch .LBB6_8968
.LBB6_9393:                             ;   in Loop: Header=BB6_8134 Depth=2
	s_mov_b32 s7, -1
	s_mov_b32 s25, exec_lo
                                        ; implicit-def: $sgpr23
	v_cmpx_eq_u16_e64 0x80, v134
; %bb.9394:                             ;   in Loop: Header=BB6_8134 Depth=2
	s_mov_b32 s23, 0x7f800001
	s_xor_b32 s7, exec_lo, -1
; %bb.9395:                             ;   in Loop: Header=BB6_8134 Depth=2
	s_or_b32 exec_lo, exec_lo, s25
	s_delay_alu instid0(SALU_CYCLE_1)
	s_and_b32 s7, s7, exec_lo
                                        ; implicit-def: $vgpr134
	s_or_saveexec_b32 s24, s24
	v_mov_b32_e32 v129, s23
	s_xor_b32 exec_lo, exec_lo, s24
	s_cbranch_execz .LBB6_8978
.LBB6_9396:                             ;   in Loop: Header=BB6_8134 Depth=2
	v_cmp_ne_u16_e64 vcc_lo, 0, v134
	v_mov_b32_e32 v129, 0
	s_and_not1_b32 s7, s7, exec_lo
	s_delay_alu instid0(VALU_DEP_2) | instskip(NEXT) | instid1(SALU_CYCLE_1)
	s_and_b32 s23, vcc_lo, exec_lo
	s_or_b32 s7, s7, s23
	s_or_b32 exec_lo, exec_lo, s24
	s_and_saveexec_b32 s23, s7
	s_cbranch_execnz .LBB6_8979
	s_branch .LBB6_8980
.LBB6_9397:                             ;   in Loop: Header=BB6_8134 Depth=2
	s_mov_b32 s7, -1
	s_mov_b32 s25, exec_lo
                                        ; implicit-def: $sgpr23
	v_cmpx_eq_u16_e64 0x80, v134
; %bb.9398:                             ;   in Loop: Header=BB6_8134 Depth=2
	s_mov_b32 s23, 0x7f800001
	s_xor_b32 s7, exec_lo, -1
; %bb.9399:                             ;   in Loop: Header=BB6_8134 Depth=2
	s_or_b32 exec_lo, exec_lo, s25
	s_delay_alu instid0(SALU_CYCLE_1)
	s_and_b32 s7, s7, exec_lo
                                        ; implicit-def: $vgpr134
	s_or_saveexec_b32 s24, s24
	v_mov_b32_e32 v65, s23
	s_xor_b32 exec_lo, exec_lo, s24
	s_cbranch_execz .LBB6_8982
.LBB6_9400:                             ;   in Loop: Header=BB6_8134 Depth=2
	v_cmp_ne_u16_e64 vcc_lo, 0, v134
	v_mov_b32_e32 v65, 0
	s_and_not1_b32 s7, s7, exec_lo
	s_delay_alu instid0(VALU_DEP_2) | instskip(NEXT) | instid1(SALU_CYCLE_1)
	s_and_b32 s23, vcc_lo, exec_lo
	s_or_b32 s7, s7, s23
	s_or_b32 exec_lo, exec_lo, s24
	s_and_saveexec_b32 s23, s7
	s_cbranch_execnz .LBB6_8983
	s_branch .LBB6_8984
.LBB6_9401:                             ;   in Loop: Header=BB6_8134 Depth=2
	s_mov_b32 s7, -1
	s_mov_b32 s25, exec_lo
                                        ; implicit-def: $sgpr23
	v_cmpx_eq_u16_e64 0x80, v129
; %bb.9402:                             ;   in Loop: Header=BB6_8134 Depth=2
	s_mov_b32 s23, 0x7f800001
	s_xor_b32 s7, exec_lo, -1
; %bb.9403:                             ;   in Loop: Header=BB6_8134 Depth=2
	s_or_b32 exec_lo, exec_lo, s25
	s_delay_alu instid0(SALU_CYCLE_1)
	s_and_b32 s7, s7, exec_lo
                                        ; implicit-def: $vgpr129
	s_or_saveexec_b32 s24, s24
	v_mov_b32_e32 v115, s23
	s_xor_b32 exec_lo, exec_lo, s24
	s_cbranch_execz .LBB6_8994
.LBB6_9404:                             ;   in Loop: Header=BB6_8134 Depth=2
	v_cmp_ne_u16_e64 vcc_lo, 0, v129
	v_mov_b32_e32 v115, 0
	s_and_not1_b32 s7, s7, exec_lo
	s_delay_alu instid0(VALU_DEP_2) | instskip(NEXT) | instid1(SALU_CYCLE_1)
	s_and_b32 s23, vcc_lo, exec_lo
	s_or_b32 s7, s7, s23
	s_or_b32 exec_lo, exec_lo, s24
	s_and_saveexec_b32 s23, s7
	s_cbranch_execnz .LBB6_8995
	s_branch .LBB6_8996
.LBB6_9405:                             ;   in Loop: Header=BB6_8134 Depth=2
	s_mov_b32 s7, -1
	s_mov_b32 s25, exec_lo
                                        ; implicit-def: $sgpr23
	v_cmpx_eq_u16_e64 0x80, v129
; %bb.9406:                             ;   in Loop: Header=BB6_8134 Depth=2
	s_mov_b32 s23, 0x7f800001
	s_xor_b32 s7, exec_lo, -1
; %bb.9407:                             ;   in Loop: Header=BB6_8134 Depth=2
	s_or_b32 exec_lo, exec_lo, s25
	s_delay_alu instid0(SALU_CYCLE_1)
	s_and_b32 s7, s7, exec_lo
                                        ; implicit-def: $vgpr129
	s_or_saveexec_b32 s24, s24
	v_mov_b32_e32 v25, s23
	s_xor_b32 exec_lo, exec_lo, s24
	s_cbranch_execz .LBB6_8998
.LBB6_9408:                             ;   in Loop: Header=BB6_8134 Depth=2
	v_cmp_ne_u16_e64 vcc_lo, 0, v129
	v_mov_b32_e32 v25, 0
	s_and_not1_b32 s7, s7, exec_lo
	s_delay_alu instid0(VALU_DEP_2) | instskip(NEXT) | instid1(SALU_CYCLE_1)
	s_and_b32 s23, vcc_lo, exec_lo
	s_or_b32 s7, s7, s23
	s_or_b32 exec_lo, exec_lo, s24
	s_and_saveexec_b32 s23, s7
	s_cbranch_execnz .LBB6_8999
	s_branch .LBB6_9000
.LBB6_9409:                             ;   in Loop: Header=BB6_8134 Depth=2
	s_mov_b32 s7, -1
	s_mov_b32 s25, exec_lo
                                        ; implicit-def: $sgpr23
	v_cmpx_eq_u16_e32 0x80, v115
; %bb.9410:                             ;   in Loop: Header=BB6_8134 Depth=2
	s_mov_b32 s23, 0x7f800001
	s_xor_b32 s7, exec_lo, -1
; %bb.9411:                             ;   in Loop: Header=BB6_8134 Depth=2
	s_or_b32 exec_lo, exec_lo, s25
	s_delay_alu instid0(SALU_CYCLE_1)
	s_and_b32 s7, s7, exec_lo
                                        ; implicit-def: $vgpr115
	s_or_saveexec_b32 s24, s24
	v_mov_b32_e32 v69, s23
	s_xor_b32 exec_lo, exec_lo, s24
	s_cbranch_execz .LBB6_9010
.LBB6_9412:                             ;   in Loop: Header=BB6_8134 Depth=2
	v_cmp_ne_u16_e32 vcc_lo, 0, v115
	v_mov_b32_e32 v69, 0
	s_and_not1_b32 s7, s7, exec_lo
	s_and_b32 s23, vcc_lo, exec_lo
	s_delay_alu instid0(SALU_CYCLE_1)
	s_or_b32 s7, s7, s23
	s_or_b32 exec_lo, exec_lo, s24
	s_and_saveexec_b32 s23, s7
	s_cbranch_execnz .LBB6_9011
	s_branch .LBB6_9012
.LBB6_9413:                             ;   in Loop: Header=BB6_8134 Depth=2
	s_mov_b32 s7, -1
	s_mov_b32 s25, exec_lo
                                        ; implicit-def: $sgpr23
	v_cmpx_eq_u16_e32 0x80, v115
; %bb.9414:                             ;   in Loop: Header=BB6_8134 Depth=2
	s_mov_b32 s23, 0x7f800001
	s_xor_b32 s7, exec_lo, -1
; %bb.9415:                             ;   in Loop: Header=BB6_8134 Depth=2
	s_or_b32 exec_lo, exec_lo, s25
	s_delay_alu instid0(SALU_CYCLE_1)
	s_and_b32 s7, s7, exec_lo
                                        ; implicit-def: $vgpr115
	s_or_saveexec_b32 s24, s24
	v_mov_b32_e32 v23, s23
	s_xor_b32 exec_lo, exec_lo, s24
	s_cbranch_execz .LBB6_9014
.LBB6_9416:                             ;   in Loop: Header=BB6_8134 Depth=2
	v_cmp_ne_u16_e32 vcc_lo, 0, v115
	v_mov_b32_e32 v23, 0
	s_and_not1_b32 s7, s7, exec_lo
	s_and_b32 s23, vcc_lo, exec_lo
	s_delay_alu instid0(SALU_CYCLE_1)
	s_or_b32 s7, s7, s23
	s_or_b32 exec_lo, exec_lo, s24
	s_and_saveexec_b32 s23, s7
	s_cbranch_execnz .LBB6_9015
	s_branch .LBB6_9016
.LBB6_9417:                             ;   in Loop: Header=BB6_8134 Depth=2
	s_mov_b32 s7, -1
	s_mov_b32 s25, exec_lo
                                        ; implicit-def: $sgpr23
	v_cmpx_eq_u16_e32 0x80, v69
; %bb.9418:                             ;   in Loop: Header=BB6_8134 Depth=2
	s_mov_b32 s23, 0x7f800001
	s_xor_b32 s7, exec_lo, -1
; %bb.9419:                             ;   in Loop: Header=BB6_8134 Depth=2
	s_or_b32 exec_lo, exec_lo, s25
	s_delay_alu instid0(SALU_CYCLE_1)
	s_and_b32 s7, s7, exec_lo
                                        ; implicit-def: $vgpr69
	s_or_saveexec_b32 s24, s24
	v_mov_b32_e32 v64, s23
	s_xor_b32 exec_lo, exec_lo, s24
	s_cbranch_execz .LBB6_9026
.LBB6_9420:                             ;   in Loop: Header=BB6_8134 Depth=2
	v_cmp_ne_u16_e32 vcc_lo, 0, v69
	v_mov_b32_e32 v64, 0
	s_and_not1_b32 s7, s7, exec_lo
	s_and_b32 s23, vcc_lo, exec_lo
	s_delay_alu instid0(SALU_CYCLE_1)
	s_or_b32 s7, s7, s23
	s_or_b32 exec_lo, exec_lo, s24
	s_and_saveexec_b32 s23, s7
	s_cbranch_execnz .LBB6_9027
	s_branch .LBB6_9028
.LBB6_9421:                             ;   in Loop: Header=BB6_8134 Depth=2
	s_mov_b32 s7, -1
	s_mov_b32 s25, exec_lo
                                        ; implicit-def: $sgpr23
	v_cmpx_eq_u16_e32 0x80, v69
; %bb.9422:                             ;   in Loop: Header=BB6_8134 Depth=2
	s_mov_b32 s23, 0x7f800001
	s_xor_b32 s7, exec_lo, -1
; %bb.9423:                             ;   in Loop: Header=BB6_8134 Depth=2
	s_or_b32 exec_lo, exec_lo, s25
	s_delay_alu instid0(SALU_CYCLE_1)
	s_and_b32 s7, s7, exec_lo
                                        ; implicit-def: $vgpr69
	s_or_saveexec_b32 s24, s24
	v_mov_b32_e32 v17, s23
	s_xor_b32 exec_lo, exec_lo, s24
	s_cbranch_execz .LBB6_9030
.LBB6_9424:                             ;   in Loop: Header=BB6_8134 Depth=2
	v_cmp_ne_u16_e32 vcc_lo, 0, v69
	v_mov_b32_e32 v17, 0
	s_and_not1_b32 s7, s7, exec_lo
	s_and_b32 s23, vcc_lo, exec_lo
	s_delay_alu instid0(SALU_CYCLE_1)
	s_or_b32 s7, s7, s23
	s_or_b32 exec_lo, exec_lo, s24
	s_and_saveexec_b32 s23, s7
	s_cbranch_execnz .LBB6_9031
	s_branch .LBB6_9032
.LBB6_9425:                             ;   in Loop: Header=BB6_4817 Depth=1
	s_or_b32 exec_lo, exec_lo, s22
.LBB6_9426:                             ;   in Loop: Header=BB6_4817 Depth=1
	s_delay_alu instid0(SALU_CYCLE_1) | instskip(SKIP_1) | instid1(VALU_DEP_1)
	s_or_b32 exec_lo, exec_lo, s21
	v_lshlrev_b32_e32 v10, 10, v22
	v_cmp_ne_u32_e32 vcc_lo, v19, v10
	s_and_b32 exec_lo, exec_lo, vcc_lo
	s_cbranch_execz .LBB6_9481
; %bb.9427:                             ;   in Loop: Header=BB6_4817 Depth=1
	v_ashrrev_i32_e32 v11, 31, v20
	v_lshlrev_b32_e32 v12, 5, v21
	s_delay_alu instid0(VALU_DEP_2) | instskip(NEXT) | instid1(VALU_DEP_1)
	v_lshrrev_b32_e32 v11, 27, v11
	v_add_nc_u32_e32 v11, v20, v11
	s_delay_alu instid0(VALU_DEP_1) | instskip(NEXT) | instid1(VALU_DEP_1)
	v_and_b32_e32 v11, 0xffffffe0, v11
	v_sub_nc_u32_e32 v11, v20, v11
	s_delay_alu instid0(VALU_DEP_1) | instskip(NEXT) | instid1(VALU_DEP_1)
	v_sub_nc_u32_e32 v11, v11, v12
	v_add_nc_u32_e32 v10, v10, v11
	s_delay_alu instid0(VALU_DEP_1) | instskip(NEXT) | instid1(VALU_DEP_1)
	v_sub_nc_u32_e32 v19, v19, v10
	v_cmp_lt_i32_e32 vcc_lo, 0, v19
	s_and_b32 exec_lo, exec_lo, vcc_lo
	s_cbranch_execz .LBB6_9481
; %bb.9428:                             ;   in Loop: Header=BB6_4817 Depth=1
	s_cbranch_execz .LBB6_9429
; %bb.13107:
	s_getpc_b64 s[34:35]
.Lpost_getpc203:
	s_add_u32 s34, s34, (.LBB6_12895-.Lpost_getpc203)&4294967295
	s_addc_u32 s35, s35, (.LBB6_12895-.Lpost_getpc203)>>32
	s_setpc_b64 s[34:35]
.LBB6_9429:                             ;   in Loop: Header=BB6_4817 Depth=1
	ds_load_b128 v[11:14], v0
	ds_load_b64 v[15:16], v0
	v_add_nc_u32_e32 v17, v10, v18
	s_mov_b32 s21, 0
	s_delay_alu instid0(VALU_DEP_1) | instskip(SKIP_2) | instid1(VALU_DEP_2)
	v_ashrrev_i32_e32 v18, 31, v17
	s_waitcnt lgkmcnt(1)
	v_add_co_u32 v10, vcc_lo, v11, v17
	v_add_co_ci_u32_e32 v11, vcc_lo, v12, v18, vcc_lo
	v_add_co_u32 v12, vcc_lo, v13, v17
	v_add_co_ci_u32_e32 v13, vcc_lo, v14, v18, vcc_lo
	s_waitcnt lgkmcnt(0)
	v_add_co_u32 v14, vcc_lo, v15, v17
	v_add_co_ci_u32_e32 v15, vcc_lo, v16, v18, vcc_lo
.LBB6_9430:                             ;   Parent Loop BB6_4817 Depth=1
                                        ; =>  This Inner Loop Header: Depth=2
	s_cbranch_execz .LBB6_9431
; %bb.13109:
	s_getpc_b64 s[34:35]
.Lpost_getpc204:
	s_add_u32 s34, s34, (.LBB6_12897-.Lpost_getpc204)&4294967295
	s_addc_u32 s35, s35, (.LBB6_12897-.Lpost_getpc204)>>32
	s_setpc_b64 s[34:35]
.LBB6_9431:                             ;   in Loop: Header=BB6_9430 Depth=2
	ds_load_b64 v[16:17], v0
	s_waitcnt lgkmcnt(0)
	v_and_b32_e32 v17, 0xff, v16
	v_readfirstlane_b32 s7, v16
	s_delay_alu instid0(VALU_DEP_2)
	v_cmp_gt_i16_e32 vcc_lo, 0x80, v17
	s_cbranch_vccnz .LBB6_9435
; %bb.9432:                             ;   in Loop: Header=BB6_9430 Depth=2
	v_cmp_eq_u16_e32 vcc_lo, 0x80, v17
	s_mov_b32 s22, -1
                                        ; implicit-def: $sgpr23
	s_cbranch_vccz .LBB6_9434
; %bb.9433:                             ;   in Loop: Header=BB6_9430 Depth=2
	s_mov_b32 s22, 0
	s_mov_b32 s23, 0x7f800001
.LBB6_9434:                             ;   in Loop: Header=BB6_9430 Depth=2
	s_mov_b32 s24, 0
	s_branch .LBB6_9436
.LBB6_9435:                             ;   in Loop: Header=BB6_9430 Depth=2
	s_mov_b32 s24, -1
	s_mov_b32 s22, 0
                                        ; implicit-def: $sgpr23
.LBB6_9436:                             ;   in Loop: Header=BB6_9430 Depth=2
	s_and_b32 vcc_lo, exec_lo, s24
	s_cbranch_vccz .LBB6_9438
; %bb.9437:                             ;   in Loop: Header=BB6_9430 Depth=2
	v_cmp_ne_u16_e64 s22, 0, v17
	s_mov_b32 s23, 0
.LBB6_9438:                             ;   in Loop: Header=BB6_9430 Depth=2
	s_delay_alu instid0(SALU_CYCLE_1) | instskip(NEXT) | instid1(VALU_DEP_2)
	v_mov_b32_e32 v17, s23
	s_and_not1_b32 vcc_lo, exec_lo, s22
	s_cbranch_vccnz .LBB6_9440
; %bb.9439:                             ;   in Loop: Header=BB6_9430 Depth=2
	s_and_b32 s22, s7, 7
	s_bfe_u32 s24, s7, 0x40003
	s_clz_i32_u32 s23, s22
	v_lshlrev_b32_e32 v16, 24, v16
	s_min_u32 s23, s23, 32
	s_delay_alu instid0(SALU_CYCLE_1)
	s_sub_i32 s25, s23, 28
	s_sub_i32 s23, 29, s23
	s_lshl_b32 s7, s7, s25
	v_and_b32_e32 v16, 0x80000000, v16
	s_and_b32 s7, s7, 7
	s_cmp_eq_u32 s24, 0
	s_cselect_b32 s23, s23, s24
	s_cselect_b32 s7, s7, s22
	s_lshl_b32 s22, s23, 23
	s_lshl_b32 s7, s7, 20
	s_add_i32 s22, s22, 0x3b800000
	s_delay_alu instid0(SALU_CYCLE_1) | instskip(NEXT) | instid1(VALU_DEP_1)
	v_or_b32_e32 v16, s22, v16
	v_or_b32_e32 v17, s7, v16
.LBB6_9440:                             ;   in Loop: Header=BB6_9430 Depth=2
	flat_load_u8 v16, v[10:11] slc dlc
	s_mov_b32 s7, 0
	s_mov_b32 s23, exec_lo
                                        ; implicit-def: $sgpr22
	s_waitcnt vmcnt(0) lgkmcnt(0)
	v_cmpx_lt_i16_e32 0x7f, v16
	s_xor_b32 s23, exec_lo, s23
	s_cbranch_execnz .LBB6_9469
; %bb.9441:                             ;   in Loop: Header=BB6_9430 Depth=2
	s_or_saveexec_b32 s23, s23
	v_mov_b32_e32 v18, s22
	s_xor_b32 exec_lo, exec_lo, s23
	s_cbranch_execnz .LBB6_9472
.LBB6_9442:                             ;   in Loop: Header=BB6_9430 Depth=2
	s_or_b32 exec_lo, exec_lo, s23
	s_and_saveexec_b32 s22, s7
	s_cbranch_execz .LBB6_9444
.LBB6_9443:                             ;   in Loop: Header=BB6_9430 Depth=2
	v_and_b32_e32 v18, 0xffff, v16
	v_lshlrev_b32_e32 v16, 24, v16
	s_delay_alu instid0(VALU_DEP_2) | instskip(NEXT) | instid1(VALU_DEP_2)
	v_and_b32_e32 v20, 7, v18
	v_and_b32_e32 v16, 0x80000000, v16
	s_delay_alu instid0(VALU_DEP_2) | instskip(NEXT) | instid1(VALU_DEP_1)
	v_clz_i32_u32_e32 v21, v20
	v_min_u32_e32 v21, 32, v21
	s_delay_alu instid0(VALU_DEP_1) | instskip(SKIP_1) | instid1(VALU_DEP_2)
	v_subrev_nc_u32_e32 v22, 28, v21
	v_sub_nc_u32_e32 v21, 29, v21
	v_lshlrev_b32_e32 v22, v22, v18
	v_bfe_u32 v18, v18, 3, 4
	s_delay_alu instid0(VALU_DEP_2) | instskip(NEXT) | instid1(VALU_DEP_2)
	v_and_b32_e32 v22, 7, v22
	v_cmp_eq_u32_e32 vcc_lo, 0, v18
	v_cndmask_b32_e32 v18, v18, v21, vcc_lo
	s_delay_alu instid0(VALU_DEP_3) | instskip(NEXT) | instid1(VALU_DEP_2)
	v_cndmask_b32_e32 v20, v20, v22, vcc_lo
	v_lshl_add_u32 v18, v18, 23, 0x3b800000
	s_delay_alu instid0(VALU_DEP_2) | instskip(NEXT) | instid1(VALU_DEP_1)
	v_lshlrev_b32_e32 v20, 20, v20
	v_or3_b32 v18, v16, v18, v20
.LBB6_9444:                             ;   in Loop: Header=BB6_9430 Depth=2
	s_or_b32 exec_lo, exec_lo, s22
	s_delay_alu instid0(VALU_DEP_1) | instskip(SKIP_2) | instid1(VALU_DEP_2)
	v_mul_f32_e32 v16, v17, v18
	v_mov_b32_e32 v18, 0x80
	s_mov_b32 s22, exec_lo
	v_and_b32_e32 v17, 0x7f800000, v16
	s_delay_alu instid0(VALU_DEP_1)
	v_cmpx_ne_u32_e32 0x7f800000, v17
	s_cbranch_execz .LBB6_9452
; %bb.9445:                             ;   in Loop: Header=BB6_9430 Depth=2
	v_mov_b32_e32 v18, 0
	s_mov_b32 s23, exec_lo
	v_cmpx_ne_u32_e32 0, v16
	s_cbranch_execz .LBB6_9451
; %bb.9446:                             ;   in Loop: Header=BB6_9430 Depth=2
	v_bfe_u32 v17, v16, 23, 8
	v_and_b32_e32 v18, 0x7fffff, v16
	s_delay_alu instid0(VALU_DEP_2) | instskip(SKIP_1) | instid1(VALU_DEP_3)
	v_sub_nc_u32_e32 v20, 0x78, v17
	v_cmp_gt_u32_e32 vcc_lo, 0x79, v17
	v_or_b32_e32 v21, 0x800000, v18
	s_delay_alu instid0(VALU_DEP_3) | instskip(SKIP_2) | instid1(VALU_DEP_3)
	v_cndmask_b32_e32 v20, 0, v20, vcc_lo
	v_cmp_eq_u32_e32 vcc_lo, 0, v17
	v_add_nc_u32_e32 v17, 0xffffff89, v17
	v_cndmask_b32_e64 v20, v20, 0x77, vcc_lo
	v_cndmask_b32_e32 v18, v21, v18, vcc_lo
	s_delay_alu instid0(VALU_DEP_3) | instskip(NEXT) | instid1(VALU_DEP_3)
	v_cndmask_b32_e64 v17, v17, 0xffffff8a, vcc_lo
	v_lshl_add_u32 v21, 0x100000, v20, -1
	s_delay_alu instid0(VALU_DEP_3) | instskip(SKIP_1) | instid1(VALU_DEP_4)
	v_lshrrev_b32_e32 v22, v20, v18
	v_lshlrev_b32_e64 v24, v20, 0x80000
	v_add_nc_u32_e32 v20, v20, v17
	s_delay_alu instid0(VALU_DEP_4) | instskip(NEXT) | instid1(VALU_DEP_4)
	v_and_b32_e32 v18, v21, v18
	v_bfe_u32 v23, v22, 20, 1
	s_delay_alu instid0(VALU_DEP_2) | instskip(NEXT) | instid1(VALU_DEP_2)
	v_cmp_eq_u32_e64 s7, v18, v24
	v_add_nc_u32_e32 v21, -1, v23
	s_delay_alu instid0(VALU_DEP_1) | instskip(SKIP_2) | instid1(VALU_DEP_2)
	v_cndmask_b32_e64 v18, 0, v21, s7
	v_lshrrev_b32_e32 v21, 23, v22
	s_mov_b32 s7, exec_lo
	v_add_nc_u32_e32 v18, v18, v22
	s_delay_alu instid0(VALU_DEP_2) | instskip(NEXT) | instid1(VALU_DEP_2)
	v_xor_b32_e32 v21, 1, v21
	v_and_b32_e32 v17, 0xfffff, v18
	s_delay_alu instid0(VALU_DEP_1) | instskip(NEXT) | instid1(VALU_DEP_3)
	v_add_nc_u32_e32 v18, v17, v22
                                        ; implicit-def: $vgpr17
	v_cmpx_ne_u32_e64 v20, v21
	s_xor_b32 s7, exec_lo, s7
; %bb.9447:                             ;   in Loop: Header=BB6_9430 Depth=2
	s_delay_alu instid0(VALU_DEP_2) | instskip(SKIP_2) | instid1(VALU_DEP_2)
	v_cmp_lt_u32_e32 vcc_lo, 0xffffff, v18
	v_sub_nc_u32_e32 v17, v20, v21
	v_cndmask_b32_e64 v20, 0, 1, vcc_lo
	v_add_co_ci_u32_e32 v17, vcc_lo, 0, v17, vcc_lo
	s_delay_alu instid0(VALU_DEP_2)
	v_lshrrev_b32_e32 v18, v20, v18
; %bb.9448:                             ;   in Loop: Header=BB6_9430 Depth=2
	s_and_not1_saveexec_b32 s7, s7
; %bb.9449:                             ;   in Loop: Header=BB6_9430 Depth=2
	s_delay_alu instid0(VALU_DEP_1)
	v_bfe_u32 v17, v18, 23, 1
; %bb.9450:                             ;   in Loop: Header=BB6_9430 Depth=2
	s_or_b32 exec_lo, exec_lo, s7
	v_lshrrev_b32_e32 v18, 20, v18
	s_delay_alu instid0(VALU_DEP_2) | instskip(SKIP_2) | instid1(VALU_DEP_4)
	v_cmp_gt_i32_e32 vcc_lo, 16, v17
	v_lshrrev_b32_e32 v16, 24, v16
	v_min_i32_e32 v20, 15, v17
	v_cndmask_b32_e32 v18, 7, v18, vcc_lo
	s_delay_alu instid0(VALU_DEP_3) | instskip(NEXT) | instid1(VALU_DEP_3)
	v_and_b32_e32 v16, 0x80, v16
	v_lshlrev_b32_e32 v20, 3, v20
	s_delay_alu instid0(VALU_DEP_3) | instskip(NEXT) | instid1(VALU_DEP_1)
	v_or_b32_e32 v17, v17, v18
	v_cmp_ne_u32_e32 vcc_lo, 0, v17
	v_and_b32_e32 v21, 7, v18
	s_delay_alu instid0(VALU_DEP_1) | instskip(NEXT) | instid1(VALU_DEP_1)
	v_or3_b32 v16, v20, v16, v21
	v_cndmask_b32_e32 v18, 0, v16, vcc_lo
.LBB6_9451:                             ;   in Loop: Header=BB6_9430 Depth=2
	s_or_b32 exec_lo, exec_lo, s23
.LBB6_9452:                             ;   in Loop: Header=BB6_9430 Depth=2
	s_delay_alu instid0(SALU_CYCLE_1) | instskip(SKIP_4) | instid1(VALU_DEP_1)
	s_or_b32 exec_lo, exec_lo, s22
	flat_load_u8 v16, v[12:13] slc dlc
	v_and_b32_e32 v20, 0xff, v18
	s_mov_b32 s7, 0
	s_mov_b32 s23, exec_lo
                                        ; implicit-def: $sgpr22
	v_cmpx_lt_i16_e32 0x7f, v20
	s_xor_b32 s23, exec_lo, s23
	s_cbranch_execnz .LBB6_9473
; %bb.9453:                             ;   in Loop: Header=BB6_9430 Depth=2
	s_or_saveexec_b32 s23, s23
	v_mov_b32_e32 v17, s22
	s_xor_b32 exec_lo, exec_lo, s23
	s_cbranch_execnz .LBB6_9476
.LBB6_9454:                             ;   in Loop: Header=BB6_9430 Depth=2
	s_or_b32 exec_lo, exec_lo, s23
	s_and_saveexec_b32 s22, s7
	s_cbranch_execz .LBB6_9456
.LBB6_9455:                             ;   in Loop: Header=BB6_9430 Depth=2
	v_lshrrev_b16 v22, 3, v18
	s_delay_alu instid0(VALU_DEP_1) | instskip(NEXT) | instid1(VALU_DEP_1)
	v_and_b32_e32 v22, 15, v22
	v_cmp_eq_u32_e32 vcc_lo, 0, v22
	v_and_b32_e32 v17, 7, v18
	s_delay_alu instid0(VALU_DEP_1) | instskip(NEXT) | instid1(VALU_DEP_1)
	v_clz_i32_u32_e32 v20, v17
	v_min_u32_e32 v20, 32, v20
	s_delay_alu instid0(VALU_DEP_1) | instskip(SKIP_1) | instid1(VALU_DEP_1)
	v_subrev_nc_u32_e32 v21, 28, v20
	v_sub_nc_u32_e32 v20, 29, v20
	v_dual_cndmask_b32 v20, v22, v20 :: v_dual_lshlrev_b32 v21, v21, v18
	v_lshlrev_b32_e32 v18, 24, v18
	s_delay_alu instid0(VALU_DEP_2) | instskip(NEXT) | instid1(VALU_DEP_3)
	v_and_b32_e32 v21, 7, v21
	v_lshl_add_u32 v20, v20, 23, 0x3b800000
	s_delay_alu instid0(VALU_DEP_2) | instskip(NEXT) | instid1(VALU_DEP_1)
	v_dual_cndmask_b32 v17, v17, v21 :: v_dual_and_b32 v18, 0x80000000, v18
	v_lshlrev_b32_e32 v17, 20, v17
	s_delay_alu instid0(VALU_DEP_1)
	v_or3_b32 v17, v18, v20, v17
.LBB6_9456:                             ;   in Loop: Header=BB6_9430 Depth=2
	s_or_b32 exec_lo, exec_lo, s22
	s_waitcnt vmcnt(0) lgkmcnt(0)
	v_and_b32_e32 v20, 0xff, v16
	s_mov_b32 s7, 0
	s_mov_b32 s23, exec_lo
                                        ; implicit-def: $sgpr22
	s_delay_alu instid0(VALU_DEP_1)
	v_cmpx_lt_i16_e32 0x7f, v20
	s_xor_b32 s23, exec_lo, s23
	s_cbranch_execnz .LBB6_9477
; %bb.9457:                             ;   in Loop: Header=BB6_9430 Depth=2
	s_or_saveexec_b32 s23, s23
	v_mov_b32_e32 v18, s22
	s_xor_b32 exec_lo, exec_lo, s23
	s_cbranch_execnz .LBB6_9480
.LBB6_9458:                             ;   in Loop: Header=BB6_9430 Depth=2
	s_or_b32 exec_lo, exec_lo, s23
	s_and_saveexec_b32 s22, s7
	s_cbranch_execz .LBB6_9460
.LBB6_9459:                             ;   in Loop: Header=BB6_9430 Depth=2
	v_and_b32_e32 v18, 7, v16
	v_lshrrev_b16 v22, 3, v16
	s_delay_alu instid0(VALU_DEP_2) | instskip(NEXT) | instid1(VALU_DEP_2)
	v_clz_i32_u32_e32 v20, v18
	v_and_b32_e32 v22, 15, v22
	s_delay_alu instid0(VALU_DEP_2) | instskip(NEXT) | instid1(VALU_DEP_2)
	v_min_u32_e32 v20, 32, v20
	v_cmp_eq_u32_e32 vcc_lo, 0, v22
	s_delay_alu instid0(VALU_DEP_2) | instskip(SKIP_1) | instid1(VALU_DEP_2)
	v_subrev_nc_u32_e32 v21, 28, v20
	v_sub_nc_u32_e32 v20, 29, v20
	v_lshlrev_b32_e32 v21, v21, v16
	v_lshlrev_b32_e32 v16, 24, v16
	s_delay_alu instid0(VALU_DEP_2) | instskip(NEXT) | instid1(VALU_DEP_2)
	v_dual_cndmask_b32 v20, v22, v20 :: v_dual_and_b32 v21, 7, v21
	v_and_b32_e32 v16, 0x80000000, v16
	s_delay_alu instid0(VALU_DEP_2) | instskip(NEXT) | instid1(VALU_DEP_3)
	v_lshl_add_u32 v20, v20, 23, 0x3b800000
	v_cndmask_b32_e32 v18, v18, v21, vcc_lo
	s_delay_alu instid0(VALU_DEP_1) | instskip(NEXT) | instid1(VALU_DEP_1)
	v_lshlrev_b32_e32 v18, 20, v18
	v_or3_b32 v18, v16, v20, v18
.LBB6_9460:                             ;   in Loop: Header=BB6_9430 Depth=2
	s_or_b32 exec_lo, exec_lo, s22
	s_delay_alu instid0(VALU_DEP_1) | instskip(NEXT) | instid1(VALU_DEP_1)
	v_add_f32_e32 v16, v17, v18
	v_and_b32_e32 v17, 0x7f800000, v16
	s_delay_alu instid0(VALU_DEP_1)
	v_cmp_ne_u32_e32 vcc_lo, 0x7f800000, v17
	v_mov_b32_e32 v17, 0x80
	s_and_saveexec_b32 s22, vcc_lo
	s_cbranch_execz .LBB6_9468
; %bb.9461:                             ;   in Loop: Header=BB6_9430 Depth=2
	v_mov_b32_e32 v17, 0
	s_mov_b32 s23, exec_lo
	v_cmpx_ne_u32_e32 0, v16
	s_cbranch_execz .LBB6_9467
; %bb.9462:                             ;   in Loop: Header=BB6_9430 Depth=2
	v_bfe_u32 v17, v16, 23, 8
	v_and_b32_e32 v18, 0x7fffff, v16
	s_delay_alu instid0(VALU_DEP_2) | instskip(SKIP_1) | instid1(VALU_DEP_3)
	v_sub_nc_u32_e32 v20, 0x78, v17
	v_cmp_gt_u32_e32 vcc_lo, 0x79, v17
	v_or_b32_e32 v21, 0x800000, v18
	s_delay_alu instid0(VALU_DEP_3) | instskip(SKIP_2) | instid1(VALU_DEP_3)
	v_cndmask_b32_e32 v20, 0, v20, vcc_lo
	v_cmp_eq_u32_e32 vcc_lo, 0, v17
	v_add_nc_u32_e32 v17, 0xffffff89, v17
	v_cndmask_b32_e64 v20, v20, 0x77, vcc_lo
	v_cndmask_b32_e32 v18, v21, v18, vcc_lo
	s_delay_alu instid0(VALU_DEP_3) | instskip(NEXT) | instid1(VALU_DEP_3)
	v_cndmask_b32_e64 v17, v17, 0xffffff8a, vcc_lo
	v_lshl_add_u32 v21, 0x100000, v20, -1
	s_delay_alu instid0(VALU_DEP_3) | instskip(SKIP_1) | instid1(VALU_DEP_4)
	v_lshrrev_b32_e32 v22, v20, v18
	v_lshlrev_b32_e64 v24, v20, 0x80000
	v_add_nc_u32_e32 v20, v20, v17
	s_delay_alu instid0(VALU_DEP_4) | instskip(NEXT) | instid1(VALU_DEP_4)
	v_and_b32_e32 v18, v21, v18
	v_bfe_u32 v23, v22, 20, 1
	s_delay_alu instid0(VALU_DEP_2) | instskip(NEXT) | instid1(VALU_DEP_2)
	v_cmp_eq_u32_e64 s7, v18, v24
	v_add_nc_u32_e32 v21, -1, v23
	s_delay_alu instid0(VALU_DEP_1) | instskip(SKIP_2) | instid1(VALU_DEP_2)
	v_cndmask_b32_e64 v18, 0, v21, s7
	v_lshrrev_b32_e32 v21, 23, v22
	s_mov_b32 s7, exec_lo
	v_add_nc_u32_e32 v18, v18, v22
	s_delay_alu instid0(VALU_DEP_2) | instskip(NEXT) | instid1(VALU_DEP_2)
	v_xor_b32_e32 v21, 1, v21
	v_and_b32_e32 v17, 0xfffff, v18
	s_delay_alu instid0(VALU_DEP_1) | instskip(NEXT) | instid1(VALU_DEP_3)
	v_add_nc_u32_e32 v18, v17, v22
                                        ; implicit-def: $vgpr17
	v_cmpx_ne_u32_e64 v20, v21
	s_xor_b32 s7, exec_lo, s7
; %bb.9463:                             ;   in Loop: Header=BB6_9430 Depth=2
	s_delay_alu instid0(VALU_DEP_2) | instskip(SKIP_2) | instid1(VALU_DEP_2)
	v_cmp_lt_u32_e32 vcc_lo, 0xffffff, v18
	v_sub_nc_u32_e32 v17, v20, v21
	v_cndmask_b32_e64 v20, 0, 1, vcc_lo
	v_add_co_ci_u32_e32 v17, vcc_lo, 0, v17, vcc_lo
	s_delay_alu instid0(VALU_DEP_2)
	v_lshrrev_b32_e32 v18, v20, v18
; %bb.9464:                             ;   in Loop: Header=BB6_9430 Depth=2
	s_and_not1_saveexec_b32 s7, s7
; %bb.9465:                             ;   in Loop: Header=BB6_9430 Depth=2
	s_delay_alu instid0(VALU_DEP_1)
	v_bfe_u32 v17, v18, 23, 1
; %bb.9466:                             ;   in Loop: Header=BB6_9430 Depth=2
	s_or_b32 exec_lo, exec_lo, s7
	v_lshrrev_b32_e32 v18, 20, v18
	s_delay_alu instid0(VALU_DEP_2) | instskip(SKIP_2) | instid1(VALU_DEP_4)
	v_cmp_gt_i32_e32 vcc_lo, 16, v17
	v_lshrrev_b32_e32 v16, 24, v16
	v_min_i32_e32 v20, 15, v17
	v_cndmask_b32_e32 v18, 7, v18, vcc_lo
	s_delay_alu instid0(VALU_DEP_3) | instskip(NEXT) | instid1(VALU_DEP_3)
	v_and_b32_e32 v16, 0x80, v16
	v_lshlrev_b32_e32 v20, 3, v20
	s_delay_alu instid0(VALU_DEP_3) | instskip(SKIP_1) | instid1(VALU_DEP_2)
	v_and_b32_e32 v21, 7, v18
	v_or_b32_e32 v17, v17, v18
	v_or3_b32 v16, v20, v16, v21
	s_delay_alu instid0(VALU_DEP_2) | instskip(NEXT) | instid1(VALU_DEP_2)
	v_cmp_ne_u32_e32 vcc_lo, 0, v17
	v_cndmask_b32_e32 v17, 0, v16, vcc_lo
.LBB6_9467:                             ;   in Loop: Header=BB6_9430 Depth=2
	s_or_b32 exec_lo, exec_lo, s23
.LBB6_9468:                             ;   in Loop: Header=BB6_9430 Depth=2
	s_delay_alu instid0(SALU_CYCLE_1)
	s_or_b32 exec_lo, exec_lo, s22
	v_add_co_u32 v10, vcc_lo, v10, v98
	v_sub_nc_u32_e32 v19, v19, v98
	v_add_co_ci_u32_e32 v11, vcc_lo, v11, v101, vcc_lo
	v_add_co_u32 v12, vcc_lo, v12, v98
	v_add_co_ci_u32_e32 v13, vcc_lo, v13, v101, vcc_lo
	flat_store_b8 v[14:15], v17 glc slc dlc
	v_cmp_gt_i32_e32 vcc_lo, 1, v19
	v_add_co_u32 v14, s7, v14, v98
	s_delay_alu instid0(VALU_DEP_1) | instskip(SKIP_1) | instid1(SALU_CYCLE_1)
	v_add_co_ci_u32_e64 v15, s7, v15, v101, s7
	s_or_b32 s21, vcc_lo, s21
	s_and_not1_b32 exec_lo, exec_lo, s21
	s_cbranch_execnz .LBB6_9430
	s_branch .LBB6_9481
.LBB6_9469:                             ;   in Loop: Header=BB6_9430 Depth=2
	s_mov_b32 s7, -1
	s_mov_b32 s24, exec_lo
                                        ; implicit-def: $sgpr22
	v_cmpx_eq_u16_e32 0x80, v16
; %bb.9470:                             ;   in Loop: Header=BB6_9430 Depth=2
	s_mov_b32 s22, 0x7f800001
	s_xor_b32 s7, exec_lo, -1
; %bb.9471:                             ;   in Loop: Header=BB6_9430 Depth=2
	s_or_b32 exec_lo, exec_lo, s24
	s_delay_alu instid0(SALU_CYCLE_1)
	s_and_b32 s7, s7, exec_lo
	s_or_saveexec_b32 s23, s23
	v_mov_b32_e32 v18, s22
	s_xor_b32 exec_lo, exec_lo, s23
	s_cbranch_execz .LBB6_9442
.LBB6_9472:                             ;   in Loop: Header=BB6_9430 Depth=2
	v_cmp_ne_u16_e32 vcc_lo, 0, v16
	v_mov_b32_e32 v18, 0
	s_and_not1_b32 s7, s7, exec_lo
	s_and_b32 s22, vcc_lo, exec_lo
	s_delay_alu instid0(SALU_CYCLE_1)
	s_or_b32 s7, s7, s22
	s_or_b32 exec_lo, exec_lo, s23
	s_and_saveexec_b32 s22, s7
	s_cbranch_execnz .LBB6_9443
	s_branch .LBB6_9444
.LBB6_9473:                             ;   in Loop: Header=BB6_9430 Depth=2
	s_mov_b32 s7, -1
	s_mov_b32 s24, exec_lo
                                        ; implicit-def: $sgpr22
	v_cmpx_eq_u16_e32 0x80, v20
; %bb.9474:                             ;   in Loop: Header=BB6_9430 Depth=2
	s_mov_b32 s22, 0x7f800001
	s_xor_b32 s7, exec_lo, -1
; %bb.9475:                             ;   in Loop: Header=BB6_9430 Depth=2
	s_or_b32 exec_lo, exec_lo, s24
	s_delay_alu instid0(SALU_CYCLE_1)
	s_and_b32 s7, s7, exec_lo
                                        ; implicit-def: $vgpr20
	s_or_saveexec_b32 s23, s23
	v_mov_b32_e32 v17, s22
	s_xor_b32 exec_lo, exec_lo, s23
	s_cbranch_execz .LBB6_9454
.LBB6_9476:                             ;   in Loop: Header=BB6_9430 Depth=2
	v_cmp_ne_u16_e32 vcc_lo, 0, v20
	v_mov_b32_e32 v17, 0
	s_and_not1_b32 s7, s7, exec_lo
	s_and_b32 s22, vcc_lo, exec_lo
	s_delay_alu instid0(SALU_CYCLE_1)
	s_or_b32 s7, s7, s22
	s_or_b32 exec_lo, exec_lo, s23
	s_and_saveexec_b32 s22, s7
	s_cbranch_execnz .LBB6_9455
	s_branch .LBB6_9456
.LBB6_9477:                             ;   in Loop: Header=BB6_9430 Depth=2
	s_mov_b32 s7, -1
	s_mov_b32 s24, exec_lo
                                        ; implicit-def: $sgpr22
	v_cmpx_eq_u16_e32 0x80, v20
; %bb.9478:                             ;   in Loop: Header=BB6_9430 Depth=2
	s_mov_b32 s22, 0x7f800001
	s_xor_b32 s7, exec_lo, -1
; %bb.9479:                             ;   in Loop: Header=BB6_9430 Depth=2
	s_or_b32 exec_lo, exec_lo, s24
	s_delay_alu instid0(SALU_CYCLE_1)
	s_and_b32 s7, s7, exec_lo
                                        ; implicit-def: $vgpr20
	s_or_saveexec_b32 s23, s23
	v_mov_b32_e32 v18, s22
	s_xor_b32 exec_lo, exec_lo, s23
	s_cbranch_execz .LBB6_9458
.LBB6_9480:                             ;   in Loop: Header=BB6_9430 Depth=2
	v_cmp_ne_u16_e32 vcc_lo, 0, v20
	v_mov_b32_e32 v18, 0
	s_and_not1_b32 s7, s7, exec_lo
	s_and_b32 s22, vcc_lo, exec_lo
	s_delay_alu instid0(SALU_CYCLE_1)
	s_or_b32 s7, s7, s22
	s_or_b32 exec_lo, exec_lo, s23
	s_and_saveexec_b32 s22, s7
	s_cbranch_execnz .LBB6_9459
	s_branch .LBB6_9460
.LBB6_9481:                             ;   in Loop: Header=BB6_4817 Depth=1
	s_or_b32 exec_lo, exec_lo, s10
	v_cmp_ne_u32_e64 s7, 0, v50
.LBB6_9482:                             ;   in Loop: Header=BB6_4817 Depth=1
	s_and_saveexec_b32 s10, s2
	s_cbranch_execz .LBB6_9504
; %bb.9483:                             ;   in Loop: Header=BB6_4817 Depth=1
	s_and_saveexec_b32 s21, s3
	s_delay_alu instid0(SALU_CYCLE_1)
	s_xor_b32 s21, exec_lo, s21
	s_cbranch_execz .LBB6_9501
; %bb.9484:                             ;   in Loop: Header=BB6_4817 Depth=1
	s_and_saveexec_b32 s22, s4
	s_cbranch_execz .LBB6_9500
; %bb.9485:                             ;   in Loop: Header=BB6_4817 Depth=1
	s_mov_b32 s24, exec_lo
	s_mov_b32 s23, exec_lo
	v_mbcnt_lo_u32_b32 v10, s24, 0
	s_waitcnt lgkmcnt(0)
	s_waitcnt_vscnt null, 0x0
	buffer_gl1_inv
	buffer_gl0_inv
	v_cmpx_eq_u32_e32 0, v10
	s_cbranch_execz .LBB6_9487
; %bb.9486:                             ;   in Loop: Header=BB6_4817 Depth=1
	s_bcnt1_i32_b32 s24, s24
	s_delay_alu instid0(SALU_CYCLE_1)
	v_mov_b32_e32 v50, s24
	ds_add_u64 v0, v[50:51]
	s_cbranch_execz .LBB6_9487
; %bb.13111:
	s_getpc_b64 s[34:35]
.Lpost_getpc205:
	s_add_u32 s34, s34, (.LBB6_12879-.Lpost_getpc205)&4294967295
	s_addc_u32 s35, s35, (.LBB6_12879-.Lpost_getpc205)>>32
	s_setpc_b64 s[34:35]
.LBB6_9487:                             ;   in Loop: Header=BB6_4817 Depth=1
	s_or_b32 exec_lo, exec_lo, s23
	s_cbranch_execz .LBB6_9488
; %bb.13113:
	s_getpc_b64 s[34:35]
.Lpost_getpc206:
	s_add_u32 s34, s34, (.LBB6_12851-.Lpost_getpc206)&4294967295
	s_addc_u32 s35, s35, (.LBB6_12851-.Lpost_getpc206)>>32
	s_setpc_b64 s[34:35]
.LBB6_9488:                             ;   in Loop: Header=BB6_4817 Depth=1
	ds_load_b64 v[10:11], v0
	v_add_co_u32 v38, vcc_lo, v38, v70
	v_add_co_ci_u32_e32 v39, vcc_lo, 0, v39, vcc_lo
	s_mov_b32 s23, exec_lo
	s_waitcnt lgkmcnt(0)
	s_delay_alu instid0(VALU_DEP_1)
	v_cmpx_lt_u64_e64 v[10:11], v[38:39]
	s_cbranch_execz .LBB6_9499
; %bb.9489:                             ;   in Loop: Header=BB6_4817 Depth=1
	s_mov_b32 s24, 0
	s_mov_b32 s27, 0
                                        ; implicit-def: $sgpr25
                                        ; implicit-def: $sgpr26
	s_branch .LBB6_9491
.LBB6_9490:                             ;   in Loop: Header=BB6_9491 Depth=2
	s_or_b32 exec_lo, exec_lo, vcc_hi
	s_delay_alu instid0(SALU_CYCLE_1) | instskip(NEXT) | instid1(SALU_CYCLE_1)
	s_and_b32 s28, exec_lo, s29
	s_or_b32 s24, s28, s24
	s_and_not1_b32 s25, s25, exec_lo
	s_and_b32 s28, s26, exec_lo
	s_delay_alu instid0(SALU_CYCLE_1)
	s_or_b32 s25, s25, s28
	s_and_not1_b32 exec_lo, exec_lo, s24
	s_cbranch_execz .LBB6_9497
.LBB6_9491:                             ;   Parent Loop BB6_4817 Depth=1
                                        ; =>  This Inner Loop Header: Depth=2
	s_add_i32 s27, s27, 1
                                        ; implicit-def: $sgpr29
	s_delay_alu instid0(SALU_CYCLE_1) | instskip(SKIP_1) | instid1(SALU_CYCLE_1)
	s_cmpk_lg_i32 s27, 0x2710
	s_cselect_b32 s28, -1, 0
	s_and_b32 vcc_lo, exec_lo, s28
	s_cbranch_vccz .LBB6_9495
.LBB6_9492:                             ;   in Loop: Header=BB6_9491 Depth=2
	s_and_not1_b32 s26, s26, exec_lo
	s_and_b32 vcc_lo, s29, exec_lo
	s_mov_b32 s29, -1
	s_or_b32 s26, s26, vcc_lo
	s_and_saveexec_b32 vcc_hi, s28
	s_cbranch_execz .LBB6_9490
; %bb.9493:                             ;   in Loop: Header=BB6_9491 Depth=2
	s_sleep 1
	s_cbranch_execz .LBB6_9494
; %bb.13115:
	s_getpc_b64 s[34:35]
.Lpost_getpc207:
	s_add_u32 s34, s34, (.LBB6_12903-.Lpost_getpc207)&4294967295
	s_addc_u32 s35, s35, (.LBB6_12903-.Lpost_getpc207)>>32
	s_setpc_b64 s[34:35]
.LBB6_9494:                             ;   in Loop: Header=BB6_9491 Depth=2
	ds_load_b64 v[10:11], v0
	s_and_not1_b32 s26, s26, exec_lo
	s_waitcnt lgkmcnt(0)
	v_cmp_ge_u64_e32 vcc_lo, v[10:11], v[38:39]
	s_or_not1_b32 s29, vcc_lo, exec_lo
	s_branch .LBB6_9490
.LBB6_9495:                             ;   in Loop: Header=BB6_9491 Depth=2
	s_cbranch_execz .LBB6_9496
; %bb.13117:
	s_getpc_b64 s[34:35]
.Lpost_getpc208:
	s_add_u32 s34, s34, (.LBB6_12909-.Lpost_getpc208)&4294967295
	s_addc_u32 s35, s35, (.LBB6_12909-.Lpost_getpc208)>>32
	s_setpc_b64 s[34:35]
.LBB6_9496:                             ;   in Loop: Header=BB6_9491 Depth=2
	ds_load_b64 v[10:11], v0
	s_and_not1_b32 s28, s28, exec_lo
	s_mov_b32 s27, 0
	s_mov_b32 s29, -1
	s_waitcnt lgkmcnt(0)
	flat_load_b32 v10, v[10:11] glc
	s_waitcnt vmcnt(0) lgkmcnt(0)
	buffer_gl1_inv
	buffer_gl0_inv
	v_cmp_eq_u32_e32 vcc_lo, 0, v10
	s_and_b32 vcc_lo, vcc_lo, exec_lo
	s_delay_alu instid0(SALU_CYCLE_1)
	s_or_b32 s28, s28, vcc_lo
	s_branch .LBB6_9492
.LBB6_9497:                             ;   in Loop: Header=BB6_4817 Depth=1
	s_or_b32 exec_lo, exec_lo, s24
	s_and_saveexec_b32 s24, s25
	s_delay_alu instid0(SALU_CYCLE_1)
	s_xor_b32 s24, exec_lo, s24
	s_cbranch_execz .LBB6_9499
; %bb.9498:                             ;   in Loop: Header=BB6_4817 Depth=1
	ds_store_b32 v0, v102
	s_cbranch_execz .LBB6_9499
; %bb.13119:
	s_getpc_b64 s[34:35]
.Lpost_getpc209:
	s_add_u32 s34, s34, (.LBB6_12933-.Lpost_getpc209)&4294967295
	s_addc_u32 s35, s35, (.LBB6_12933-.Lpost_getpc209)>>32
	s_setpc_b64 s[34:35]
.LBB6_9499:                             ;   in Loop: Header=BB6_4817 Depth=1
	s_or_b32 exec_lo, exec_lo, s23
	;;#ASMSTART
	s_wakeup
	;;#ASMEND
.LBB6_9500:                             ;   in Loop: Header=BB6_4817 Depth=1
	s_or_b32 exec_lo, exec_lo, s22
.LBB6_9501:                             ;   in Loop: Header=BB6_4817 Depth=1
	s_and_not1_saveexec_b32 s21, s21
	s_cbranch_execz .LBB6_9503
; %bb.9502:                             ;   in Loop: Header=BB6_4817 Depth=1
	s_waitcnt lgkmcnt(0)
	s_waitcnt_vscnt null, 0x0
	buffer_gl1_inv
	buffer_gl0_inv
	s_barrier
.LBB6_9503:                             ;   in Loop: Header=BB6_4817 Depth=1
	s_or_b32 exec_lo, exec_lo, s21
.LBB6_9504:                             ;   in Loop: Header=BB6_4817 Depth=1
	s_delay_alu instid0(SALU_CYCLE_1) | instskip(SKIP_1) | instid1(VALU_DEP_1)
	s_or_b32 exec_lo, exec_lo, s10
	v_and_b32_e32 v10, 16, v30
	v_cmp_ne_u32_e32 vcc_lo, 0, v10
	s_and_b32 s10, vcc_lo, s7
	s_delay_alu instid0(SALU_CYCLE_1)
	s_and_saveexec_b32 s7, s10
	s_cbranch_execz .LBB6_9506
; %bb.9505:                             ;   in Loop: Header=BB6_4817 Depth=1
	s_waitcnt lgkmcnt(0)
	s_waitcnt_vscnt null, 0x0
	buffer_gl1_inv
	buffer_gl0_inv
.LBB6_9506:                             ;   in Loop: Header=BB6_4817 Depth=1
	s_or_b32 exec_lo, exec_lo, s7
	v_and_b32_e32 v10, 32, v30
	s_mov_b32 s7, exec_lo
	s_delay_alu instid0(VALU_DEP_1)
	v_cmpx_ne_u32_e32 0, v10
	s_cbranch_execz .LBB6_9508
; %bb.9507:                             ;   in Loop: Header=BB6_4817 Depth=1
	v_add_co_u32 v8, vcc_lo, v8, 1
	v_add_co_ci_u32_e32 v9, vcc_lo, 0, v9, vcc_lo
	s_waitcnt lgkmcnt(0)
	s_waitcnt_vscnt null, 0x0
	flat_store_b64 v[32:33], v[8:9]
.LBB6_9508:                             ;   in Loop: Header=BB6_4817 Depth=1
	s_or_b32 exec_lo, exec_lo, s7
	v_mov_b32_e32 v14, v55
.LBB6_9509:                             ;   in Loop: Header=BB6_4817 Depth=1
	s_or_b32 exec_lo, exec_lo, s20
	s_and_saveexec_b32 s10, s19
	s_cbranch_execz .LBB6_9562
; %bb.9510:                             ;   in Loop: Header=BB6_4817 Depth=1
	v_and_b32_e32 v10, 4, v30
	s_mov_b32 s19, -1
	s_mov_b32 s7, exec_lo
	s_delay_alu instid0(VALU_DEP_1)
	v_cmpx_ne_u32_e32 0, v10
	s_cbranch_execz .LBB6_9524
; %bb.9511:                             ;   in Loop: Header=BB6_4817 Depth=1
	s_waitcnt lgkmcnt(0)
	v_add_co_u32 v10, vcc_lo, v8, 1
	v_add_co_ci_u32_e32 v11, vcc_lo, 0, v9, vcc_lo
	v_mov_b32_e32 v12, 1
	s_mov_b32 s19, exec_lo
	s_delay_alu instid0(VALU_DEP_2)
	v_cmpx_lt_u64_e64 v[36:37], v[10:11]
	s_cbranch_execz .LBB6_9523
; %bb.9512:                             ;   in Loop: Header=BB6_4817 Depth=1
	v_mov_b32_e32 v12, 0
	s_mov_b32 s20, 0
                                        ; implicit-def: $sgpr21
	s_branch .LBB6_9516
.LBB6_9513:                             ;   in Loop: Header=BB6_9516 Depth=2
	s_or_b32 exec_lo, exec_lo, s25
	v_mov_b32_e32 v13, 0
	s_or_not1_b32 s24, s24, exec_lo
.LBB6_9514:                             ;   in Loop: Header=BB6_9516 Depth=2
	s_or_b32 exec_lo, exec_lo, s23
	s_delay_alu instid0(VALU_DEP_1) | instskip(SKIP_2) | instid1(SALU_CYCLE_1)
	v_mov_b32_e32 v12, v13
	s_and_not1_b32 s21, s21, exec_lo
	s_and_b32 s23, s24, exec_lo
	s_or_b32 s21, s21, s23
.LBB6_9515:                             ;   in Loop: Header=BB6_9516 Depth=2
	s_or_b32 exec_lo, exec_lo, s22
	s_waitcnt vmcnt(0) lgkmcnt(0)
	v_cmp_ge_u64_e32 vcc_lo, v[36:37], v[10:11]
	s_xor_b32 s22, s21, -1
	s_delay_alu instid0(SALU_CYCLE_1) | instskip(NEXT) | instid1(SALU_CYCLE_1)
	s_or_b32 s22, s22, vcc_lo
	s_and_b32 s22, exec_lo, s22
	s_delay_alu instid0(SALU_CYCLE_1) | instskip(NEXT) | instid1(SALU_CYCLE_1)
	s_or_b32 s20, s22, s20
	s_and_not1_b32 exec_lo, exec_lo, s20
	s_cbranch_execz .LBB6_9522
.LBB6_9516:                             ;   Parent Loop BB6_4817 Depth=1
                                        ; =>  This Inner Loop Header: Depth=2
	s_sleep 1
	flat_load_b64 v[36:37], v[32:33] glc
	v_and_b32_e32 v13, 64, v30
	s_and_not1_b32 s21, s21, exec_lo
	s_mov_b32 s22, exec_lo
	s_delay_alu instid0(VALU_DEP_1)
	v_cmpx_eq_u32_e32 0, v13
	s_cbranch_execz .LBB6_9515
; %bb.9517:                             ;   in Loop: Header=BB6_9516 Depth=2
	v_add_nc_u32_e32 v13, 1, v12
	s_mov_b32 s24, -1
	s_mov_b32 s23, exec_lo
	v_cmpx_lt_i32_e32 0x270e, v12
	s_cbranch_execz .LBB6_9514
; %bb.9518:                             ;   in Loop: Header=BB6_9516 Depth=2
	s_cbranch_execz .LBB6_9519
; %bb.13121:
	s_getpc_b64 s[34:35]
.Lpost_getpc210:
	s_add_u32 s34, s34, (.LBB6_12751-.Lpost_getpc210)&4294967295
	s_addc_u32 s35, s35, (.LBB6_12751-.Lpost_getpc210)>>32
	s_setpc_b64 s[34:35]
.LBB6_9519:                             ;   in Loop: Header=BB6_9516 Depth=2
	ds_load_b64 v[12:13], v0
	s_mov_b32 s25, exec_lo
	s_waitcnt vmcnt(0) lgkmcnt(0)
	s_waitcnt_vscnt null, 0x0
	flat_load_b32 v12, v[12:13] glc
	s_waitcnt vmcnt(0) lgkmcnt(0)
	buffer_gl1_inv
	buffer_gl0_inv
	v_cmpx_ne_u32_e32 0, v12
	s_cbranch_execz .LBB6_9513
; %bb.9520:                             ;   in Loop: Header=BB6_9516 Depth=2
	ds_store_b32 v0, v12
	s_cbranch_execz .LBB6_9521
; %bb.13123:
	s_getpc_b64 s[34:35]
.Lpost_getpc211:
	s_add_u32 s34, s34, (.LBB6_12781-.Lpost_getpc211)&4294967295
	s_addc_u32 s35, s35, (.LBB6_12781-.Lpost_getpc211)>>32
	s_setpc_b64 s[34:35]
.LBB6_9521:                             ;   in Loop: Header=BB6_9516 Depth=2
	v_or_b32_e32 v30, 64, v30
	s_xor_b32 s24, exec_lo, -1
	s_branch .LBB6_9513
.LBB6_9522:                             ;   in Loop: Header=BB6_4817 Depth=1
	s_or_b32 exec_lo, exec_lo, s20
	v_and_b32_e32 v12, 4, v30
.LBB6_9523:                             ;   in Loop: Header=BB6_4817 Depth=1
	s_or_b32 exec_lo, exec_lo, s19
	s_delay_alu instid0(VALU_DEP_1)
	v_cmp_eq_u32_e32 vcc_lo, 0, v12
	;;#ASMSTART
	s_wakeup
	;;#ASMEND
	s_or_not1_b32 s19, vcc_lo, exec_lo
.LBB6_9524:                             ;   in Loop: Header=BB6_4817 Depth=1
	s_or_b32 exec_lo, exec_lo, s7
	s_xor_b32 s7, s19, -1
	s_delay_alu instid0(SALU_CYCLE_1)
	s_and_saveexec_b32 s19, s7
	s_cbranch_execz .LBB6_9534
; %bb.9525:                             ;   in Loop: Header=BB6_4817 Depth=1
	v_and_b32_e32 v10, 0x100, v30
	s_waitcnt lgkmcnt(0)
	v_and_b32_e32 v15, 7, v8
	s_mov_b32 s7, -1
	s_delay_alu instid0(VALU_DEP_2)
	v_cmp_ne_u32_e32 vcc_lo, 0, v10
                                        ; implicit-def: $vgpr10_vgpr11
	s_and_saveexec_b32 s20, vcc_lo
	s_cbranch_execz .LBB6_9529
; %bb.9526:                             ;   in Loop: Header=BB6_4817 Depth=1
	v_mad_u64_u32 v[12:13], null, v15, 24, v[6:7]
	flat_load_b32 v10, v[12:13]
	s_waitcnt vmcnt(0) lgkmcnt(0)
	v_cmp_ne_u32_e32 vcc_lo, 1, v10
	v_cmp_eq_u32_e64 s7, 1, v10
                                        ; implicit-def: $vgpr10_vgpr11
	s_delay_alu instid0(VALU_DEP_1)
	s_and_saveexec_b32 s21, s7
	s_cbranch_execz .LBB6_9528
; %bb.9527:                             ;   in Loop: Header=BB6_4817 Depth=1
	flat_load_b32 v10, v[12:13] offset:4 glc
	s_waitcnt vmcnt(0) lgkmcnt(0)
	v_ashrrev_i32_e32 v11, 31, v10
.LBB6_9528:                             ;   in Loop: Header=BB6_4817 Depth=1
	s_or_b32 exec_lo, exec_lo, s21
	s_delay_alu instid0(SALU_CYCLE_1)
	s_or_not1_b32 s7, vcc_lo, exec_lo
.LBB6_9529:                             ;   in Loop: Header=BB6_4817 Depth=1
	s_or_b32 exec_lo, exec_lo, s20
	s_and_saveexec_b32 s20, s7
; %bb.9530:                             ;   in Loop: Header=BB6_4817 Depth=1
	v_mad_i64_i32 v[10:11], null, v15, v81, 0
; %bb.9531:                             ;   in Loop: Header=BB6_4817 Depth=1
	s_or_b32 exec_lo, exec_lo, s20
	s_delay_alu instid0(VALU_DEP_1) | instskip(SKIP_1) | instid1(VALU_DEP_3)
	v_add_co_u32 v10, vcc_lo, v34, v10
	v_and_b32_e32 v12, 0x2000, v30
	v_add_co_ci_u32_e32 v11, vcc_lo, v35, v11, vcc_lo
	s_mov_b32 s7, exec_lo
	ds_store_b64 v0, v[10:11] offset:728
	v_cmpx_ne_u32_e32 0, v12
	s_cbranch_execz .LBB6_9533
; %bb.9532:                             ;   in Loop: Header=BB6_4817 Depth=1
	ds_load_b64 v[10:11], v0 offset:584
	s_waitcnt lgkmcnt(0)
	v_add_co_u32 v10, vcc_lo, v10, 1
	v_add_co_ci_u32_e32 v11, vcc_lo, 0, v11, vcc_lo
	ds_store_b64 v0, v[10:11] offset:584
.LBB6_9533:                             ;   in Loop: Header=BB6_4817 Depth=1
	s_or_b32 exec_lo, exec_lo, s7
	v_add_co_u32 v8, vcc_lo, v8, 1
	v_add_co_ci_u32_e32 v9, vcc_lo, 0, v9, vcc_lo
.LBB6_9534:                             ;   in Loop: Header=BB6_4817 Depth=1
	s_or_b32 exec_lo, exec_lo, s19
	s_and_saveexec_b32 s7, s2
	s_cbranch_execz .LBB6_9556
; %bb.9535:                             ;   in Loop: Header=BB6_4817 Depth=1
	s_and_saveexec_b32 s19, s3
	s_delay_alu instid0(SALU_CYCLE_1)
	s_xor_b32 s19, exec_lo, s19
	s_cbranch_execz .LBB6_9553
; %bb.9536:                             ;   in Loop: Header=BB6_4817 Depth=1
	s_and_saveexec_b32 s20, s4
	s_cbranch_execz .LBB6_9552
; %bb.9537:                             ;   in Loop: Header=BB6_4817 Depth=1
	s_mov_b32 s22, exec_lo
	s_mov_b32 s21, exec_lo
	v_mbcnt_lo_u32_b32 v10, s22, 0
	s_waitcnt lgkmcnt(0)
	s_waitcnt_vscnt null, 0x0
	buffer_gl1_inv
	buffer_gl0_inv
	v_cmpx_eq_u32_e32 0, v10
	s_cbranch_execz .LBB6_9539
; %bb.9538:                             ;   in Loop: Header=BB6_4817 Depth=1
	s_bcnt1_i32_b32 s22, s22
	s_delay_alu instid0(SALU_CYCLE_1)
	v_mov_b32_e32 v50, s22
	ds_add_u64 v0, v[50:51]
	s_cbranch_execz .LBB6_9539
; %bb.13125:
	s_getpc_b64 s[34:35]
.Lpost_getpc212:
	s_add_u32 s34, s34, (.LBB6_12797-.Lpost_getpc212)&4294967295
	s_addc_u32 s35, s35, (.LBB6_12797-.Lpost_getpc212)>>32
	s_setpc_b64 s[34:35]
.LBB6_9539:                             ;   in Loop: Header=BB6_4817 Depth=1
	s_or_b32 exec_lo, exec_lo, s21
	s_cbranch_execz .LBB6_9540
; %bb.13127:
	s_getpc_b64 s[34:35]
.Lpost_getpc213:
	s_add_u32 s34, s34, (.LBB6_12783-.Lpost_getpc213)&4294967295
	s_addc_u32 s35, s35, (.LBB6_12783-.Lpost_getpc213)>>32
	s_setpc_b64 s[34:35]
.LBB6_9540:                             ;   in Loop: Header=BB6_4817 Depth=1
	ds_load_b64 v[10:11], v0
	v_add_co_u32 v38, vcc_lo, v38, v70
	v_add_co_ci_u32_e32 v39, vcc_lo, 0, v39, vcc_lo
	s_mov_b32 s21, exec_lo
	s_waitcnt lgkmcnt(0)
	s_delay_alu instid0(VALU_DEP_1)
	v_cmpx_lt_u64_e64 v[10:11], v[38:39]
	s_cbranch_execz .LBB6_9551
; %bb.9541:                             ;   in Loop: Header=BB6_4817 Depth=1
	s_mov_b32 s22, 0
	s_mov_b32 s25, 0
                                        ; implicit-def: $sgpr23
                                        ; implicit-def: $sgpr24
	s_branch .LBB6_9543
.LBB6_9542:                             ;   in Loop: Header=BB6_9543 Depth=2
	s_or_b32 exec_lo, exec_lo, s28
	s_delay_alu instid0(SALU_CYCLE_1) | instskip(NEXT) | instid1(SALU_CYCLE_1)
	s_and_b32 s26, exec_lo, s27
	s_or_b32 s22, s26, s22
	s_and_not1_b32 s23, s23, exec_lo
	s_and_b32 s26, s24, exec_lo
	s_delay_alu instid0(SALU_CYCLE_1)
	s_or_b32 s23, s23, s26
	s_and_not1_b32 exec_lo, exec_lo, s22
	s_cbranch_execz .LBB6_9549
.LBB6_9543:                             ;   Parent Loop BB6_4817 Depth=1
                                        ; =>  This Inner Loop Header: Depth=2
	s_add_i32 s25, s25, 1
                                        ; implicit-def: $sgpr27
	s_delay_alu instid0(SALU_CYCLE_1) | instskip(SKIP_1) | instid1(SALU_CYCLE_1)
	s_cmpk_lg_i32 s25, 0x2710
	s_cselect_b32 s26, -1, 0
	s_and_b32 vcc_lo, exec_lo, s26
	s_cbranch_vccz .LBB6_9547
.LBB6_9544:                             ;   in Loop: Header=BB6_9543 Depth=2
	s_and_not1_b32 s24, s24, exec_lo
	s_and_b32 s28, s27, exec_lo
	s_mov_b32 s27, -1
	s_or_b32 s24, s24, s28
	s_and_saveexec_b32 s28, s26
	s_cbranch_execz .LBB6_9542
; %bb.9545:                             ;   in Loop: Header=BB6_9543 Depth=2
	s_sleep 1
	s_cbranch_execz .LBB6_9546
; %bb.13129:
	s_getpc_b64 s[34:35]
.Lpost_getpc214:
	s_add_u32 s34, s34, (.LBB6_12847-.Lpost_getpc214)&4294967295
	s_addc_u32 s35, s35, (.LBB6_12847-.Lpost_getpc214)>>32
	s_setpc_b64 s[34:35]
.LBB6_9546:                             ;   in Loop: Header=BB6_9543 Depth=2
	ds_load_b64 v[10:11], v0
	s_and_not1_b32 s24, s24, exec_lo
	s_waitcnt lgkmcnt(0)
	v_cmp_ge_u64_e32 vcc_lo, v[10:11], v[38:39]
	s_or_not1_b32 s27, vcc_lo, exec_lo
	s_branch .LBB6_9542
.LBB6_9547:                             ;   in Loop: Header=BB6_9543 Depth=2
	s_cbranch_execz .LBB6_9548
; %bb.13131:
	s_getpc_b64 s[34:35]
.Lpost_getpc215:
	s_add_u32 s34, s34, (.LBB6_12867-.Lpost_getpc215)&4294967295
	s_addc_u32 s35, s35, (.LBB6_12867-.Lpost_getpc215)>>32
	s_setpc_b64 s[34:35]
.LBB6_9548:                             ;   in Loop: Header=BB6_9543 Depth=2
	ds_load_b64 v[10:11], v0
	s_and_not1_b32 s26, s26, exec_lo
	s_mov_b32 s25, 0
	s_mov_b32 s27, -1
	s_waitcnt lgkmcnt(0)
	flat_load_b32 v10, v[10:11] glc
	s_waitcnt vmcnt(0) lgkmcnt(0)
	buffer_gl1_inv
	buffer_gl0_inv
	v_cmp_eq_u32_e32 vcc_lo, 0, v10
	s_and_b32 s28, vcc_lo, exec_lo
	s_delay_alu instid0(SALU_CYCLE_1)
	s_or_b32 s26, s26, s28
	s_branch .LBB6_9544
.LBB6_9549:                             ;   in Loop: Header=BB6_4817 Depth=1
	s_or_b32 exec_lo, exec_lo, s22
	s_and_saveexec_b32 s22, s23
	s_delay_alu instid0(SALU_CYCLE_1)
	s_xor_b32 s22, exec_lo, s22
	s_cbranch_execz .LBB6_9551
; %bb.9550:                             ;   in Loop: Header=BB6_4817 Depth=1
	ds_store_b32 v0, v102
	s_cbranch_execz .LBB6_9551
; %bb.13133:
	s_getpc_b64 s[34:35]
.Lpost_getpc216:
	s_add_u32 s34, s34, (.LBB6_12923-.Lpost_getpc216)&4294967295
	s_addc_u32 s35, s35, (.LBB6_12923-.Lpost_getpc216)>>32
	s_setpc_b64 s[34:35]
.LBB6_9551:                             ;   in Loop: Header=BB6_4817 Depth=1
	s_or_b32 exec_lo, exec_lo, s21
	;;#ASMSTART
	s_wakeup
	;;#ASMEND
.LBB6_9552:                             ;   in Loop: Header=BB6_4817 Depth=1
	s_or_b32 exec_lo, exec_lo, s20
.LBB6_9553:                             ;   in Loop: Header=BB6_4817 Depth=1
	s_and_not1_saveexec_b32 s19, s19
	s_cbranch_execz .LBB6_9555
; %bb.9554:                             ;   in Loop: Header=BB6_4817 Depth=1
	s_waitcnt lgkmcnt(0)
	s_waitcnt_vscnt null, 0x0
	buffer_gl1_inv
	buffer_gl0_inv
	s_barrier
.LBB6_9555:                             ;   in Loop: Header=BB6_4817 Depth=1
	s_or_b32 exec_lo, exec_lo, s19
.LBB6_9556:                             ;   in Loop: Header=BB6_4817 Depth=1
	s_delay_alu instid0(SALU_CYCLE_1)
	s_or_b32 exec_lo, exec_lo, s7
	s_cbranch_execz .LBB6_9557
; %bb.13135:
	s_getpc_b64 s[34:35]
.Lpost_getpc217:
	s_add_u32 s34, s34, (.LBB6_12722-.Lpost_getpc217)&4294967295
	s_addc_u32 s35, s35, (.LBB6_12722-.Lpost_getpc217)>>32
	s_setpc_b64 s[34:35]
.LBB6_9557:                             ;   in Loop: Header=BB6_4817 Depth=1
	ds_load_b32 v10, v0
	v_sub_nc_u32_e32 v11, v54, v14
	s_delay_alu instid0(VALU_DEP_1) | instskip(NEXT) | instid1(VALU_DEP_1)
	v_min_i32_e32 v11, v55, v11
	v_cmp_lt_i32_e32 vcc_lo, 0, v11
	s_waitcnt lgkmcnt(0)
	v_readfirstlane_b32 s7, v10
	v_and_b32_e32 v10, 16, v30
	s_delay_alu instid0(VALU_DEP_2) | instskip(NEXT) | instid1(VALU_DEP_1)
	s_cmp_eq_u32 s7, 0
	v_cmp_ne_u32_e64 s7, 0, v10
	s_cselect_b32 s19, -1, 0
	s_delay_alu instid0(SALU_CYCLE_1)
	s_and_b32 s19, vcc_lo, s19
	s_delay_alu instid0(VALU_DEP_1) | instid1(SALU_CYCLE_1)
	s_and_b32 s19, s7, s19
	s_delay_alu instid0(SALU_CYCLE_1)
	s_and_saveexec_b32 s7, s19
	s_cbranch_execz .LBB6_9559
; %bb.9558:                             ;   in Loop: Header=BB6_4817 Depth=1
	s_waitcnt_vscnt null, 0x0
	buffer_gl1_inv
	buffer_gl0_inv
.LBB6_9559:                             ;   in Loop: Header=BB6_4817 Depth=1
	s_or_b32 exec_lo, exec_lo, s7
	v_and_b32_e32 v10, 32, v30
	s_mov_b32 s7, exec_lo
	s_delay_alu instid0(VALU_DEP_1)
	v_cmpx_ne_u32_e32 0, v10
	s_cbranch_execz .LBB6_9561
; %bb.9560:                             ;   in Loop: Header=BB6_4817 Depth=1
	v_add_co_u32 v8, vcc_lo, v8, 1
	v_add_co_ci_u32_e32 v9, vcc_lo, 0, v9, vcc_lo
	s_waitcnt_vscnt null, 0x0
	flat_store_b64 v[32:33], v[8:9]
.LBB6_9561:                             ;   in Loop: Header=BB6_4817 Depth=1
	s_or_b32 exec_lo, exec_lo, s7
.LBB6_9562:                             ;   in Loop: Header=BB6_4817 Depth=1
	s_delay_alu instid0(SALU_CYCLE_1) | instskip(SKIP_2) | instid1(VALU_DEP_1)
	s_or_b32 exec_lo, exec_lo, s10
	v_add_co_u32 v52, vcc_lo, v52, v48
	v_add_co_ci_u32_e32 v53, vcc_lo, 0, v53, vcc_lo
	v_cmp_ge_u64_e32 vcc_lo, v[52:53], v[4:5]
	s_or_b32 s16, vcc_lo, s16
	s_delay_alu instid0(SALU_CYCLE_1)
	s_and_not1_b32 exec_lo, exec_lo, s16
	s_cbranch_execz .LBB6_9563
; %bb.13137:                            ;   in Loop: Header=BB6_4817 Depth=1
	s_getpc_b64 s[34:35]
.Lpost_getpc218:
	s_add_u32 s34, s34, (.LBB6_4817-.Lpost_getpc218)&4294967295
	s_addc_u32 s35, s35, (.LBB6_4817-.Lpost_getpc218)>>32
	s_setpc_b64 s[34:35]
.LBB6_9563:
	s_or_b32 exec_lo, exec_lo, s16
.LBB6_9564:
	s_delay_alu instid0(SALU_CYCLE_1)
	s_or_b32 exec_lo, exec_lo, s12
.LBB6_9565:
	s_delay_alu instid0(SALU_CYCLE_1)
	s_or_b32 exec_lo, exec_lo, s11
                                        ; implicit-def: $vgpr26_vgpr27
                                        ; implicit-def: $vgpr4_vgpr5
                                        ; implicit-def: $vgpr50_vgpr51
                                        ; implicit-def: $vgpr81
                                        ; implicit-def: $vgpr36_vgpr37
                                        ; implicit-def: $vgpr34_vgpr35
                                        ; implicit-def: $vgpr32_vgpr33
                                        ; implicit-def: $vgpr0
                                        ; implicit-def: $vgpr22
                                        ; implicit-def: $vgpr48_vgpr49
.LBB6_9566:
	s_and_not1_saveexec_b32 s12, s15
	s_cbranch_execnz .LBB6_9567
; %bb.13139:
	s_getpc_b64 s[34:35]
.Lpost_getpc219:
	s_add_u32 s34, s34, (.LBB6_12634-.Lpost_getpc219)&4294967295
	s_addc_u32 s35, s35, (.LBB6_12634-.Lpost_getpc219)>>32
	s_setpc_b64 s[34:35]
.LBB6_9567:
	v_mov_b32_e32 v38, 0
	v_mov_b32_e32 v39, 0
	s_mov_b32 s15, exec_lo
	v_cmpx_ne_u64_e32 0, v[4:5]
	s_cbranch_execnz .LBB6_9568
; %bb.13141:
	s_getpc_b64 s[34:35]
.Lpost_getpc220:
	s_add_u32 s34, s34, (.LBB6_12633-.Lpost_getpc220)&4294967295
	s_addc_u32 s35, s35, (.LBB6_12633-.Lpost_getpc220)>>32
	s_setpc_b64 s[34:35]
.LBB6_9568:
	v_cmp_ge_i32_e64 s1, v0, v1
	s_cbranch_execz .LBB6_9569
; %bb.13143:
	s_getpc_b64 s[34:35]
.Lpost_getpc221:
	s_add_u32 s34, s34, (.LBB6_12663-.Lpost_getpc221)&4294967295
	s_addc_u32 s35, s35, (.LBB6_12663-.Lpost_getpc221)>>32
	s_setpc_b64 s[34:35]
.LBB6_9569:
	v_ashrrev_i32_e32 v10, 31, v0
	v_lshrrev_b32_e32 v25, 5, v1
	v_dual_mov_b32 v16, 0 :: v_dual_and_b32 v11, 31, v31
	s_ashr_i32 s4, s14, 31
	s_delay_alu instid0(VALU_DEP_3)
	v_lshrrev_b32_e32 v10, 27, v10
	s_lshr_b32 s4, s4, 24
	v_and_b32_e32 v69, 0xffffffe0, v1
	s_add_i32 s14, s14, s4
	v_cmp_eq_u32_e64 s4, 0, v11
	v_dual_mov_b32 v15, 0 :: v_dual_add_nc_u32 v10, v0, v10
	v_lshl_add_u32 v11, v25, 10, 0xfffffc00
	v_cmp_eq_u32_e32 vcc_lo, 32, v1
	v_cmp_ne_u32_e64 s2, 32, v1
	s_delay_alu instid0(VALU_DEP_4) | instskip(SKIP_3) | instid1(VALU_DEP_4)
	v_dual_mov_b32 v17, 0 :: v_dual_and_b32 v12, 0xffffffe0, v10
	v_lshlrev_b32_e32 v53, 9, v25
	v_ashrrev_i32_e32 v52, 5, v10
	v_lshl_add_u32 v10, v25, 12, 0xfffff000
	v_sub_nc_u32_e32 v54, v0, v12
	v_dual_mov_b32 v39, v17 :: v_dual_mov_b32 v38, v16
	v_add_nc_u32_e32 v14, 0xfffffe00, v53
	s_delay_alu instid0(VALU_DEP_4) | instskip(SKIP_2) | instid1(VALU_DEP_4)
	v_ashrrev_i32_e32 v13, 31, v10
	v_add_co_u32 v64, s5, 0x1000, v10
	v_dual_mov_b32 v23, 1 :: v_dual_lshlrev_b32 v12, 12, v52
	v_ashrrev_i32_e32 v10, 31, v14
	v_add_co_u32 v67, s7, 0x200, v14
	s_delay_alu instid0(VALU_DEP_3) | instskip(SKIP_1) | instid1(VALU_DEP_4)
	v_lshl_add_u32 v55, v54, 4, v12
	v_add_co_ci_u32_e64 v65, s5, 0, v13, s5
	v_add_co_ci_u32_e64 v68, s7, 0, v10, s7
	v_ashrrev_i32_e32 v10, 31, v11
	v_add_co_u32 v70, s7, 0x400, v11
	v_cmp_ne_u32_e64 s3, v80, v1
	v_cmp_gt_i32_e64 s5, 1, v54
	s_delay_alu instid0(VALU_DEP_4)
	v_add_co_ci_u32_e64 v71, s7, 0, v10, s7
	s_waitcnt lgkmcnt(2)
	v_cmp_ne_u64_e64 s7, 0, v[50:51]
	v_cmp_lt_i32_e64 s6, v54, v22
	v_ashrrev_i32_e32 v21, 31, v55
	v_ashrrev_i32_e32 v22, 31, v69
	s_ashr_i32 s16, s14, 8
	s_mov_b32 s14, 0
	s_xor_b32 s17, vcc_lo, -1
.LBB6_9570:                             ; =>This Loop Header: Depth=1
                                        ;     Child Loop BB6_9580 Depth 2
                                        ;     Child Loop BB6_9607 Depth 2
	;; [unrolled: 1-line block ×10, first 2 shown]
	v_sub_co_u32 v10, vcc_lo, v4, v16
	v_sub_co_ci_u32_e32 v11, vcc_lo, v5, v17, vcc_lo
	v_mov_b32_e32 v12, 0
	s_delay_alu instid0(VALU_DEP_2) | instskip(SKIP_2) | instid1(VALU_DEP_2)
	v_cmp_lt_u64_e32 vcc_lo, v[48:49], v[10:11]
	v_cndmask_b32_e32 v18, v10, v48, vcc_lo
	v_cndmask_b32_e64 v19, v11, 0, vcc_lo
	v_add_nc_u32_e32 v10, 15, v18
	s_delay_alu instid0(VALU_DEP_2) | instskip(NEXT) | instid1(VALU_DEP_2)
	v_cmp_eq_u64_e32 vcc_lo, 0, v[18:19]
	v_and_b32_e32 v10, 0x7ffffff0, v10
	s_or_b32 s18, s1, vcc_lo
	s_delay_alu instid0(SALU_CYCLE_1) | instskip(NEXT) | instid1(VALU_DEP_1)
	s_xor_b32 s10, s18, -1
	v_max_i32_e32 v14, s16, v10
	s_and_saveexec_b32 s19, s10
	s_cbranch_execnz .LBB6_9571
; %bb.13145:                            ;   in Loop: Header=BB6_9570 Depth=1
	s_getpc_b64 s[34:35]
.Lpost_getpc222:
	s_add_u32 s34, s34, (.LBB6_12576-.Lpost_getpc222)&4294967295
	s_addc_u32 s35, s35, (.LBB6_12576-.Lpost_getpc222)>>32
	s_setpc_b64 s[34:35]
.LBB6_9571:                             ;   in Loop: Header=BB6_9570 Depth=1
	s_and_saveexec_b32 s10, s0
	s_cbranch_execz .LBB6_9574
; %bb.9572:                             ;   in Loop: Header=BB6_9570 Depth=1
	s_cbranch_execz .LBB6_9573
; %bb.13147:
	s_getpc_b64 s[34:35]
.Lpost_getpc223:
	s_add_u32 s34, s34, (.LBB6_12704-.Lpost_getpc223)&4294967295
	s_addc_u32 s35, s35, (.LBB6_12704-.Lpost_getpc223)>>32
	s_setpc_b64 s[34:35]
.LBB6_9573:                             ;   in Loop: Header=BB6_9570 Depth=1
	ds_load_b64 v[10:11], v0
	s_waitcnt lgkmcnt(0)
	v_add_co_u32 v12, vcc_lo, v10, v26
	v_add_co_ci_u32_e32 v11, vcc_lo, v11, v27, vcc_lo
	v_mov_b32_e32 v10, v15
	s_delay_alu instid0(VALU_DEP_3) | instskip(NEXT) | instid1(VALU_DEP_3)
	v_add_co_u32 v12, vcc_lo, v12, v16
	v_add_co_ci_u32_e32 v13, vcc_lo, v11, v17, vcc_lo
	v_mov_b32_e32 v11, v15
	ds_store_b64 v0, v[12:13]
	ds_store_b64 v0, v[10:11]
.LBB6_9574:                             ;   in Loop: Header=BB6_9570 Depth=1
	s_or_b32 exec_lo, exec_lo, s10
	v_and_b32_e32 v10, 8, v30
	s_mov_b32 s11, -1
	s_mov_b32 s10, exec_lo
	s_delay_alu instid0(VALU_DEP_1)
	v_cmpx_ne_u32_e32 0, v10
	s_cbranch_execz .LBB6_9588
; %bb.9575:                             ;   in Loop: Header=BB6_9570 Depth=1
	v_add_co_u32 v12, vcc_lo, v36, 8
	v_add_co_ci_u32_e32 v13, vcc_lo, 0, v37, vcc_lo
	s_waitcnt lgkmcnt(0)
	v_add_co_u32 v10, vcc_lo, v8, 1
	v_add_co_ci_u32_e32 v11, vcc_lo, 0, v9, vcc_lo
	s_delay_alu instid0(VALU_DEP_1)
	v_cmp_lt_u64_e32 vcc_lo, v[12:13], v[10:11]
	v_mov_b32_e32 v12, 1
	s_and_saveexec_b32 s11, vcc_lo
	s_cbranch_execz .LBB6_9587
; %bb.9576:                             ;   in Loop: Header=BB6_9570 Depth=1
	v_mov_b32_e32 v12, 0
	s_mov_b32 s20, 0
                                        ; implicit-def: $sgpr21
	s_branch .LBB6_9580
.LBB6_9577:                             ;   in Loop: Header=BB6_9580 Depth=2
	s_or_b32 exec_lo, exec_lo, s25
	v_mov_b32_e32 v13, 0
	s_or_not1_b32 s24, s24, exec_lo
.LBB6_9578:                             ;   in Loop: Header=BB6_9580 Depth=2
	s_or_b32 exec_lo, exec_lo, s23
	s_delay_alu instid0(VALU_DEP_1) | instskip(SKIP_2) | instid1(SALU_CYCLE_1)
	v_mov_b32_e32 v12, v13
	s_and_not1_b32 s21, s21, exec_lo
	s_and_b32 s23, s24, exec_lo
	s_or_b32 s21, s21, s23
.LBB6_9579:                             ;   in Loop: Header=BB6_9580 Depth=2
	s_or_b32 exec_lo, exec_lo, s22
	s_waitcnt vmcnt(0) lgkmcnt(0)
	v_add_co_u32 v19, vcc_lo, v36, 8
	v_add_co_ci_u32_e32 v20, vcc_lo, 0, v37, vcc_lo
	s_xor_b32 s22, s21, -1
	s_delay_alu instid0(VALU_DEP_1) | instskip(SKIP_1) | instid1(SALU_CYCLE_1)
	v_cmp_ge_u64_e32 vcc_lo, v[19:20], v[10:11]
	s_or_b32 s22, s22, vcc_lo
	s_and_b32 s22, exec_lo, s22
	s_delay_alu instid0(SALU_CYCLE_1) | instskip(NEXT) | instid1(SALU_CYCLE_1)
	s_or_b32 s20, s22, s20
	s_and_not1_b32 exec_lo, exec_lo, s20
	s_cbranch_execz .LBB6_9586
.LBB6_9580:                             ;   Parent Loop BB6_9570 Depth=1
                                        ; =>  This Inner Loop Header: Depth=2
	s_sleep 1
	flat_load_b64 v[36:37], v[32:33] glc
	v_and_b32_e32 v13, 64, v30
	s_and_not1_b32 s21, s21, exec_lo
	s_mov_b32 s22, exec_lo
	s_delay_alu instid0(VALU_DEP_1)
	v_cmpx_eq_u32_e32 0, v13
	s_cbranch_execz .LBB6_9579
; %bb.9581:                             ;   in Loop: Header=BB6_9580 Depth=2
	v_add_nc_u32_e32 v13, 1, v12
	s_mov_b32 s24, -1
	s_mov_b32 s23, exec_lo
	v_cmpx_lt_i32_e32 0x270e, v12
	s_cbranch_execz .LBB6_9578
; %bb.9582:                             ;   in Loop: Header=BB6_9580 Depth=2
	s_cbranch_execz .LBB6_9583
; %bb.13149:
	s_getpc_b64 s[34:35]
.Lpost_getpc224:
	s_add_u32 s34, s34, (.LBB6_12710-.Lpost_getpc224)&4294967295
	s_addc_u32 s35, s35, (.LBB6_12710-.Lpost_getpc224)>>32
	s_setpc_b64 s[34:35]
.LBB6_9583:                             ;   in Loop: Header=BB6_9580 Depth=2
	ds_load_b64 v[12:13], v0
	s_mov_b32 s25, exec_lo
	s_waitcnt vmcnt(0) lgkmcnt(0)
	s_waitcnt_vscnt null, 0x0
	flat_load_b32 v12, v[12:13] glc
	s_waitcnt vmcnt(0) lgkmcnt(0)
	buffer_gl1_inv
	buffer_gl0_inv
	v_cmpx_ne_u32_e32 0, v12
	s_cbranch_execz .LBB6_9577
; %bb.9584:                             ;   in Loop: Header=BB6_9580 Depth=2
	ds_store_b32 v0, v12
	s_cbranch_execz .LBB6_9585
; %bb.13151:
	s_getpc_b64 s[34:35]
.Lpost_getpc225:
	s_add_u32 s34, s34, (.LBB6_12753-.Lpost_getpc225)&4294967295
	s_addc_u32 s35, s35, (.LBB6_12753-.Lpost_getpc225)>>32
	s_setpc_b64 s[34:35]
.LBB6_9585:                             ;   in Loop: Header=BB6_9580 Depth=2
	v_or_b32_e32 v30, 64, v30
	s_xor_b32 s24, exec_lo, -1
	s_branch .LBB6_9577
.LBB6_9586:                             ;   in Loop: Header=BB6_9570 Depth=1
	s_or_b32 exec_lo, exec_lo, s20
	v_and_b32_e32 v12, 8, v30
.LBB6_9587:                             ;   in Loop: Header=BB6_9570 Depth=1
	s_or_b32 exec_lo, exec_lo, s11
	s_delay_alu instid0(VALU_DEP_1)
	v_cmp_eq_u32_e32 vcc_lo, 0, v12
	;;#ASMSTART
	s_wakeup
	;;#ASMEND
	s_or_not1_b32 s11, vcc_lo, exec_lo
.LBB6_9588:                             ;   in Loop: Header=BB6_9570 Depth=1
	s_or_b32 exec_lo, exec_lo, s10
	v_min_u32_e32 v14, v14, v18
	s_xor_b32 s10, s11, -1
	s_delay_alu instid0(SALU_CYCLE_1)
	s_and_saveexec_b32 s11, s10
	s_cbranch_execz .LBB6_9598
; %bb.9589:                             ;   in Loop: Header=BB6_9570 Depth=1
	v_and_b32_e32 v10, 0x100, v30
	s_waitcnt lgkmcnt(0)
	v_and_b32_e32 v19, 7, v8
	s_mov_b32 s10, -1
	s_delay_alu instid0(VALU_DEP_2)
	v_cmp_ne_u32_e32 vcc_lo, 0, v10
                                        ; implicit-def: $vgpr10_vgpr11
	s_and_saveexec_b32 s20, vcc_lo
	s_cbranch_execz .LBB6_9593
; %bb.9590:                             ;   in Loop: Header=BB6_9570 Depth=1
	v_mad_u64_u32 v[12:13], null, v19, 24, v[6:7]
	flat_load_b32 v10, v[12:13]
	flat_store_b64 v[12:13], v[14:15] offset:8
	s_waitcnt vmcnt(0) lgkmcnt(1)
	v_cmp_ne_u32_e32 vcc_lo, 1, v10
	v_cmp_eq_u32_e64 s10, 1, v10
                                        ; implicit-def: $vgpr10_vgpr11
	s_delay_alu instid0(VALU_DEP_1)
	s_and_saveexec_b32 s21, s10
	s_cbranch_execz .LBB6_9592
; %bb.9591:                             ;   in Loop: Header=BB6_9570 Depth=1
	flat_load_b32 v10, v[12:13] offset:4 glc
	s_waitcnt vmcnt(0) lgkmcnt(0)
	v_ashrrev_i32_e32 v11, 31, v10
.LBB6_9592:                             ;   in Loop: Header=BB6_9570 Depth=1
	s_or_b32 exec_lo, exec_lo, s21
	s_delay_alu instid0(SALU_CYCLE_1)
	s_or_not1_b32 s10, vcc_lo, exec_lo
.LBB6_9593:                             ;   in Loop: Header=BB6_9570 Depth=1
	s_or_b32 exec_lo, exec_lo, s20
	s_and_saveexec_b32 s20, s10
; %bb.9594:                             ;   in Loop: Header=BB6_9570 Depth=1
	v_mad_i64_i32 v[10:11], null, v19, v81, 0
; %bb.9595:                             ;   in Loop: Header=BB6_9570 Depth=1
	s_or_b32 exec_lo, exec_lo, s20
	s_delay_alu instid0(VALU_DEP_1) | instskip(SKIP_1) | instid1(VALU_DEP_3)
	v_add_co_u32 v10, vcc_lo, v34, v10
	v_and_b32_e32 v12, 0x2000, v30
	v_add_co_ci_u32_e32 v11, vcc_lo, v35, v11, vcc_lo
	s_mov_b32 s10, exec_lo
	ds_store_b64 v0, v[10:11] offset:784
	v_cmpx_ne_u32_e32 0, v12
	s_cbranch_execz .LBB6_9597
; %bb.9596:                             ;   in Loop: Header=BB6_9570 Depth=1
	ds_load_b64 v[10:11], v0 offset:584
	s_waitcnt lgkmcnt(0)
	v_add_co_u32 v10, vcc_lo, v10, 1
	v_add_co_ci_u32_e32 v11, vcc_lo, 0, v11, vcc_lo
	ds_store_b64 v0, v[10:11] offset:584
.LBB6_9597:                             ;   in Loop: Header=BB6_9570 Depth=1
	s_or_b32 exec_lo, exec_lo, s10
	v_add_co_u32 v8, vcc_lo, v8, 1
	v_add_co_ci_u32_e32 v9, vcc_lo, 0, v9, vcc_lo
.LBB6_9598:                             ;   in Loop: Header=BB6_9570 Depth=1
	s_or_b32 exec_lo, exec_lo, s11
	s_and_saveexec_b32 s10, s2
	s_cbranch_execz .LBB6_9620
; %bb.9599:                             ;   in Loop: Header=BB6_9570 Depth=1
	s_and_saveexec_b32 s11, s3
	s_delay_alu instid0(SALU_CYCLE_1)
	s_xor_b32 s11, exec_lo, s11
	s_cbranch_execz .LBB6_9617
; %bb.9600:                             ;   in Loop: Header=BB6_9570 Depth=1
	s_and_saveexec_b32 s20, s4
	s_cbranch_execz .LBB6_9616
; %bb.9601:                             ;   in Loop: Header=BB6_9570 Depth=1
	s_mov_b32 s22, exec_lo
	v_mov_b32_e32 v12, 1
	v_mbcnt_lo_u32_b32 v10, s22, 0
	s_mov_b32 s21, exec_lo
	s_waitcnt lgkmcnt(0)
	s_waitcnt_vscnt null, 0x0
	buffer_gl1_inv
	buffer_gl0_inv
	v_cmpx_eq_u32_e32 0, v10
	s_cbranch_execz .LBB6_9603
; %bb.9602:                             ;   in Loop: Header=BB6_9570 Depth=1
	s_bcnt1_i32_b32 s22, s22
	s_delay_alu instid0(SALU_CYCLE_1)
	v_dual_mov_b32 v11, v15 :: v_dual_mov_b32 v10, s22
	ds_add_u64 v0, v[10:11]
	s_cbranch_execz .LBB6_9603
; %bb.13153:
	s_getpc_b64 s[34:35]
.Lpost_getpc226:
	s_add_u32 s34, s34, (.LBB6_12765-.Lpost_getpc226)&4294967295
	s_addc_u32 s35, s35, (.LBB6_12765-.Lpost_getpc226)>>32
	s_setpc_b64 s[34:35]
.LBB6_9603:                             ;   in Loop: Header=BB6_9570 Depth=1
	s_or_b32 exec_lo, exec_lo, s21
	s_cbranch_execz .LBB6_9604
; %bb.13155:
	s_getpc_b64 s[34:35]
.Lpost_getpc227:
	s_add_u32 s34, s34, (.LBB6_12755-.Lpost_getpc227)&4294967295
	s_addc_u32 s35, s35, (.LBB6_12755-.Lpost_getpc227)>>32
	s_setpc_b64 s[34:35]
.LBB6_9604:                             ;   in Loop: Header=BB6_9570 Depth=1
	ds_load_b64 v[10:11], v0
	v_add_co_u32 v38, vcc_lo, v38, v25
	v_add_co_ci_u32_e32 v39, vcc_lo, 0, v39, vcc_lo
	s_mov_b32 s21, exec_lo
	s_waitcnt lgkmcnt(0)
	s_delay_alu instid0(VALU_DEP_1)
	v_cmpx_lt_u64_e64 v[10:11], v[38:39]
	s_cbranch_execz .LBB6_9615
; %bb.9605:                             ;   in Loop: Header=BB6_9570 Depth=1
	s_mov_b32 s22, 0
	s_mov_b32 s25, 0
                                        ; implicit-def: $sgpr23
                                        ; implicit-def: $sgpr24
	s_branch .LBB6_9607
.LBB6_9606:                             ;   in Loop: Header=BB6_9607 Depth=2
	s_or_b32 exec_lo, exec_lo, s28
	s_delay_alu instid0(SALU_CYCLE_1) | instskip(NEXT) | instid1(SALU_CYCLE_1)
	s_and_b32 s26, exec_lo, s27
	s_or_b32 s22, s26, s22
	s_and_not1_b32 s23, s23, exec_lo
	s_and_b32 s26, s24, exec_lo
	s_delay_alu instid0(SALU_CYCLE_1)
	s_or_b32 s23, s23, s26
	s_and_not1_b32 exec_lo, exec_lo, s22
	s_cbranch_execz .LBB6_9613
.LBB6_9607:                             ;   Parent Loop BB6_9570 Depth=1
                                        ; =>  This Inner Loop Header: Depth=2
	s_add_i32 s25, s25, 1
                                        ; implicit-def: $sgpr27
	s_delay_alu instid0(SALU_CYCLE_1) | instskip(SKIP_1) | instid1(SALU_CYCLE_1)
	s_cmpk_lg_i32 s25, 0x2710
	s_cselect_b32 s26, -1, 0
	s_and_b32 vcc_lo, exec_lo, s26
	s_cbranch_vccz .LBB6_9611
.LBB6_9608:                             ;   in Loop: Header=BB6_9607 Depth=2
	s_and_not1_b32 s24, s24, exec_lo
	s_and_b32 s28, s27, exec_lo
	s_mov_b32 s27, -1
	s_or_b32 s24, s24, s28
	s_and_saveexec_b32 s28, s26
	s_cbranch_execz .LBB6_9606
; %bb.9609:                             ;   in Loop: Header=BB6_9607 Depth=2
	s_sleep 1
	s_cbranch_execz .LBB6_9610
; %bb.13157:
	s_getpc_b64 s[34:35]
.Lpost_getpc228:
	s_add_u32 s34, s34, (.LBB6_12793-.Lpost_getpc228)&4294967295
	s_addc_u32 s35, s35, (.LBB6_12793-.Lpost_getpc228)>>32
	s_setpc_b64 s[34:35]
.LBB6_9610:                             ;   in Loop: Header=BB6_9607 Depth=2
	ds_load_b64 v[10:11], v0
	s_and_not1_b32 s24, s24, exec_lo
	s_waitcnt lgkmcnt(0)
	v_cmp_ge_u64_e32 vcc_lo, v[10:11], v[38:39]
	s_or_not1_b32 s27, vcc_lo, exec_lo
	s_branch .LBB6_9606
.LBB6_9611:                             ;   in Loop: Header=BB6_9607 Depth=2
	s_cbranch_execz .LBB6_9612
; %bb.13159:
	s_getpc_b64 s[34:35]
.Lpost_getpc229:
	s_add_u32 s34, s34, (.LBB6_12805-.Lpost_getpc229)&4294967295
	s_addc_u32 s35, s35, (.LBB6_12805-.Lpost_getpc229)>>32
	s_setpc_b64 s[34:35]
.LBB6_9612:                             ;   in Loop: Header=BB6_9607 Depth=2
	ds_load_b64 v[10:11], v0
	s_and_not1_b32 s26, s26, exec_lo
	s_mov_b32 s25, 0
	s_mov_b32 s27, -1
	s_waitcnt lgkmcnt(0)
	flat_load_b32 v10, v[10:11] glc
	s_waitcnt vmcnt(0) lgkmcnt(0)
	buffer_gl1_inv
	buffer_gl0_inv
	v_cmp_eq_u32_e32 vcc_lo, 0, v10
	s_and_b32 s28, vcc_lo, exec_lo
	s_delay_alu instid0(SALU_CYCLE_1)
	s_or_b32 s26, s26, s28
	s_branch .LBB6_9608
.LBB6_9613:                             ;   in Loop: Header=BB6_9570 Depth=1
	s_or_b32 exec_lo, exec_lo, s22
	s_and_saveexec_b32 s22, s23
	s_delay_alu instid0(SALU_CYCLE_1)
	s_xor_b32 s22, exec_lo, s22
	s_cbranch_execz .LBB6_9615
; %bb.9614:                             ;   in Loop: Header=BB6_9570 Depth=1
	ds_store_b32 v0, v12
	s_cbranch_execz .LBB6_9615
; %bb.13161:
	s_getpc_b64 s[34:35]
.Lpost_getpc230:
	s_add_u32 s34, s34, (.LBB6_12913-.Lpost_getpc230)&4294967295
	s_addc_u32 s35, s35, (.LBB6_12913-.Lpost_getpc230)>>32
	s_setpc_b64 s[34:35]
.LBB6_9615:                             ;   in Loop: Header=BB6_9570 Depth=1
	s_or_b32 exec_lo, exec_lo, s21
	;;#ASMSTART
	s_wakeup
	;;#ASMEND
.LBB6_9616:                             ;   in Loop: Header=BB6_9570 Depth=1
	s_or_b32 exec_lo, exec_lo, s20
.LBB6_9617:                             ;   in Loop: Header=BB6_9570 Depth=1
	s_and_not1_saveexec_b32 s11, s11
	s_cbranch_execz .LBB6_9619
; %bb.9618:                             ;   in Loop: Header=BB6_9570 Depth=1
	s_waitcnt lgkmcnt(0)
	s_waitcnt_vscnt null, 0x0
	buffer_gl1_inv
	buffer_gl0_inv
	s_barrier
.LBB6_9619:                             ;   in Loop: Header=BB6_9570 Depth=1
	s_or_b32 exec_lo, exec_lo, s11
.LBB6_9620:                             ;   in Loop: Header=BB6_9570 Depth=1
	s_delay_alu instid0(SALU_CYCLE_1)
	s_or_b32 exec_lo, exec_lo, s10
	s_cbranch_execz .LBB6_9621
; %bb.13163:
	s_getpc_b64 s[34:35]
.Lpost_getpc231:
	s_add_u32 s34, s34, (.LBB6_12702-.Lpost_getpc231)&4294967295
	s_addc_u32 s35, s35, (.LBB6_12702-.Lpost_getpc231)>>32
	s_setpc_b64 s[34:35]
.LBB6_9621:                             ;   in Loop: Header=BB6_9570 Depth=1
	ds_load_b32 v10, v0
	v_and_b32_e32 v11, 0x4000, v30
	s_delay_alu instid0(VALU_DEP_1) | instskip(SKIP_1) | instid1(SALU_CYCLE_1)
	v_cmp_ne_u32_e32 vcc_lo, 0, v11
	s_and_b32 s11, s17, vcc_lo
	s_and_saveexec_b32 s10, s11
	s_cbranch_execz .LBB6_9643
; %bb.9622:                             ;   in Loop: Header=BB6_9570 Depth=1
	s_and_saveexec_b32 s11, s3
	s_delay_alu instid0(SALU_CYCLE_1)
	s_xor_b32 s11, exec_lo, s11
	s_cbranch_execz .LBB6_9640
; %bb.9623:                             ;   in Loop: Header=BB6_9570 Depth=1
	v_mov_b32_e32 v13, 1
	s_and_saveexec_b32 s20, s4
	s_cbranch_execz .LBB6_9639
; %bb.9624:                             ;   in Loop: Header=BB6_9570 Depth=1
	s_mov_b32 s22, exec_lo
	s_mov_b32 s21, exec_lo
	v_mbcnt_lo_u32_b32 v11, s22, 0
	s_waitcnt lgkmcnt(0)
	s_waitcnt_vscnt null, 0x0
	buffer_gl1_inv
	buffer_gl0_inv
	v_cmpx_eq_u32_e32 0, v11
	s_cbranch_execz .LBB6_9626
; %bb.9625:                             ;   in Loop: Header=BB6_9570 Depth=1
	s_bcnt1_i32_b32 s22, s22
	s_delay_alu instid0(SALU_CYCLE_1)
	v_dual_mov_b32 v12, v15 :: v_dual_mov_b32 v11, s22
	ds_add_u64 v0, v[11:12]
	s_cbranch_execz .LBB6_9626
; %bb.13165:
	s_getpc_b64 s[34:35]
.Lpost_getpc232:
	s_add_u32 s34, s34, (.LBB6_12791-.Lpost_getpc232)&4294967295
	s_addc_u32 s35, s35, (.LBB6_12791-.Lpost_getpc232)>>32
	s_setpc_b64 s[34:35]
.LBB6_9626:                             ;   in Loop: Header=BB6_9570 Depth=1
	s_or_b32 exec_lo, exec_lo, s21
	s_cbranch_execz .LBB6_9627
; %bb.13167:
	s_getpc_b64 s[34:35]
.Lpost_getpc233:
	s_add_u32 s34, s34, (.LBB6_12779-.Lpost_getpc233)&4294967295
	s_addc_u32 s35, s35, (.LBB6_12779-.Lpost_getpc233)>>32
	s_setpc_b64 s[34:35]
.LBB6_9627:                             ;   in Loop: Header=BB6_9570 Depth=1
	ds_load_b64 v[11:12], v0
	v_add_co_u32 v38, vcc_lo, v38, v25
	v_add_co_ci_u32_e32 v39, vcc_lo, 0, v39, vcc_lo
	s_mov_b32 s21, exec_lo
	s_waitcnt lgkmcnt(0)
	s_delay_alu instid0(VALU_DEP_1)
	v_cmpx_lt_u64_e64 v[11:12], v[38:39]
	s_cbranch_execz .LBB6_9638
; %bb.9628:                             ;   in Loop: Header=BB6_9570 Depth=1
	s_mov_b32 s22, 0
	s_mov_b32 s25, 0
                                        ; implicit-def: $sgpr23
                                        ; implicit-def: $sgpr24
	s_branch .LBB6_9630
.LBB6_9629:                             ;   in Loop: Header=BB6_9630 Depth=2
	s_or_b32 exec_lo, exec_lo, s28
	s_delay_alu instid0(SALU_CYCLE_1) | instskip(NEXT) | instid1(SALU_CYCLE_1)
	s_and_b32 s26, exec_lo, s27
	s_or_b32 s22, s26, s22
	s_and_not1_b32 s23, s23, exec_lo
	s_and_b32 s26, s24, exec_lo
	s_delay_alu instid0(SALU_CYCLE_1)
	s_or_b32 s23, s23, s26
	s_and_not1_b32 exec_lo, exec_lo, s22
	s_cbranch_execz .LBB6_9636
.LBB6_9630:                             ;   Parent Loop BB6_9570 Depth=1
                                        ; =>  This Inner Loop Header: Depth=2
	s_add_i32 s25, s25, 1
                                        ; implicit-def: $sgpr27
	s_delay_alu instid0(SALU_CYCLE_1) | instskip(SKIP_1) | instid1(SALU_CYCLE_1)
	s_cmpk_lg_i32 s25, 0x2710
	s_cselect_b32 s26, -1, 0
	s_and_b32 vcc_lo, exec_lo, s26
	s_cbranch_vccz .LBB6_9634
.LBB6_9631:                             ;   in Loop: Header=BB6_9630 Depth=2
	s_and_not1_b32 s24, s24, exec_lo
	s_and_b32 s28, s27, exec_lo
	s_mov_b32 s27, -1
	s_or_b32 s24, s24, s28
	s_and_saveexec_b32 s28, s26
	s_cbranch_execz .LBB6_9629
; %bb.9632:                             ;   in Loop: Header=BB6_9630 Depth=2
	s_sleep 1
	s_cbranch_execz .LBB6_9633
; %bb.13169:
	s_getpc_b64 s[34:35]
.Lpost_getpc234:
	s_add_u32 s34, s34, (.LBB6_12825-.Lpost_getpc234)&4294967295
	s_addc_u32 s35, s35, (.LBB6_12825-.Lpost_getpc234)>>32
	s_setpc_b64 s[34:35]
.LBB6_9633:                             ;   in Loop: Header=BB6_9630 Depth=2
	ds_load_b64 v[11:12], v0
	s_and_not1_b32 s24, s24, exec_lo
	s_waitcnt lgkmcnt(0)
	v_cmp_ge_u64_e32 vcc_lo, v[11:12], v[38:39]
	s_or_not1_b32 s27, vcc_lo, exec_lo
	s_branch .LBB6_9629
.LBB6_9634:                             ;   in Loop: Header=BB6_9630 Depth=2
	s_cbranch_execz .LBB6_9635
; %bb.13171:
	s_getpc_b64 s[34:35]
.Lpost_getpc235:
	s_add_u32 s34, s34, (.LBB6_12843-.Lpost_getpc235)&4294967295
	s_addc_u32 s35, s35, (.LBB6_12843-.Lpost_getpc235)>>32
	s_setpc_b64 s[34:35]
.LBB6_9635:                             ;   in Loop: Header=BB6_9630 Depth=2
	ds_load_b64 v[11:12], v0
	s_and_not1_b32 s26, s26, exec_lo
	s_mov_b32 s25, 0
	s_mov_b32 s27, -1
	s_waitcnt lgkmcnt(0)
	flat_load_b32 v11, v[11:12] glc
	s_waitcnt vmcnt(0) lgkmcnt(0)
	buffer_gl1_inv
	buffer_gl0_inv
	v_cmp_eq_u32_e32 vcc_lo, 0, v11
	s_and_b32 s28, vcc_lo, exec_lo
	s_delay_alu instid0(SALU_CYCLE_1)
	s_or_b32 s26, s26, s28
	s_branch .LBB6_9631
.LBB6_9636:                             ;   in Loop: Header=BB6_9570 Depth=1
	s_or_b32 exec_lo, exec_lo, s22
	s_and_saveexec_b32 s22, s23
	s_delay_alu instid0(SALU_CYCLE_1)
	s_xor_b32 s22, exec_lo, s22
	s_cbranch_execz .LBB6_9638
; %bb.9637:                             ;   in Loop: Header=BB6_9570 Depth=1
	ds_store_b32 v0, v13
	s_cbranch_execz .LBB6_9638
; %bb.13173:
	s_getpc_b64 s[34:35]
.Lpost_getpc236:
	s_add_u32 s34, s34, (.LBB6_12921-.Lpost_getpc236)&4294967295
	s_addc_u32 s35, s35, (.LBB6_12921-.Lpost_getpc236)>>32
	s_setpc_b64 s[34:35]
.LBB6_9638:                             ;   in Loop: Header=BB6_9570 Depth=1
	s_or_b32 exec_lo, exec_lo, s21
	;;#ASMSTART
	s_wakeup
	;;#ASMEND
.LBB6_9639:                             ;   in Loop: Header=BB6_9570 Depth=1
	s_or_b32 exec_lo, exec_lo, s20
.LBB6_9640:                             ;   in Loop: Header=BB6_9570 Depth=1
	s_and_not1_saveexec_b32 s11, s11
	s_cbranch_execz .LBB6_9642
; %bb.9641:                             ;   in Loop: Header=BB6_9570 Depth=1
	s_waitcnt lgkmcnt(0)
	s_waitcnt_vscnt null, 0x0
	buffer_gl1_inv
	buffer_gl0_inv
	s_barrier
.LBB6_9642:                             ;   in Loop: Header=BB6_9570 Depth=1
	s_or_b32 exec_lo, exec_lo, s11
.LBB6_9643:                             ;   in Loop: Header=BB6_9570 Depth=1
	s_delay_alu instid0(SALU_CYCLE_1)
	s_or_b32 exec_lo, exec_lo, s10
	s_cbranch_execz .LBB6_9644
; %bb.13175:
	s_getpc_b64 s[34:35]
.Lpost_getpc237:
	s_add_u32 s34, s34, (.LBB6_12718-.Lpost_getpc237)&4294967295
	s_addc_u32 s35, s35, (.LBB6_12718-.Lpost_getpc237)>>32
	s_setpc_b64 s[34:35]
.LBB6_9644:                             ;   in Loop: Header=BB6_9570 Depth=1
	ds_load_b64 v[11:12], v0
	s_waitcnt lgkmcnt(0)
	v_cmp_eq_u64_e32 vcc_lo, 0, v[11:12]
	s_or_b32 s10, vcc_lo, vcc_lo
	s_delay_alu instid0(SALU_CYCLE_1)
	s_and_b32 vcc_lo, exec_lo, s10
	s_mov_b32 s10, 0
	s_cbranch_vccz .LBB6_9645
; %bb.13177:                            ;   in Loop: Header=BB6_9570 Depth=1
	s_getpc_b64 s[34:35]
.Lpost_getpc238:
	s_add_u32 s34, s34, (.LBB6_12547-.Lpost_getpc238)&4294967295
	s_addc_u32 s35, s35, (.LBB6_12547-.Lpost_getpc238)>>32
	s_setpc_b64 s[34:35]
.LBB6_9645:                             ;   in Loop: Header=BB6_9570 Depth=1
	s_mov_b32 s10, -1
	s_and_saveexec_b32 s11, s5
	s_cbranch_execz .LBB6_9647
; %bb.9646:                             ;   in Loop: Header=BB6_9570 Depth=1
	ds_load_b32 v11, v0 offset:720
	s_waitcnt lgkmcnt(0)
	v_and_b32_e32 v11, 15, v11
	s_delay_alu instid0(VALU_DEP_1)
	v_cmp_eq_u32_e32 vcc_lo, 0, v11
	s_or_not1_b32 s10, vcc_lo, exec_lo
.LBB6_9647:                             ;   in Loop: Header=BB6_9570 Depth=1
	s_or_b32 exec_lo, exec_lo, s11
	s_and_saveexec_b32 s11, s6
	s_cbranch_execz .LBB6_9649
; %bb.9648:                             ;   in Loop: Header=BB6_9570 Depth=1
	ds_load_b32 v11, v0 offset:784
	s_waitcnt lgkmcnt(0)
	v_and_b32_e32 v11, 15, v11
	s_delay_alu instid0(VALU_DEP_1) | instskip(SKIP_3) | instid1(SALU_CYCLE_1)
	v_cmp_eq_u32_e32 vcc_lo, 0, v11
	s_and_b32 s20, s10, vcc_lo
	s_and_not1_b32 s10, s10, exec_lo
	s_and_b32 s20, s20, exec_lo
	s_or_b32 s10, s10, s20
.LBB6_9649:                             ;   in Loop: Header=BB6_9570 Depth=1
	s_or_b32 exec_lo, exec_lo, s11
	v_cmp_eq_u32_e32 vcc_lo, 0, v10
	s_xor_b32 s10, s10, -1
	v_mov_b32_e32 v23, v0
	v_cndmask_b32_e64 v11, 0, 1, s10
	;;#ASMSTART
	;;#ASMEND
	v_dual_cndmask_b32 v21, 0, v14 :: v_dual_mov_b32 v22, 0
	s_delay_alu instid0(VALU_DEP_2)
	v_cmp_ne_u32_e32 vcc_lo, 0, v11
	v_mov_b32_e32 v12, v52
	s_mov_b32 s10, -1
	scratch_store_b32 off, v21, s33 offset:440 ; 4-byte Folded Spill
	s_cbranch_vccnz .LBB6_11987
; %bb.9650:                             ;   in Loop: Header=BB6_9570 Depth=1
	scratch_load_b32 v10, off, s33 offset:440 ; 4-byte Folded Reload
	s_mov_b32 s11, exec_lo
	s_waitcnt vmcnt(0)
	v_lshrrev_b32_e32 v10, 12, v10
	s_delay_alu instid0(VALU_DEP_1) | instskip(NEXT) | instid1(VALU_DEP_1)
	v_sub_nc_u32_e32 v85, v10, v52
	v_cmpx_lt_i32_e32 0, v85
	s_cbranch_execz .LBB6_11712
; %bb.9651:                             ;   in Loop: Header=BB6_9570 Depth=1
	s_cbranch_execz .LBB6_9652
; %bb.13179:
	s_getpc_b64 s[34:35]
.Lpost_getpc239:
	s_add_u32 s34, s34, (.LBB6_12809-.Lpost_getpc239)&4294967295
	s_addc_u32 s35, s35, (.LBB6_12809-.Lpost_getpc239)>>32
	s_setpc_b64 s[34:35]
.LBB6_9652:                             ;   in Loop: Header=BB6_9570 Depth=1
	ds_load_b64 v[19:20], v0
	s_waitcnt lgkmcnt(0)
	v_readfirstlane_b32 s10, v19
	v_mov_b32_e32 v22, v20
	v_dual_mov_b32 v21, v19 :: v_dual_and_b32 v10, 0xff, v19
	s_delay_alu instid0(VALU_DEP_3) | instskip(SKIP_4) | instid1(SALU_CYCLE_1)
	s_and_b32 s20, s10, 7
	s_bfe_u32 s23, s10, 0x40003
	s_clz_i32_u32 s21, s20
	scratch_store_b32 off, v10, s33 offset:372 ; 4-byte Folded Spill
	s_min_u32 s21, s21, 32
	s_sub_i32 s22, s21, 28
	s_sub_i32 s21, 29, s21
	s_lshl_b32 s22, s10, s22
	s_delay_alu instid0(SALU_CYCLE_1)
	s_and_b32 s22, s22, 7
	s_cmp_eq_u32 s23, 0
	s_cselect_b32 s21, s21, s23
	s_cselect_b32 s20, s22, s20
	s_lshl_b32 s10, s10, 24
	s_lshl_b32 s22, s20, 20
	;; [unrolled: 1-line block ×3, first 2 shown]
	s_and_b32 s10, s10, 0x80000000
	s_add_i32 s20, s20, 0x3b800000
	s_delay_alu instid0(SALU_CYCLE_1)
	s_or_b32 s10, s10, s20
	s_mov_b32 s20, 0
	s_or_b32 s21, s10, s22
	s_branch .LBB6_9656
.LBB6_9653:                             ;   in Loop: Header=BB6_9656 Depth=2
	s_or_b32 exec_lo, exec_lo, s10
	s_delay_alu instid0(VALU_DEP_1) | instskip(NEXT) | instid1(VALU_DEP_2)
	v_lshrrev_b32_e32 v13, 20, v111
	v_cmp_gt_i32_e32 vcc_lo, 16, v109
	v_min_i32_e32 v146, 15, v109
	v_lshrrev_b32_e32 v145, 24, v145
	v_dual_mov_b32 v171, v84 :: v_dual_mov_b32 v186, v106
	s_delay_alu instid0(VALU_DEP_3) | instskip(NEXT) | instid1(VALU_DEP_3)
	v_dual_cndmask_b32 v13, 7, v13 :: v_dual_lshlrev_b32 v146, 3, v146
	v_dual_mov_b32 v172, v41 :: v_dual_and_b32 v145, 0x80, v145
	s_delay_alu instid0(VALU_DEP_2) | instskip(SKIP_3) | instid1(VALU_DEP_3)
	v_dual_mov_b32 v174, v92 :: v_dual_and_b32 v147, 7, v13
	v_or_b32_e32 v13, v109, v13
	v_dual_mov_b32 v173, v40 :: v_dual_mov_b32 v188, v107
	v_dual_mov_b32 v175, v93 :: v_dual_mov_b32 v108, v158
	v_cmp_ne_u32_e32 vcc_lo, 0, v13
	v_dual_mov_b32 v185, v95 :: v_dual_and_b32 v146, 0xf8, v146
	v_dual_mov_b32 v190, v110 :: v_dual_mov_b32 v187, v104
	v_mov_b32_e32 v120, v87
	s_delay_alu instid0(VALU_DEP_3) | instskip(SKIP_2) | instid1(VALU_DEP_3)
	v_or3_b32 v145, v145, v146, v147
	v_dual_mov_b32 v189, v105 :: v_dual_mov_b32 v122, v82
	v_dual_mov_b32 v184, v94 :: v_dual_mov_b32 v109, v83
	v_dual_mov_b32 v126, v101 :: v_dual_lshlrev_b32 v145, 8, v145
	v_dual_mov_b32 v111, v86 :: v_dual_mov_b32 v124, v99
	v_dual_mov_b32 v121, v96 :: v_dual_mov_b32 v138, v103
	s_delay_alu instid0(VALU_DEP_3)
	v_cndmask_b32_e32 v13, 0, v145, vcc_lo
	v_dual_mov_b32 v123, v97 :: v_dual_mov_b32 v136, v112
	v_dual_mov_b32 v125, v100 :: v_dual_mov_b32 v142, v115
	;; [unrolled: 1-line block ×6, first 2 shown]
	v_mov_b32_e32 v143, v118
	v_mov_b32_e32 v153, v128
	;; [unrolled: 1-line block ×4, first 2 shown]
.LBB6_9654:                             ;   in Loop: Header=BB6_9656 Depth=2
	s_or_b32 exec_lo, exec_lo, s23
.LBB6_9655:                             ;   in Loop: Header=BB6_9656 Depth=2
	s_delay_alu instid0(SALU_CYCLE_1) | instskip(SKIP_1) | instid1(VALU_DEP_2)
	s_or_b32 exec_lo, exec_lo, s22
	v_or_b32_e32 v66, v141, v140
	v_or_b32_e32 v96, v157, v156
	v_and_b32_e32 v82, 0xff, v136
	v_lshlrev_b32_e32 v84, 8, v127
	v_lshlrev_b32_e32 v83, 24, v137
	;; [unrolled: 1-line block ×3, first 2 shown]
	v_and_b32_e32 v86, 0xff, v152
	v_lshlrev_b32_e32 v82, 16, v82
	v_perm_b32 v84, v84, v126, 0xc0c0500
	v_lshlrev_b32_e32 v87, 8, v143
	v_or3_b32 v100, v139, v138, v66
	v_lshlrev_b32_e32 v66, 16, v96
	v_or_b32_e32 v96, v109, v108
	v_or3_b32 v99, v83, v82, v84
	v_and_b32_e32 v82, 0xff, v187
	v_lshlrev_b32_e32 v83, 8, v185
	v_or3_b32 v102, v155, v154, v66
	v_lshlrev_b32_e32 v66, 16, v96
	v_or_b32_e32 v96, v125, v124
	v_lshlrev_b32_e32 v84, 24, v189
	v_lshlrev_b32_e32 v82, 16, v82
	v_perm_b32 v83, v83, v184, 0xc0c0500
	v_or3_b32 v113, v188, v186, v66
	v_lshlrev_b32_e32 v66, 16, v96
	v_or_b32_e32 v96, v78, v77
	v_lshlrev_b32_e32 v97, 24, v153
	v_or3_b32 v112, v84, v82, v83
	v_and_b32_e32 v82, 0xff, v73
	v_or3_b32 v115, v123, v122, v66
	v_lshlrev_b32_e32 v66, 16, v96
	v_or_b32_e32 v96, v175, v174
	v_lshlrev_b32_e32 v83, 8, v72
	v_lshlrev_b32_e32 v84, 24, v74
	;; [unrolled: 1-line block ×3, first 2 shown]
	v_or3_b32 v117, v76, v75, v66
	v_lshlrev_b32_e32 v66, 16, v96
	v_or_b32_e32 v96, v46, v45
	v_perm_b32 v83, v83, v63, 0xc0c0500
	v_lshlrev_b32_e32 v86, 16, v86
	v_perm_b32 v87, v87, v142, 0xc0c0500
	v_or3_b32 v119, v173, v91, v66
	v_lshlrev_b32_e32 v66, 16, v96
	v_or_b32_e32 v96, v62, v61
	v_or3_b32 v116, v84, v82, v83
	v_and_b32_e32 v82, 0xff, v172
	v_lshlrev_b32_e32 v83, 8, v171
	v_or3_b32 v129, v44, v43, v66
	v_lshlrev_b32_e32 v66, 16, v96
	v_or_b32_e32 v96, v166, v165
	v_lshlrev_b32_e32 v84, 24, v42
	v_lshlrev_b32_e32 v82, 16, v82
	v_perm_b32 v83, v83, v183, 0xc0c0500
	v_or3_b32 v131, v60, v59, v66
	v_lshlrev_b32_e32 v66, 16, v96
	v_or_b32_e32 v96, v182, v181
	v_or3_b32 v101, v97, v86, v87
	v_or3_b32 v128, v84, v82, v83
	v_and_b32_e32 v82, 0xff, v161
	v_or3_b32 v161, v164, v163, v66
	v_lshlrev_b32_e32 v66, 16, v96
	s_clause 0x1
	scratch_load_b32 v96, off, s33 offset:356
	scratch_load_b32 v103, off, s33 offset:424
	v_and_b32_e32 v86, 0xff, v120
	v_lshlrev_b32_e32 v87, 8, v111
	v_lshlrev_b32_e32 v97, 24, v121
	v_lshlrev_b32_e32 v83, 8, v160
	v_lshlrev_b32_e32 v84, 24, v162
	v_lshlrev_b32_e32 v86, 16, v86
	v_perm_b32 v87, v87, v190, 0xc0c0500
	v_lshlrev_b32_e32 v82, 16, v82
	v_perm_b32 v83, v83, v151, 0xc0c0500
	v_or3_b32 v163, v180, v179, v66
	v_lshlrev_b32_e32 v24, 8, v24
	v_or3_b32 v114, v97, v86, v87
	v_and_b32_e32 v86, 0xff, v89
	v_lshlrev_b32_e32 v87, 8, v88
	v_lshlrev_b32_e32 v97, 24, v90
	v_or3_b32 v160, v84, v82, v83
	s_clause 0x1
	scratch_load_b32 v83, off, s33 offset:412
	scratch_load_b32 v84, off, s33 offset:416
	v_lshlrev_b32_e32 v86, 16, v86
	v_perm_b32 v87, v87, v79, 0xc0c0500
	scratch_load_b32 v82, off, s33 offset:348 ; 4-byte Folded Reload
	v_or_b32_e32 v11, v11, v170
	v_or_b32_e32 v13, v13, v144
	v_sub_nc_u32_e32 v85, v85, v25
	v_or3_b32 v118, v97, v86, v87
	v_and_b32_e32 v86, 0xff, v57
	v_lshlrev_b32_e32 v87, 8, v56
	v_lshlrev_b32_e32 v97, 24, v58
	;; [unrolled: 1-line block ×5, first 2 shown]
	v_perm_b32 v87, v87, v47, 0xc0c0500
	v_lshlrev_b32_e32 v12, 24, v12
	v_lshlrev_b32_e32 v13, 16, v13
	v_or3_b32 v11, v169, v168, v11
	s_delay_alu instid0(VALU_DEP_4) | instskip(SKIP_4) | instid1(VALU_DEP_4)
	v_or3_b32 v130, v97, v86, v87
	v_and_b32_e32 v86, 0xff, v177
	v_lshlrev_b32_e32 v87, 8, v176
	v_lshlrev_b32_e32 v97, 24, v178
	v_or3_b32 v13, v135, v134, v13
	v_lshlrev_b32_e32 v86, 16, v86
	s_delay_alu instid0(VALU_DEP_4) | instskip(NEXT) | instid1(VALU_DEP_1)
	v_perm_b32 v87, v87, v167, 0xc0c0500
	v_or3_b32 v162, v97, v86, v87
	s_clause 0x2
	scratch_load_b32 v87, off, s33 offset:428
	scratch_load_b32 v97, off, s33 offset:432
	;; [unrolled: 1-line block ×3, first 2 shown]
	s_waitcnt vmcnt(6)
	v_or_b32_e32 v96, v103, v96
	scratch_load_b32 v103, off, s33 offset:360 ; 4-byte Folded Reload
	v_lshlrev_b32_e32 v66, 16, v96
	scratch_load_b32 v96, off, s33 offset:344 ; 4-byte Folded Reload
	s_waitcnt vmcnt(7)
	v_lshlrev_b32_e32 v83, 8, v83
	s_waitcnt vmcnt(6)
	v_lshlrev_b32_e32 v84, 24, v84
	s_waitcnt vmcnt(5)
	v_and_b32_e32 v82, 0xff, v82
	s_delay_alu instid0(VALU_DEP_1)
	v_lshlrev_b32_e32 v82, 16, v82
	s_waitcnt vmcnt(4)
	v_lshlrev_b32_e32 v87, 8, v87
	s_waitcnt vmcnt(3)
	;; [unrolled: 2-line block ×3, first 2 shown]
	v_and_b32_e32 v86, 0xff, v86
	s_delay_alu instid0(VALU_DEP_1)
	v_lshlrev_b32_e32 v86, 16, v86
	s_waitcnt vmcnt(1)
	v_perm_b32 v87, v87, v103, 0xc0c0500
	s_clause 0x1
	scratch_load_b32 v103, off, s33 offset:352
	scratch_load_b32 v145, off, s33 offset:420
	s_waitcnt vmcnt(2)
	v_perm_b32 v83, v83, v96, 0xc0c0500
	v_or_b32_e32 v96, v150, v149
	v_or3_b32 v166, v97, v86, v87
	s_delay_alu instid0(VALU_DEP_3)
	v_or3_b32 v164, v84, v82, v83
	s_waitcnt vmcnt(0)
	v_or3_b32 v165, v145, v103, v66
	v_lshlrev_b32_e32 v66, 16, v96
	s_clause 0x5
	scratch_load_b32 v96, off, s33 offset:328
	scratch_load_b32 v103, off, s33 offset:388
	;; [unrolled: 1-line block ×6, first 2 shown]
	s_waitcnt vmcnt(4)
	v_or_b32_e32 v96, v103, v96
	s_waitcnt vmcnt(3)
	v_and_b32_e32 v82, 0xff, v82
	s_waitcnt vmcnt(1)
	v_or3_b32 v167, v84, v83, v66
	s_clause 0x1
	scratch_load_b32 v83, off, s33 offset:376
	scratch_load_b32 v84, off, s33 offset:380
	v_lshlrev_b32_e32 v66, 16, v96
	s_clause 0x1
	scratch_load_b32 v86, off, s33 offset:336
	scratch_load_b32 v96, off, s33 offset:316
	v_lshlrev_b32_e32 v82, 16, v82
	s_waitcnt vmcnt(4)
	v_lshlrev_b32_e32 v87, 8, v87
	s_waitcnt vmcnt(3)
	;; [unrolled: 2-line block ×4, first 2 shown]
	v_and_b32_e32 v86, 0xff, v86
	s_waitcnt vmcnt(0)
	v_perm_b32 v83, v83, v96, 0xc0c0500
	s_clause 0x2
	scratch_load_b32 v96, off, s33 offset:404
	scratch_load_b32 v97, off, s33 offset:408
	;; [unrolled: 1-line block ×3, first 2 shown]
	v_lshlrev_b32_e32 v86, 16, v86
	s_waitcnt vmcnt(1)
	v_or_b32_e32 v96, v97, v96
	scratch_load_b32 v97, off, s33 offset:396 ; 4-byte Folded Reload
	s_waitcnt vmcnt(1)
	v_perm_b32 v87, v87, v103, 0xc0c0500
	s_clause 0x1
	scratch_load_b32 v103, off, s33 offset:324
	scratch_load_b32 v145, off, s33 offset:384
	s_waitcnt vmcnt(2)
	v_lshlrev_b32_e32 v97, 24, v97
	s_waitcnt vmcnt(0)
	v_or3_b32 v146, v145, v103, v66
	v_or3_b32 v145, v84, v82, v83
	s_clause 0x1
	scratch_load_b32 v83, off, s33 offset:340
	scratch_load_b32 v84, off, s33 offset:400
	v_lshlrev_b32_e32 v66, 16, v96
	v_and_b32_e32 v82, 0xff, v159
	v_or3_b32 v147, v97, v86, v87
	s_waitcnt vmcnt(0)
	s_delay_alu instid0(VALU_DEP_3)
	v_or3_b32 v148, v84, v83, v66
	v_perm_b32 v84, v24, v23, 0xc0c0500
	v_ashrrev_i32_e32 v24, 31, v55
	v_lshlrev_b32_e32 v66, 16, v82
	v_and_b32_e32 v82, 0xff, v133
	v_lshlrev_b32_e32 v83, 8, v132
	v_add_co_u32 v23, vcc_lo, v55, v19
	v_add_co_u32 v19, s10, v19, v64
	v_add_co_ci_u32_e32 v24, vcc_lo, v24, v20, vcc_lo
	v_lshlrev_b32_e32 v82, 16, v82
	v_perm_b32 v83, v83, v98, 0xc0c0500
	v_add_co_ci_u32_e64 v20, s10, v20, v65, s10
	v_or3_b32 v10, v10, v66, v84
	v_add_co_u32 v21, vcc_lo, v21, v64
	v_add_co_ci_u32_e32 v22, vcc_lo, v22, v65, vcc_lo
	v_cmp_gt_i32_e32 vcc_lo, 1, v85
	v_or3_b32 v12, v12, v82, v83
	s_clause 0x7
	global_store_b128 v[23:24], v[145:148], off glc slc dlc
	global_store_b128 v[23:24], v[164:167], off offset:512 glc slc dlc
	global_store_b128 v[23:24], v[160:163], off offset:1024 glc slc dlc
	;; [unrolled: 1-line block ×7, first 2 shown]
	s_or_b32 s20, vcc_lo, s20
	s_delay_alu instid0(SALU_CYCLE_1)
	s_and_not1_b32 exec_lo, exec_lo, s20
	s_cbranch_execz .LBB6_11711
.LBB6_9656:                             ;   Parent Loop BB6_9570 Depth=1
                                        ; =>  This Inner Loop Header: Depth=2
	scratch_load_b32 v10, off, s33 offset:372 ; 4-byte Folded Reload
	s_waitcnt vmcnt(0)
	v_cmp_gt_i16_e32 vcc_lo, 0x80, v10
	s_cbranch_vccnz .LBB6_9660
; %bb.9657:                             ;   in Loop: Header=BB6_9656 Depth=2
	scratch_load_b32 v10, off, s33 offset:372 ; 4-byte Folded Reload
	s_mov_b32 s10, -1
                                        ; implicit-def: $sgpr22
	s_waitcnt vmcnt(0)
	v_cmp_eq_u16_e32 vcc_lo, 0x80, v10
	s_cbranch_vccz .LBB6_9659
; %bb.9658:                             ;   in Loop: Header=BB6_9656 Depth=2
	s_mov_b32 s10, 0
	s_mov_b32 s22, 0x7f800001
.LBB6_9659:                             ;   in Loop: Header=BB6_9656 Depth=2
	s_mov_b32 s23, 0
	s_branch .LBB6_9661
.LBB6_9660:                             ;   in Loop: Header=BB6_9656 Depth=2
	s_mov_b32 s23, -1
	s_mov_b32 s10, 0
                                        ; implicit-def: $sgpr22
.LBB6_9661:                             ;   in Loop: Header=BB6_9656 Depth=2
	s_and_b32 vcc_lo, exec_lo, s23
	s_cbranch_vccz .LBB6_9663
; %bb.9662:                             ;   in Loop: Header=BB6_9656 Depth=2
	scratch_load_b32 v10, off, s33 offset:372 ; 4-byte Folded Reload
	s_mov_b32 s22, 0
	s_waitcnt vmcnt(0)
	v_cmp_ne_u16_e64 s10, 0, v10
.LBB6_9663:                             ;   in Loop: Header=BB6_9656 Depth=2
	s_delay_alu instid0(VALU_DEP_1)
	s_and_not1_b32 vcc_lo, exec_lo, s10
	s_cbranch_vccnz .LBB6_9665
; %bb.9664:                             ;   in Loop: Header=BB6_9656 Depth=2
	s_mov_b32 s22, s21
.LBB6_9665:                             ;   in Loop: Header=BB6_9656 Depth=2
	v_ashrrev_i32_e32 v10, 31, v55
	v_add_co_u32 v23, vcc_lo, v55, v21
	s_mov_b32 s10, 0
	s_mov_b32 s24, exec_lo
	s_delay_alu instid0(VALU_DEP_2) | instskip(SKIP_3) | instid1(VALU_DEP_1)
	v_add_co_ci_u32_e32 v24, vcc_lo, v10, v22, vcc_lo
                                        ; implicit-def: $sgpr23
	global_load_b128 v[10:13], v[23:24], off slc dlc
	s_waitcnt vmcnt(0)
	v_and_b32_e32 v82, 0xff, v10
	v_cmpx_lt_i16_e32 0x7f, v82
	s_xor_b32 s24, exec_lo, s24
	s_cbranch_execnz .LBB6_11199
; %bb.9666:                             ;   in Loop: Header=BB6_9656 Depth=2
	s_or_saveexec_b32 s24, s24
	v_mov_b32_e32 v66, s23
	s_xor_b32 exec_lo, exec_lo, s24
	s_cbranch_execnz .LBB6_11202
.LBB6_9667:                             ;   in Loop: Header=BB6_9656 Depth=2
	s_or_b32 exec_lo, exec_lo, s24
	s_and_saveexec_b32 s23, s10
	s_cbranch_execz .LBB6_9669
.LBB6_9668:                             ;   in Loop: Header=BB6_9656 Depth=2
	v_and_b32_e32 v66, 7, v10
	v_bfe_u32 v84, v10, 3, 4
	v_lshlrev_b32_e32 v86, 24, v10
	s_delay_alu instid0(VALU_DEP_3) | instskip(NEXT) | instid1(VALU_DEP_3)
	v_clz_i32_u32_e32 v82, v66
	v_cmp_eq_u32_e32 vcc_lo, 0, v84
	s_delay_alu instid0(VALU_DEP_2) | instskip(NEXT) | instid1(VALU_DEP_1)
	v_min_u32_e32 v82, 32, v82
	v_subrev_nc_u32_e32 v83, 28, v82
	v_sub_nc_u32_e32 v82, 29, v82
	s_delay_alu instid0(VALU_DEP_2) | instskip(NEXT) | instid1(VALU_DEP_1)
	v_lshlrev_b32_e32 v83, v83, v10
	v_dual_cndmask_b32 v82, v84, v82 :: v_dual_and_b32 v83, 7, v83
	s_delay_alu instid0(VALU_DEP_1) | instskip(NEXT) | instid1(VALU_DEP_2)
	v_lshl_add_u32 v82, v82, 23, 0x3b800000
	v_dual_cndmask_b32 v66, v66, v83 :: v_dual_and_b32 v83, 0x80000000, v86
	s_delay_alu instid0(VALU_DEP_1) | instskip(NEXT) | instid1(VALU_DEP_1)
	v_lshlrev_b32_e32 v66, 20, v66
	v_or3_b32 v66, v83, v82, v66
.LBB6_9669:                             ;   in Loop: Header=BB6_9656 Depth=2
	s_or_b32 exec_lo, exec_lo, s23
	s_delay_alu instid0(VALU_DEP_1) | instskip(NEXT) | instid1(VALU_DEP_1)
	v_mul_f32_e32 v66, s22, v66
	v_and_b32_e32 v82, 0x7f800000, v66
	s_delay_alu instid0(VALU_DEP_1)
	v_cmp_ne_u32_e32 vcc_lo, 0x7f800000, v82
	v_mov_b32_e32 v82, 0x80
	scratch_store_b32 off, v82, s33 offset:316 ; 4-byte Folded Spill
	s_and_saveexec_b32 s23, vcc_lo
	s_cbranch_execz .LBB6_9677
; %bb.9670:                             ;   in Loop: Header=BB6_9656 Depth=2
	v_mov_b32_e32 v82, 0
	s_mov_b32 s24, exec_lo
	scratch_store_b32 off, v82, s33 offset:316 ; 4-byte Folded Spill
	v_cmpx_ne_u32_e32 0, v66
	s_cbranch_execz .LBB6_9676
; %bb.9671:                             ;   in Loop: Header=BB6_9656 Depth=2
	v_bfe_u32 v82, v66, 23, 8
	s_delay_alu instid0(VALU_DEP_1) | instskip(SKIP_1) | instid1(VALU_DEP_2)
	v_sub_nc_u32_e32 v84, 0x78, v82
	v_cmp_gt_u32_e32 vcc_lo, 0x79, v82
	v_dual_cndmask_b32 v84, 0, v84 :: v_dual_and_b32 v83, 0x7fffff, v66
	s_delay_alu instid0(VALU_DEP_1) | instskip(SKIP_2) | instid1(VALU_DEP_4)
	v_or_b32_e32 v86, 0x800000, v83
	v_cmp_eq_u32_e32 vcc_lo, 0, v82
	v_add_nc_u32_e32 v82, 0xffffff89, v82
	v_cndmask_b32_e64 v84, v84, 0x77, vcc_lo
	s_delay_alu instid0(VALU_DEP_4) | instskip(NEXT) | instid1(VALU_DEP_3)
	v_cndmask_b32_e32 v83, v86, v83, vcc_lo
	v_cndmask_b32_e64 v82, v82, 0xffffff8a, vcc_lo
	s_delay_alu instid0(VALU_DEP_3) | instskip(NEXT) | instid1(VALU_DEP_3)
	v_lshl_add_u32 v86, 0x100000, v84, -1
	v_lshrrev_b32_e32 v87, v84, v83
	v_lshlrev_b32_e64 v97, v84, 0x80000
	s_delay_alu instid0(VALU_DEP_4) | instskip(NEXT) | instid1(VALU_DEP_4)
	v_add_nc_u32_e32 v84, v84, v82
	v_and_b32_e32 v83, v86, v83
	s_delay_alu instid0(VALU_DEP_4) | instskip(NEXT) | instid1(VALU_DEP_2)
	v_bfe_u32 v96, v87, 20, 1
	v_cmp_eq_u32_e64 s10, v83, v97
	s_delay_alu instid0(VALU_DEP_2) | instskip(NEXT) | instid1(VALU_DEP_1)
	v_add_nc_u32_e32 v86, -1, v96
	v_cndmask_b32_e64 v83, 0, v86, s10
	v_lshrrev_b32_e32 v86, 23, v87
	s_mov_b32 s10, exec_lo
	s_delay_alu instid0(VALU_DEP_2) | instskip(NEXT) | instid1(VALU_DEP_2)
	v_add_nc_u32_e32 v83, v83, v87
	v_xor_b32_e32 v86, 1, v86
	s_delay_alu instid0(VALU_DEP_2) | instskip(NEXT) | instid1(VALU_DEP_1)
	v_and_b32_e32 v82, 0xfffff, v83
	v_add_nc_u32_e32 v83, v82, v87
                                        ; implicit-def: $vgpr82
	s_delay_alu instid0(VALU_DEP_3)
	v_cmpx_ne_u32_e64 v84, v86
	s_xor_b32 s10, exec_lo, s10
; %bb.9672:                             ;   in Loop: Header=BB6_9656 Depth=2
	s_delay_alu instid0(VALU_DEP_2) | instskip(SKIP_2) | instid1(VALU_DEP_2)
	v_cmp_lt_u32_e32 vcc_lo, 0xffffff, v83
	v_sub_nc_u32_e32 v82, v84, v86
	v_cndmask_b32_e64 v84, 0, 1, vcc_lo
	v_add_co_ci_u32_e32 v82, vcc_lo, 0, v82, vcc_lo
	s_delay_alu instid0(VALU_DEP_2)
	v_lshrrev_b32_e32 v83, v84, v83
; %bb.9673:                             ;   in Loop: Header=BB6_9656 Depth=2
	s_and_not1_saveexec_b32 s10, s10
; %bb.9674:                             ;   in Loop: Header=BB6_9656 Depth=2
	s_delay_alu instid0(VALU_DEP_1)
	v_bfe_u32 v82, v83, 23, 1
; %bb.9675:                             ;   in Loop: Header=BB6_9656 Depth=2
	s_or_b32 exec_lo, exec_lo, s10
	v_lshrrev_b32_e32 v83, 20, v83
	s_delay_alu instid0(VALU_DEP_2) | instskip(SKIP_2) | instid1(VALU_DEP_2)
	v_cmp_gt_i32_e32 vcc_lo, 16, v82
	v_lshrrev_b32_e32 v66, 24, v66
	v_min_i32_e32 v84, 15, v82
	v_dual_cndmask_b32 v83, 7, v83 :: v_dual_and_b32 v66, 0x80, v66
	s_delay_alu instid0(VALU_DEP_2) | instskip(NEXT) | instid1(VALU_DEP_2)
	v_lshlrev_b32_e32 v84, 3, v84
	v_and_b32_e32 v86, 7, v83
	v_or_b32_e32 v82, v82, v83
	s_delay_alu instid0(VALU_DEP_2) | instskip(NEXT) | instid1(VALU_DEP_2)
	v_or3_b32 v66, v84, v66, v86
	v_cmp_ne_u32_e32 vcc_lo, 0, v82
	s_delay_alu instid0(VALU_DEP_2)
	v_cndmask_b32_e32 v66, 0, v66, vcc_lo
	scratch_store_b32 off, v66, s33 offset:316 ; 4-byte Folded Spill
.LBB6_9676:                             ;   in Loop: Header=BB6_9656 Depth=2
	s_or_b32 exec_lo, exec_lo, s24
.LBB6_9677:                             ;   in Loop: Header=BB6_9656 Depth=2
	s_delay_alu instid0(SALU_CYCLE_1) | instskip(SKIP_3) | instid1(VALU_DEP_1)
	s_or_b32 exec_lo, exec_lo, s23
	v_lshrrev_b16 v66, 8, v10
	s_mov_b32 s10, 0
	s_mov_b32 s24, exec_lo
                                        ; implicit-def: $sgpr23
	v_cmpx_lt_i16_e32 0x7f, v66
	s_xor_b32 s24, exec_lo, s24
	s_cbranch_execnz .LBB6_11203
; %bb.9678:                             ;   in Loop: Header=BB6_9656 Depth=2
	s_or_saveexec_b32 s24, s24
	v_mov_b32_e32 v82, s23
	s_xor_b32 exec_lo, exec_lo, s24
	s_cbranch_execnz .LBB6_11206
.LBB6_9679:                             ;   in Loop: Header=BB6_9656 Depth=2
	s_or_b32 exec_lo, exec_lo, s24
	s_and_saveexec_b32 s23, s10
	s_cbranch_execz .LBB6_9681
.LBB6_9680:                             ;   in Loop: Header=BB6_9656 Depth=2
	v_and_b32_e32 v82, 0xffff, v66
	v_lshlrev_b32_e32 v66, 24, v66
	s_delay_alu instid0(VALU_DEP_2) | instskip(NEXT) | instid1(VALU_DEP_2)
	v_and_b32_e32 v83, 7, v82
	v_and_b32_e32 v66, 0x80000000, v66
	s_delay_alu instid0(VALU_DEP_2) | instskip(NEXT) | instid1(VALU_DEP_1)
	v_clz_i32_u32_e32 v84, v83
	v_min_u32_e32 v84, 32, v84
	s_delay_alu instid0(VALU_DEP_1) | instskip(SKIP_1) | instid1(VALU_DEP_2)
	v_subrev_nc_u32_e32 v86, 28, v84
	v_sub_nc_u32_e32 v84, 29, v84
	v_lshlrev_b32_e32 v86, v86, v82
	v_bfe_u32 v82, v82, 3, 4
	s_delay_alu instid0(VALU_DEP_2) | instskip(NEXT) | instid1(VALU_DEP_2)
	v_and_b32_e32 v86, 7, v86
	v_cmp_eq_u32_e32 vcc_lo, 0, v82
	s_delay_alu instid0(VALU_DEP_2) | instskip(NEXT) | instid1(VALU_DEP_1)
	v_dual_cndmask_b32 v82, v82, v84 :: v_dual_cndmask_b32 v83, v83, v86
	v_lshl_add_u32 v82, v82, 23, 0x3b800000
	s_delay_alu instid0(VALU_DEP_2) | instskip(NEXT) | instid1(VALU_DEP_1)
	v_lshlrev_b32_e32 v83, 20, v83
	v_or3_b32 v82, v66, v82, v83
.LBB6_9681:                             ;   in Loop: Header=BB6_9656 Depth=2
	s_or_b32 exec_lo, exec_lo, s23
	s_delay_alu instid0(VALU_DEP_1) | instskip(NEXT) | instid1(VALU_DEP_1)
	v_mul_f32_e32 v66, s22, v82
	v_and_b32_e32 v82, 0x7f800000, v66
	s_delay_alu instid0(VALU_DEP_1)
	v_cmp_ne_u32_e32 vcc_lo, 0x7f800000, v82
	v_mov_b32_e32 v82, 0x80
	s_and_saveexec_b32 s23, vcc_lo
	s_cbranch_execz .LBB6_9689
; %bb.9682:                             ;   in Loop: Header=BB6_9656 Depth=2
	v_mov_b32_e32 v82, 0
	s_mov_b32 s24, exec_lo
	v_cmpx_ne_u32_e32 0, v66
	s_cbranch_execz .LBB6_9688
; %bb.9683:                             ;   in Loop: Header=BB6_9656 Depth=2
	v_bfe_u32 v82, v66, 23, 8
	s_delay_alu instid0(VALU_DEP_1) | instskip(SKIP_1) | instid1(VALU_DEP_2)
	v_sub_nc_u32_e32 v84, 0x78, v82
	v_cmp_gt_u32_e32 vcc_lo, 0x79, v82
	v_dual_cndmask_b32 v84, 0, v84 :: v_dual_and_b32 v83, 0x7fffff, v66
	s_delay_alu instid0(VALU_DEP_1) | instskip(SKIP_2) | instid1(VALU_DEP_4)
	v_or_b32_e32 v86, 0x800000, v83
	v_cmp_eq_u32_e32 vcc_lo, 0, v82
	v_add_nc_u32_e32 v82, 0xffffff89, v82
	v_cndmask_b32_e64 v84, v84, 0x77, vcc_lo
	s_delay_alu instid0(VALU_DEP_4) | instskip(NEXT) | instid1(VALU_DEP_3)
	v_cndmask_b32_e32 v83, v86, v83, vcc_lo
	v_cndmask_b32_e64 v82, v82, 0xffffff8a, vcc_lo
	s_delay_alu instid0(VALU_DEP_3) | instskip(NEXT) | instid1(VALU_DEP_3)
	v_lshl_add_u32 v86, 0x100000, v84, -1
	v_lshrrev_b32_e32 v87, v84, v83
	v_lshlrev_b32_e64 v97, v84, 0x80000
	s_delay_alu instid0(VALU_DEP_4) | instskip(NEXT) | instid1(VALU_DEP_4)
	v_add_nc_u32_e32 v84, v84, v82
	v_and_b32_e32 v83, v86, v83
	s_delay_alu instid0(VALU_DEP_4) | instskip(NEXT) | instid1(VALU_DEP_2)
	v_bfe_u32 v96, v87, 20, 1
	v_cmp_eq_u32_e64 s10, v83, v97
	s_delay_alu instid0(VALU_DEP_2) | instskip(NEXT) | instid1(VALU_DEP_1)
	v_add_nc_u32_e32 v86, -1, v96
	v_cndmask_b32_e64 v83, 0, v86, s10
	v_lshrrev_b32_e32 v86, 23, v87
	s_mov_b32 s10, exec_lo
	s_delay_alu instid0(VALU_DEP_2) | instskip(NEXT) | instid1(VALU_DEP_2)
	v_add_nc_u32_e32 v83, v83, v87
	v_xor_b32_e32 v86, 1, v86
	s_delay_alu instid0(VALU_DEP_2) | instskip(NEXT) | instid1(VALU_DEP_1)
	v_and_b32_e32 v82, 0xfffff, v83
	v_add_nc_u32_e32 v83, v82, v87
                                        ; implicit-def: $vgpr82
	s_delay_alu instid0(VALU_DEP_3)
	v_cmpx_ne_u32_e64 v84, v86
	s_xor_b32 s10, exec_lo, s10
; %bb.9684:                             ;   in Loop: Header=BB6_9656 Depth=2
	s_delay_alu instid0(VALU_DEP_2) | instskip(SKIP_2) | instid1(VALU_DEP_2)
	v_cmp_lt_u32_e32 vcc_lo, 0xffffff, v83
	v_sub_nc_u32_e32 v82, v84, v86
	v_cndmask_b32_e64 v84, 0, 1, vcc_lo
	v_add_co_ci_u32_e32 v82, vcc_lo, 0, v82, vcc_lo
	s_delay_alu instid0(VALU_DEP_2)
	v_lshrrev_b32_e32 v83, v84, v83
; %bb.9685:                             ;   in Loop: Header=BB6_9656 Depth=2
	s_and_not1_saveexec_b32 s10, s10
; %bb.9686:                             ;   in Loop: Header=BB6_9656 Depth=2
	s_delay_alu instid0(VALU_DEP_1)
	v_bfe_u32 v82, v83, 23, 1
; %bb.9687:                             ;   in Loop: Header=BB6_9656 Depth=2
	s_or_b32 exec_lo, exec_lo, s10
	v_lshrrev_b32_e32 v83, 20, v83
	s_delay_alu instid0(VALU_DEP_2) | instskip(SKIP_2) | instid1(VALU_DEP_2)
	v_cmp_gt_i32_e32 vcc_lo, 16, v82
	v_lshrrev_b32_e32 v66, 24, v66
	v_min_i32_e32 v84, 15, v82
	v_dual_cndmask_b32 v83, 7, v83 :: v_dual_and_b32 v66, 0x80, v66
	s_delay_alu instid0(VALU_DEP_2) | instskip(NEXT) | instid1(VALU_DEP_2)
	v_lshlrev_b32_e32 v84, 3, v84
	v_and_b32_e32 v86, 7, v83
	v_or_b32_e32 v82, v82, v83
	s_delay_alu instid0(VALU_DEP_2) | instskip(NEXT) | instid1(VALU_DEP_2)
	v_or3_b32 v66, v84, v66, v86
	v_cmp_ne_u32_e32 vcc_lo, 0, v82
	s_delay_alu instid0(VALU_DEP_2)
	v_cndmask_b32_e32 v82, 0, v66, vcc_lo
.LBB6_9688:                             ;   in Loop: Header=BB6_9656 Depth=2
	s_or_b32 exec_lo, exec_lo, s24
.LBB6_9689:                             ;   in Loop: Header=BB6_9656 Depth=2
	s_delay_alu instid0(SALU_CYCLE_1)
	s_or_b32 exec_lo, exec_lo, s23
	v_lshrrev_b32_e32 v66, 16, v10
	s_mov_b32 s10, 0
	s_mov_b32 s24, exec_lo
	scratch_store_b32 off, v82, s33 offset:376 ; 4-byte Folded Spill
                                        ; implicit-def: $sgpr23
	v_and_b32_e32 v83, 0xff, v66
	s_delay_alu instid0(VALU_DEP_1)
	v_cmpx_lt_i16_e32 0x7f, v83
	s_xor_b32 s24, exec_lo, s24
	s_cbranch_execnz .LBB6_11207
; %bb.9690:                             ;   in Loop: Header=BB6_9656 Depth=2
	s_or_saveexec_b32 s24, s24
	v_mov_b32_e32 v82, s23
	s_xor_b32 exec_lo, exec_lo, s24
	s_cbranch_execnz .LBB6_11210
.LBB6_9691:                             ;   in Loop: Header=BB6_9656 Depth=2
	s_or_b32 exec_lo, exec_lo, s24
	s_and_saveexec_b32 s23, s10
	s_cbranch_execz .LBB6_9693
.LBB6_9692:                             ;   in Loop: Header=BB6_9656 Depth=2
	v_bfe_u32 v82, v10, 16, 3
	v_lshlrev_b32_e32 v86, 8, v10
	s_delay_alu instid0(VALU_DEP_2) | instskip(NEXT) | instid1(VALU_DEP_1)
	v_clz_i32_u32_e32 v83, v82
	v_min_u32_e32 v83, 32, v83
	s_delay_alu instid0(VALU_DEP_1) | instskip(SKIP_1) | instid1(VALU_DEP_2)
	v_subrev_nc_u32_e32 v84, 28, v83
	v_sub_nc_u32_e32 v83, 29, v83
	v_lshlrev_b32_e32 v66, v84, v66
	v_bfe_u32 v84, v10, 19, 4
	s_delay_alu instid0(VALU_DEP_1) | instskip(NEXT) | instid1(VALU_DEP_3)
	v_cmp_eq_u32_e32 vcc_lo, 0, v84
	v_dual_cndmask_b32 v83, v84, v83 :: v_dual_and_b32 v66, 7, v66
	s_delay_alu instid0(VALU_DEP_1) | instskip(SKIP_1) | instid1(VALU_DEP_3)
	v_cndmask_b32_e32 v66, v82, v66, vcc_lo
	v_and_b32_e32 v82, 0x80000000, v86
	v_lshl_add_u32 v83, v83, 23, 0x3b800000
	s_delay_alu instid0(VALU_DEP_3) | instskip(NEXT) | instid1(VALU_DEP_1)
	v_lshlrev_b32_e32 v66, 20, v66
	v_or3_b32 v82, v82, v83, v66
.LBB6_9693:                             ;   in Loop: Header=BB6_9656 Depth=2
	s_or_b32 exec_lo, exec_lo, s23
	s_delay_alu instid0(VALU_DEP_1) | instskip(NEXT) | instid1(VALU_DEP_1)
	v_mul_f32_e32 v66, s22, v82
	v_and_b32_e32 v82, 0x7f800000, v66
	s_delay_alu instid0(VALU_DEP_1)
	v_cmp_ne_u32_e32 vcc_lo, 0x7f800000, v82
	v_mov_b32_e32 v82, 0x80
	scratch_store_b32 off, v82, s33 offset:320 ; 4-byte Folded Spill
	s_and_saveexec_b32 s23, vcc_lo
	s_cbranch_execz .LBB6_9701
; %bb.9694:                             ;   in Loop: Header=BB6_9656 Depth=2
	v_mov_b32_e32 v82, 0
	s_mov_b32 s24, exec_lo
	scratch_store_b32 off, v82, s33 offset:320 ; 4-byte Folded Spill
	v_cmpx_ne_u32_e32 0, v66
	s_cbranch_execz .LBB6_9700
; %bb.9695:                             ;   in Loop: Header=BB6_9656 Depth=2
	v_bfe_u32 v82, v66, 23, 8
	s_delay_alu instid0(VALU_DEP_1) | instskip(SKIP_1) | instid1(VALU_DEP_2)
	v_sub_nc_u32_e32 v84, 0x78, v82
	v_cmp_gt_u32_e32 vcc_lo, 0x79, v82
	v_dual_cndmask_b32 v84, 0, v84 :: v_dual_and_b32 v83, 0x7fffff, v66
	s_delay_alu instid0(VALU_DEP_1) | instskip(SKIP_2) | instid1(VALU_DEP_4)
	v_or_b32_e32 v86, 0x800000, v83
	v_cmp_eq_u32_e32 vcc_lo, 0, v82
	v_add_nc_u32_e32 v82, 0xffffff89, v82
	v_cndmask_b32_e64 v84, v84, 0x77, vcc_lo
	s_delay_alu instid0(VALU_DEP_4) | instskip(NEXT) | instid1(VALU_DEP_3)
	v_cndmask_b32_e32 v83, v86, v83, vcc_lo
	v_cndmask_b32_e64 v82, v82, 0xffffff8a, vcc_lo
	s_delay_alu instid0(VALU_DEP_3) | instskip(NEXT) | instid1(VALU_DEP_3)
	v_lshl_add_u32 v86, 0x100000, v84, -1
	v_lshrrev_b32_e32 v87, v84, v83
	v_lshlrev_b32_e64 v97, v84, 0x80000
	s_delay_alu instid0(VALU_DEP_4) | instskip(NEXT) | instid1(VALU_DEP_4)
	v_add_nc_u32_e32 v84, v84, v82
	v_and_b32_e32 v83, v86, v83
	s_delay_alu instid0(VALU_DEP_4) | instskip(NEXT) | instid1(VALU_DEP_2)
	v_bfe_u32 v96, v87, 20, 1
	v_cmp_eq_u32_e64 s10, v83, v97
	s_delay_alu instid0(VALU_DEP_2) | instskip(NEXT) | instid1(VALU_DEP_1)
	v_add_nc_u32_e32 v86, -1, v96
	v_cndmask_b32_e64 v83, 0, v86, s10
	v_lshrrev_b32_e32 v86, 23, v87
	s_mov_b32 s10, exec_lo
	s_delay_alu instid0(VALU_DEP_2) | instskip(NEXT) | instid1(VALU_DEP_2)
	v_add_nc_u32_e32 v83, v83, v87
	v_xor_b32_e32 v86, 1, v86
	s_delay_alu instid0(VALU_DEP_2) | instskip(NEXT) | instid1(VALU_DEP_1)
	v_and_b32_e32 v82, 0xfffff, v83
	v_add_nc_u32_e32 v83, v82, v87
                                        ; implicit-def: $vgpr82
	s_delay_alu instid0(VALU_DEP_3)
	v_cmpx_ne_u32_e64 v84, v86
	s_xor_b32 s10, exec_lo, s10
; %bb.9696:                             ;   in Loop: Header=BB6_9656 Depth=2
	s_delay_alu instid0(VALU_DEP_2) | instskip(SKIP_2) | instid1(VALU_DEP_2)
	v_cmp_lt_u32_e32 vcc_lo, 0xffffff, v83
	v_sub_nc_u32_e32 v82, v84, v86
	v_cndmask_b32_e64 v84, 0, 1, vcc_lo
	v_add_co_ci_u32_e32 v82, vcc_lo, 0, v82, vcc_lo
	s_delay_alu instid0(VALU_DEP_2)
	v_lshrrev_b32_e32 v83, v84, v83
; %bb.9697:                             ;   in Loop: Header=BB6_9656 Depth=2
	s_and_not1_saveexec_b32 s10, s10
; %bb.9698:                             ;   in Loop: Header=BB6_9656 Depth=2
	s_delay_alu instid0(VALU_DEP_1)
	v_bfe_u32 v82, v83, 23, 1
; %bb.9699:                             ;   in Loop: Header=BB6_9656 Depth=2
	s_or_b32 exec_lo, exec_lo, s10
	v_lshrrev_b32_e32 v83, 20, v83
	s_delay_alu instid0(VALU_DEP_2) | instskip(SKIP_2) | instid1(VALU_DEP_2)
	v_cmp_gt_i32_e32 vcc_lo, 16, v82
	v_lshrrev_b32_e32 v66, 24, v66
	v_min_i32_e32 v84, 15, v82
	v_dual_cndmask_b32 v83, 7, v83 :: v_dual_and_b32 v66, 0x80, v66
	s_delay_alu instid0(VALU_DEP_2) | instskip(NEXT) | instid1(VALU_DEP_2)
	v_lshlrev_b32_e32 v84, 3, v84
	v_and_b32_e32 v86, 7, v83
	v_or_b32_e32 v82, v82, v83
	s_delay_alu instid0(VALU_DEP_2) | instskip(NEXT) | instid1(VALU_DEP_2)
	v_or3_b32 v66, v84, v66, v86
	v_cmp_ne_u32_e32 vcc_lo, 0, v82
	s_delay_alu instid0(VALU_DEP_2)
	v_cndmask_b32_e32 v66, 0, v66, vcc_lo
	scratch_store_b32 off, v66, s33 offset:320 ; 4-byte Folded Spill
.LBB6_9700:                             ;   in Loop: Header=BB6_9656 Depth=2
	s_or_b32 exec_lo, exec_lo, s24
.LBB6_9701:                             ;   in Loop: Header=BB6_9656 Depth=2
	s_delay_alu instid0(SALU_CYCLE_1) | instskip(SKIP_3) | instid1(VALU_DEP_1)
	s_or_b32 exec_lo, exec_lo, s23
	v_lshrrev_b32_e32 v66, 24, v10
	s_mov_b32 s10, 0
	s_mov_b32 s24, exec_lo
                                        ; implicit-def: $sgpr23
	v_cmpx_lt_i16_e32 0x7f, v66
	s_xor_b32 s24, exec_lo, s24
	s_cbranch_execnz .LBB6_11211
; %bb.9702:                             ;   in Loop: Header=BB6_9656 Depth=2
	s_or_saveexec_b32 s24, s24
	v_mov_b32_e32 v82, s23
	s_xor_b32 exec_lo, exec_lo, s24
	s_cbranch_execnz .LBB6_11214
.LBB6_9703:                             ;   in Loop: Header=BB6_9656 Depth=2
	s_or_b32 exec_lo, exec_lo, s24
	s_and_saveexec_b32 s23, s10
	s_cbranch_execz .LBB6_9705
.LBB6_9704:                             ;   in Loop: Header=BB6_9656 Depth=2
	v_bfe_u32 v82, v10, 24, 3
	s_delay_alu instid0(VALU_DEP_1) | instskip(NEXT) | instid1(VALU_DEP_1)
	v_clz_i32_u32_e32 v83, v82
	v_min_u32_e32 v83, 32, v83
	s_delay_alu instid0(VALU_DEP_1) | instskip(SKIP_1) | instid1(VALU_DEP_2)
	v_subrev_nc_u32_e32 v84, 28, v83
	v_sub_nc_u32_e32 v83, 29, v83
	v_lshlrev_b32_e32 v66, v84, v66
	v_bfe_u32 v84, v10, 27, 4
	v_and_b32_e32 v10, 0x80000000, v10
	s_delay_alu instid0(VALU_DEP_2) | instskip(NEXT) | instid1(VALU_DEP_4)
	v_cmp_eq_u32_e32 vcc_lo, 0, v84
	v_dual_cndmask_b32 v83, v84, v83 :: v_dual_and_b32 v66, 7, v66
	s_delay_alu instid0(VALU_DEP_1) | instskip(NEXT) | instid1(VALU_DEP_2)
	v_cndmask_b32_e32 v66, v82, v66, vcc_lo
	v_lshl_add_u32 v82, v83, 23, 0x3b800000
	s_delay_alu instid0(VALU_DEP_2) | instskip(NEXT) | instid1(VALU_DEP_1)
	v_lshlrev_b32_e32 v66, 20, v66
	v_or3_b32 v82, v10, v82, v66
.LBB6_9705:                             ;   in Loop: Header=BB6_9656 Depth=2
	s_or_b32 exec_lo, exec_lo, s23
	s_delay_alu instid0(VALU_DEP_1) | instskip(NEXT) | instid1(VALU_DEP_1)
	v_mul_f32_e32 v10, s22, v82
	v_and_b32_e32 v66, 0x7f800000, v10
	s_delay_alu instid0(VALU_DEP_1)
	v_cmp_ne_u32_e32 vcc_lo, 0x7f800000, v66
	v_mov_b32_e32 v66, 0x80
	s_and_saveexec_b32 s23, vcc_lo
	s_cbranch_execz .LBB6_9713
; %bb.9706:                             ;   in Loop: Header=BB6_9656 Depth=2
	v_mov_b32_e32 v66, 0
	s_mov_b32 s24, exec_lo
	v_cmpx_ne_u32_e32 0, v10
	s_cbranch_execz .LBB6_9712
; %bb.9707:                             ;   in Loop: Header=BB6_9656 Depth=2
	v_bfe_u32 v66, v10, 23, 8
	s_delay_alu instid0(VALU_DEP_1) | instskip(SKIP_1) | instid1(VALU_DEP_2)
	v_sub_nc_u32_e32 v83, 0x78, v66
	v_cmp_gt_u32_e32 vcc_lo, 0x79, v66
	v_dual_cndmask_b32 v83, 0, v83 :: v_dual_and_b32 v82, 0x7fffff, v10
	s_delay_alu instid0(VALU_DEP_1) | instskip(SKIP_2) | instid1(VALU_DEP_4)
	v_or_b32_e32 v84, 0x800000, v82
	v_cmp_eq_u32_e32 vcc_lo, 0, v66
	v_add_nc_u32_e32 v66, 0xffffff89, v66
	v_cndmask_b32_e64 v83, v83, 0x77, vcc_lo
	s_delay_alu instid0(VALU_DEP_4) | instskip(NEXT) | instid1(VALU_DEP_3)
	v_cndmask_b32_e32 v82, v84, v82, vcc_lo
	v_cndmask_b32_e64 v66, v66, 0xffffff8a, vcc_lo
	s_delay_alu instid0(VALU_DEP_3) | instskip(NEXT) | instid1(VALU_DEP_3)
	v_lshl_add_u32 v84, 0x100000, v83, -1
	v_lshrrev_b32_e32 v86, v83, v82
	v_lshlrev_b32_e64 v96, v83, 0x80000
	s_delay_alu instid0(VALU_DEP_4) | instskip(NEXT) | instid1(VALU_DEP_4)
	v_add_nc_u32_e32 v83, v83, v66
	v_and_b32_e32 v82, v84, v82
	s_delay_alu instid0(VALU_DEP_4) | instskip(NEXT) | instid1(VALU_DEP_2)
	v_bfe_u32 v87, v86, 20, 1
	v_cmp_eq_u32_e64 s10, v82, v96
	s_delay_alu instid0(VALU_DEP_2) | instskip(NEXT) | instid1(VALU_DEP_1)
	v_add_nc_u32_e32 v84, -1, v87
	v_cndmask_b32_e64 v82, 0, v84, s10
	v_lshrrev_b32_e32 v84, 23, v86
	s_mov_b32 s10, exec_lo
	s_delay_alu instid0(VALU_DEP_2) | instskip(NEXT) | instid1(VALU_DEP_2)
	v_add_nc_u32_e32 v82, v82, v86
	v_xor_b32_e32 v84, 1, v84
	s_delay_alu instid0(VALU_DEP_2) | instskip(NEXT) | instid1(VALU_DEP_1)
	v_and_b32_e32 v66, 0xfffff, v82
	v_add_nc_u32_e32 v82, v66, v86
                                        ; implicit-def: $vgpr66
	s_delay_alu instid0(VALU_DEP_3)
	v_cmpx_ne_u32_e64 v83, v84
	s_xor_b32 s10, exec_lo, s10
; %bb.9708:                             ;   in Loop: Header=BB6_9656 Depth=2
	s_delay_alu instid0(VALU_DEP_2) | instskip(SKIP_2) | instid1(VALU_DEP_2)
	v_cmp_lt_u32_e32 vcc_lo, 0xffffff, v82
	v_sub_nc_u32_e32 v66, v83, v84
	v_cndmask_b32_e64 v83, 0, 1, vcc_lo
	v_add_co_ci_u32_e32 v66, vcc_lo, 0, v66, vcc_lo
	s_delay_alu instid0(VALU_DEP_2)
	v_lshrrev_b32_e32 v82, v83, v82
; %bb.9709:                             ;   in Loop: Header=BB6_9656 Depth=2
	s_and_not1_saveexec_b32 s10, s10
; %bb.9710:                             ;   in Loop: Header=BB6_9656 Depth=2
	s_delay_alu instid0(VALU_DEP_1)
	v_bfe_u32 v66, v82, 23, 1
; %bb.9711:                             ;   in Loop: Header=BB6_9656 Depth=2
	s_or_b32 exec_lo, exec_lo, s10
	v_lshrrev_b32_e32 v82, 20, v82
	s_delay_alu instid0(VALU_DEP_2) | instskip(SKIP_2) | instid1(VALU_DEP_4)
	v_cmp_gt_i32_e32 vcc_lo, 16, v66
	v_lshrrev_b32_e32 v10, 24, v10
	v_min_i32_e32 v83, 15, v66
	v_cndmask_b32_e32 v82, 7, v82, vcc_lo
	s_delay_alu instid0(VALU_DEP_3) | instskip(NEXT) | instid1(VALU_DEP_3)
	v_and_b32_e32 v10, 0x80, v10
	v_lshlrev_b32_e32 v83, 3, v83
	s_delay_alu instid0(VALU_DEP_3) | instskip(SKIP_1) | instid1(VALU_DEP_2)
	v_and_b32_e32 v84, 7, v82
	v_or_b32_e32 v66, v66, v82
	v_or3_b32 v10, v83, v10, v84
	s_delay_alu instid0(VALU_DEP_2) | instskip(NEXT) | instid1(VALU_DEP_2)
	v_cmp_ne_u32_e32 vcc_lo, 0, v66
	v_cndmask_b32_e32 v66, 0, v10, vcc_lo
.LBB6_9712:                             ;   in Loop: Header=BB6_9656 Depth=2
	s_or_b32 exec_lo, exec_lo, s24
.LBB6_9713:                             ;   in Loop: Header=BB6_9656 Depth=2
	s_delay_alu instid0(SALU_CYCLE_1) | instskip(SKIP_4) | instid1(VALU_DEP_1)
	s_or_b32 exec_lo, exec_lo, s23
	scratch_store_b32 off, v66, s33 offset:380 ; 4-byte Folded Spill
	v_and_b32_e32 v66, 0xff, v11
	s_mov_b32 s10, 0
	s_mov_b32 s24, exec_lo
                                        ; implicit-def: $sgpr23
	v_cmpx_lt_i16_e32 0x7f, v66
	s_xor_b32 s24, exec_lo, s24
	s_cbranch_execnz .LBB6_11215
; %bb.9714:                             ;   in Loop: Header=BB6_9656 Depth=2
	s_or_saveexec_b32 s24, s24
	v_mov_b32_e32 v10, s23
	s_xor_b32 exec_lo, exec_lo, s24
	s_cbranch_execnz .LBB6_11218
.LBB6_9715:                             ;   in Loop: Header=BB6_9656 Depth=2
	s_or_b32 exec_lo, exec_lo, s24
	s_and_saveexec_b32 s23, s10
	s_cbranch_execz .LBB6_9717
.LBB6_9716:                             ;   in Loop: Header=BB6_9656 Depth=2
	v_and_b32_e32 v10, 7, v11
	v_bfe_u32 v83, v11, 3, 4
	v_lshlrev_b32_e32 v84, 24, v11
	s_delay_alu instid0(VALU_DEP_3) | instskip(NEXT) | instid1(VALU_DEP_3)
	v_clz_i32_u32_e32 v66, v10
	v_cmp_eq_u32_e32 vcc_lo, 0, v83
	s_delay_alu instid0(VALU_DEP_2) | instskip(NEXT) | instid1(VALU_DEP_1)
	v_min_u32_e32 v66, 32, v66
	v_subrev_nc_u32_e32 v82, 28, v66
	v_sub_nc_u32_e32 v66, 29, v66
	s_delay_alu instid0(VALU_DEP_2) | instskip(NEXT) | instid1(VALU_DEP_2)
	v_lshlrev_b32_e32 v82, v82, v11
	v_cndmask_b32_e32 v66, v83, v66, vcc_lo
	s_delay_alu instid0(VALU_DEP_2) | instskip(NEXT) | instid1(VALU_DEP_2)
	v_and_b32_e32 v82, 7, v82
	v_lshl_add_u32 v66, v66, 23, 0x3b800000
	s_delay_alu instid0(VALU_DEP_2) | instskip(SKIP_1) | instid1(VALU_DEP_2)
	v_cndmask_b32_e32 v10, v10, v82, vcc_lo
	v_and_b32_e32 v82, 0x80000000, v84
	v_lshlrev_b32_e32 v10, 20, v10
	s_delay_alu instid0(VALU_DEP_1)
	v_or3_b32 v10, v82, v66, v10
.LBB6_9717:                             ;   in Loop: Header=BB6_9656 Depth=2
	s_or_b32 exec_lo, exec_lo, s23
	s_delay_alu instid0(VALU_DEP_1) | instskip(NEXT) | instid1(VALU_DEP_1)
	v_mul_f32_e32 v10, s22, v10
	v_and_b32_e32 v66, 0x7f800000, v10
	s_delay_alu instid0(VALU_DEP_1)
	v_cmp_ne_u32_e32 vcc_lo, 0x7f800000, v66
	v_mov_b32_e32 v66, 0x80
	scratch_store_b32 off, v66, s33 offset:324 ; 4-byte Folded Spill
	s_and_saveexec_b32 s23, vcc_lo
	s_cbranch_execz .LBB6_9725
; %bb.9718:                             ;   in Loop: Header=BB6_9656 Depth=2
	v_mov_b32_e32 v66, 0
	s_mov_b32 s24, exec_lo
	scratch_store_b32 off, v66, s33 offset:324 ; 4-byte Folded Spill
	v_cmpx_ne_u32_e32 0, v10
	s_cbranch_execz .LBB6_9724
; %bb.9719:                             ;   in Loop: Header=BB6_9656 Depth=2
	v_bfe_u32 v66, v10, 23, 8
	s_delay_alu instid0(VALU_DEP_1) | instskip(SKIP_1) | instid1(VALU_DEP_2)
	v_sub_nc_u32_e32 v83, 0x78, v66
	v_cmp_gt_u32_e32 vcc_lo, 0x79, v66
	v_dual_cndmask_b32 v83, 0, v83 :: v_dual_and_b32 v82, 0x7fffff, v10
	s_delay_alu instid0(VALU_DEP_1) | instskip(SKIP_2) | instid1(VALU_DEP_4)
	v_or_b32_e32 v84, 0x800000, v82
	v_cmp_eq_u32_e32 vcc_lo, 0, v66
	v_add_nc_u32_e32 v66, 0xffffff89, v66
	v_cndmask_b32_e64 v83, v83, 0x77, vcc_lo
	s_delay_alu instid0(VALU_DEP_4) | instskip(NEXT) | instid1(VALU_DEP_3)
	v_cndmask_b32_e32 v82, v84, v82, vcc_lo
	v_cndmask_b32_e64 v66, v66, 0xffffff8a, vcc_lo
	s_delay_alu instid0(VALU_DEP_3) | instskip(NEXT) | instid1(VALU_DEP_3)
	v_lshl_add_u32 v84, 0x100000, v83, -1
	v_lshrrev_b32_e32 v86, v83, v82
	v_lshlrev_b32_e64 v96, v83, 0x80000
	s_delay_alu instid0(VALU_DEP_4) | instskip(NEXT) | instid1(VALU_DEP_4)
	v_add_nc_u32_e32 v83, v83, v66
	v_and_b32_e32 v82, v84, v82
	s_delay_alu instid0(VALU_DEP_4) | instskip(NEXT) | instid1(VALU_DEP_2)
	v_bfe_u32 v87, v86, 20, 1
	v_cmp_eq_u32_e64 s10, v82, v96
	s_delay_alu instid0(VALU_DEP_2) | instskip(NEXT) | instid1(VALU_DEP_1)
	v_add_nc_u32_e32 v84, -1, v87
	v_cndmask_b32_e64 v82, 0, v84, s10
	v_lshrrev_b32_e32 v84, 23, v86
	s_mov_b32 s10, exec_lo
	s_delay_alu instid0(VALU_DEP_2) | instskip(NEXT) | instid1(VALU_DEP_2)
	v_add_nc_u32_e32 v82, v82, v86
	v_xor_b32_e32 v84, 1, v84
	s_delay_alu instid0(VALU_DEP_2) | instskip(NEXT) | instid1(VALU_DEP_1)
	v_and_b32_e32 v66, 0xfffff, v82
	v_add_nc_u32_e32 v82, v66, v86
                                        ; implicit-def: $vgpr66
	s_delay_alu instid0(VALU_DEP_3)
	v_cmpx_ne_u32_e64 v83, v84
	s_xor_b32 s10, exec_lo, s10
; %bb.9720:                             ;   in Loop: Header=BB6_9656 Depth=2
	s_delay_alu instid0(VALU_DEP_2) | instskip(SKIP_2) | instid1(VALU_DEP_2)
	v_cmp_lt_u32_e32 vcc_lo, 0xffffff, v82
	v_sub_nc_u32_e32 v66, v83, v84
	v_cndmask_b32_e64 v83, 0, 1, vcc_lo
	v_add_co_ci_u32_e32 v66, vcc_lo, 0, v66, vcc_lo
	s_delay_alu instid0(VALU_DEP_2)
	v_lshrrev_b32_e32 v82, v83, v82
; %bb.9721:                             ;   in Loop: Header=BB6_9656 Depth=2
	s_and_not1_saveexec_b32 s10, s10
; %bb.9722:                             ;   in Loop: Header=BB6_9656 Depth=2
	s_delay_alu instid0(VALU_DEP_1)
	v_bfe_u32 v66, v82, 23, 1
; %bb.9723:                             ;   in Loop: Header=BB6_9656 Depth=2
	s_or_b32 exec_lo, exec_lo, s10
	v_lshrrev_b32_e32 v82, 20, v82
	s_delay_alu instid0(VALU_DEP_2) | instskip(SKIP_2) | instid1(VALU_DEP_2)
	v_cmp_gt_i32_e32 vcc_lo, 16, v66
	v_min_i32_e32 v83, 15, v66
	v_lshrrev_b32_e32 v10, 24, v10
	v_dual_cndmask_b32 v82, 7, v82 :: v_dual_lshlrev_b32 v83, 3, v83
	s_delay_alu instid0(VALU_DEP_2) | instskip(NEXT) | instid1(VALU_DEP_2)
	v_and_b32_e32 v10, 0x80, v10
	v_or_b32_e32 v66, v66, v82
	v_and_b32_e32 v84, 7, v82
	s_delay_alu instid0(VALU_DEP_2) | instskip(SKIP_1) | instid1(VALU_DEP_1)
	v_cmp_ne_u32_e32 vcc_lo, 0, v66
	v_and_b32_e32 v83, 0xf8, v83
	v_or3_b32 v10, v83, v10, v84
	s_delay_alu instid0(VALU_DEP_1)
	v_cndmask_b32_e32 v10, 0, v10, vcc_lo
	scratch_store_b32 off, v10, s33 offset:324 ; 4-byte Folded Spill
.LBB6_9724:                             ;   in Loop: Header=BB6_9656 Depth=2
	s_or_b32 exec_lo, exec_lo, s24
.LBB6_9725:                             ;   in Loop: Header=BB6_9656 Depth=2
	s_delay_alu instid0(SALU_CYCLE_1) | instskip(SKIP_3) | instid1(VALU_DEP_1)
	s_or_b32 exec_lo, exec_lo, s23
	v_lshrrev_b16 v10, 8, v11
	s_mov_b32 s10, 0
	s_mov_b32 s24, exec_lo
                                        ; implicit-def: $sgpr23
	v_cmpx_lt_i16_e32 0x7f, v10
	s_xor_b32 s24, exec_lo, s24
	s_cbranch_execnz .LBB6_11219
; %bb.9726:                             ;   in Loop: Header=BB6_9656 Depth=2
	s_or_saveexec_b32 s24, s24
	v_mov_b32_e32 v66, s23
	s_xor_b32 exec_lo, exec_lo, s24
	s_cbranch_execnz .LBB6_11222
.LBB6_9727:                             ;   in Loop: Header=BB6_9656 Depth=2
	s_or_b32 exec_lo, exec_lo, s24
	s_and_saveexec_b32 s23, s10
	s_cbranch_execz .LBB6_9729
.LBB6_9728:                             ;   in Loop: Header=BB6_9656 Depth=2
	v_and_b32_e32 v66, 0xffff, v10
	v_lshlrev_b32_e32 v10, 24, v10
	s_delay_alu instid0(VALU_DEP_2) | instskip(NEXT) | instid1(VALU_DEP_2)
	v_and_b32_e32 v82, 7, v66
	v_and_b32_e32 v10, 0x80000000, v10
	s_delay_alu instid0(VALU_DEP_2) | instskip(NEXT) | instid1(VALU_DEP_1)
	v_clz_i32_u32_e32 v83, v82
	v_min_u32_e32 v83, 32, v83
	s_delay_alu instid0(VALU_DEP_1) | instskip(SKIP_1) | instid1(VALU_DEP_2)
	v_subrev_nc_u32_e32 v84, 28, v83
	v_sub_nc_u32_e32 v83, 29, v83
	v_lshlrev_b32_e32 v84, v84, v66
	v_bfe_u32 v66, v66, 3, 4
	s_delay_alu instid0(VALU_DEP_2) | instskip(NEXT) | instid1(VALU_DEP_2)
	v_and_b32_e32 v84, 7, v84
	v_cmp_eq_u32_e32 vcc_lo, 0, v66
	v_cndmask_b32_e32 v66, v66, v83, vcc_lo
	s_delay_alu instid0(VALU_DEP_3) | instskip(NEXT) | instid1(VALU_DEP_2)
	v_cndmask_b32_e32 v82, v82, v84, vcc_lo
	v_lshl_add_u32 v66, v66, 23, 0x3b800000
	s_delay_alu instid0(VALU_DEP_2) | instskip(NEXT) | instid1(VALU_DEP_1)
	v_lshlrev_b32_e32 v82, 20, v82
	v_or3_b32 v66, v10, v66, v82
.LBB6_9729:                             ;   in Loop: Header=BB6_9656 Depth=2
	s_or_b32 exec_lo, exec_lo, s23
	s_delay_alu instid0(VALU_DEP_1) | instskip(NEXT) | instid1(VALU_DEP_1)
	v_mul_f32_e32 v10, s22, v66
	v_and_b32_e32 v66, 0x7f800000, v10
	s_delay_alu instid0(VALU_DEP_1)
	v_cmp_ne_u32_e32 vcc_lo, 0x7f800000, v66
	v_mov_b32_e32 v66, 0x8000
	s_and_saveexec_b32 s23, vcc_lo
	s_cbranch_execz .LBB6_9737
; %bb.9730:                             ;   in Loop: Header=BB6_9656 Depth=2
	v_mov_b32_e32 v66, 0
	s_mov_b32 s24, exec_lo
	v_cmpx_ne_u32_e32 0, v10
	s_cbranch_execz .LBB6_9736
; %bb.9731:                             ;   in Loop: Header=BB6_9656 Depth=2
	v_bfe_u32 v66, v10, 23, 8
	s_delay_alu instid0(VALU_DEP_1) | instskip(SKIP_1) | instid1(VALU_DEP_2)
	v_sub_nc_u32_e32 v83, 0x78, v66
	v_cmp_gt_u32_e32 vcc_lo, 0x79, v66
	v_dual_cndmask_b32 v83, 0, v83 :: v_dual_and_b32 v82, 0x7fffff, v10
	s_delay_alu instid0(VALU_DEP_1) | instskip(SKIP_2) | instid1(VALU_DEP_4)
	v_or_b32_e32 v84, 0x800000, v82
	v_cmp_eq_u32_e32 vcc_lo, 0, v66
	v_add_nc_u32_e32 v66, 0xffffff89, v66
	v_cndmask_b32_e64 v83, v83, 0x77, vcc_lo
	s_delay_alu instid0(VALU_DEP_4) | instskip(NEXT) | instid1(VALU_DEP_3)
	v_cndmask_b32_e32 v82, v84, v82, vcc_lo
	v_cndmask_b32_e64 v66, v66, 0xffffff8a, vcc_lo
	s_delay_alu instid0(VALU_DEP_3) | instskip(NEXT) | instid1(VALU_DEP_3)
	v_lshl_add_u32 v84, 0x100000, v83, -1
	v_lshrrev_b32_e32 v86, v83, v82
	v_lshlrev_b32_e64 v96, v83, 0x80000
	s_delay_alu instid0(VALU_DEP_4) | instskip(NEXT) | instid1(VALU_DEP_4)
	v_add_nc_u32_e32 v83, v83, v66
	v_and_b32_e32 v82, v84, v82
	s_delay_alu instid0(VALU_DEP_4) | instskip(NEXT) | instid1(VALU_DEP_2)
	v_bfe_u32 v87, v86, 20, 1
	v_cmp_eq_u32_e64 s10, v82, v96
	s_delay_alu instid0(VALU_DEP_2) | instskip(NEXT) | instid1(VALU_DEP_1)
	v_add_nc_u32_e32 v84, -1, v87
	v_cndmask_b32_e64 v82, 0, v84, s10
	v_lshrrev_b32_e32 v84, 23, v86
	s_mov_b32 s10, exec_lo
	s_delay_alu instid0(VALU_DEP_2) | instskip(NEXT) | instid1(VALU_DEP_2)
	v_add_nc_u32_e32 v82, v82, v86
	v_xor_b32_e32 v84, 1, v84
	s_delay_alu instid0(VALU_DEP_2) | instskip(NEXT) | instid1(VALU_DEP_1)
	v_and_b32_e32 v66, 0xfffff, v82
	v_add_nc_u32_e32 v82, v66, v86
                                        ; implicit-def: $vgpr66
	s_delay_alu instid0(VALU_DEP_3)
	v_cmpx_ne_u32_e64 v83, v84
	s_xor_b32 s10, exec_lo, s10
; %bb.9732:                             ;   in Loop: Header=BB6_9656 Depth=2
	s_delay_alu instid0(VALU_DEP_2) | instskip(SKIP_2) | instid1(VALU_DEP_2)
	v_cmp_lt_u32_e32 vcc_lo, 0xffffff, v82
	v_sub_nc_u32_e32 v66, v83, v84
	v_cndmask_b32_e64 v83, 0, 1, vcc_lo
	v_add_co_ci_u32_e32 v66, vcc_lo, 0, v66, vcc_lo
	s_delay_alu instid0(VALU_DEP_2)
	v_lshrrev_b32_e32 v82, v83, v82
; %bb.9733:                             ;   in Loop: Header=BB6_9656 Depth=2
	s_and_not1_saveexec_b32 s10, s10
; %bb.9734:                             ;   in Loop: Header=BB6_9656 Depth=2
	s_delay_alu instid0(VALU_DEP_1)
	v_bfe_u32 v66, v82, 23, 1
; %bb.9735:                             ;   in Loop: Header=BB6_9656 Depth=2
	s_or_b32 exec_lo, exec_lo, s10
	v_lshrrev_b32_e32 v82, 20, v82
	s_delay_alu instid0(VALU_DEP_2) | instskip(SKIP_2) | instid1(VALU_DEP_2)
	v_cmp_gt_i32_e32 vcc_lo, 16, v66
	v_min_i32_e32 v83, 15, v66
	v_lshrrev_b32_e32 v10, 24, v10
	v_dual_cndmask_b32 v82, 7, v82 :: v_dual_lshlrev_b32 v83, 3, v83
	s_delay_alu instid0(VALU_DEP_2) | instskip(NEXT) | instid1(VALU_DEP_2)
	v_and_b32_e32 v10, 0x80, v10
	v_or_b32_e32 v66, v66, v82
	v_and_b32_e32 v84, 7, v82
	s_delay_alu instid0(VALU_DEP_2) | instskip(SKIP_1) | instid1(VALU_DEP_1)
	v_cmp_ne_u32_e32 vcc_lo, 0, v66
	v_and_b32_e32 v83, 0xf8, v83
	v_or3_b32 v10, v10, v83, v84
	s_delay_alu instid0(VALU_DEP_1) | instskip(NEXT) | instid1(VALU_DEP_1)
	v_lshlrev_b32_e32 v10, 8, v10
	v_cndmask_b32_e32 v66, 0, v10, vcc_lo
.LBB6_9736:                             ;   in Loop: Header=BB6_9656 Depth=2
	s_or_b32 exec_lo, exec_lo, s24
.LBB6_9737:                             ;   in Loop: Header=BB6_9656 Depth=2
	s_delay_alu instid0(SALU_CYCLE_1)
	s_or_b32 exec_lo, exec_lo, s23
	v_lshrrev_b32_e32 v10, 16, v11
	s_mov_b32 s10, 0
	s_mov_b32 s24, exec_lo
	scratch_store_b32 off, v66, s33 offset:384 ; 4-byte Folded Spill
                                        ; implicit-def: $sgpr23
	v_and_b32_e32 v82, 0xff, v10
	s_delay_alu instid0(VALU_DEP_1)
	v_cmpx_lt_i16_e32 0x7f, v82
	s_xor_b32 s24, exec_lo, s24
	s_cbranch_execnz .LBB6_11223
; %bb.9738:                             ;   in Loop: Header=BB6_9656 Depth=2
	s_or_saveexec_b32 s24, s24
	v_mov_b32_e32 v66, s23
	s_xor_b32 exec_lo, exec_lo, s24
	s_cbranch_execnz .LBB6_11226
.LBB6_9739:                             ;   in Loop: Header=BB6_9656 Depth=2
	s_or_b32 exec_lo, exec_lo, s24
	s_and_saveexec_b32 s23, s10
	s_cbranch_execz .LBB6_9741
.LBB6_9740:                             ;   in Loop: Header=BB6_9656 Depth=2
	v_bfe_u32 v66, v11, 16, 3
	v_lshlrev_b32_e32 v84, 8, v11
	s_delay_alu instid0(VALU_DEP_2) | instskip(NEXT) | instid1(VALU_DEP_1)
	v_clz_i32_u32_e32 v82, v66
	v_min_u32_e32 v82, 32, v82
	s_delay_alu instid0(VALU_DEP_1) | instskip(SKIP_1) | instid1(VALU_DEP_2)
	v_subrev_nc_u32_e32 v83, 28, v82
	v_sub_nc_u32_e32 v82, 29, v82
	v_lshlrev_b32_e32 v10, v83, v10
	v_bfe_u32 v83, v11, 19, 4
	s_delay_alu instid0(VALU_DEP_2) | instskip(NEXT) | instid1(VALU_DEP_2)
	v_and_b32_e32 v10, 7, v10
	v_cmp_eq_u32_e32 vcc_lo, 0, v83
	v_cndmask_b32_e32 v82, v83, v82, vcc_lo
	s_delay_alu instid0(VALU_DEP_3) | instskip(SKIP_1) | instid1(VALU_DEP_3)
	v_cndmask_b32_e32 v10, v66, v10, vcc_lo
	v_and_b32_e32 v66, 0x80000000, v84
	v_lshl_add_u32 v82, v82, 23, 0x3b800000
	s_delay_alu instid0(VALU_DEP_3) | instskip(NEXT) | instid1(VALU_DEP_1)
	v_lshlrev_b32_e32 v10, 20, v10
	v_or3_b32 v66, v66, v82, v10
.LBB6_9741:                             ;   in Loop: Header=BB6_9656 Depth=2
	s_or_b32 exec_lo, exec_lo, s23
	s_delay_alu instid0(VALU_DEP_1) | instskip(NEXT) | instid1(VALU_DEP_1)
	v_mul_f32_e32 v10, s22, v66
	v_and_b32_e32 v66, 0x7f800000, v10
	s_delay_alu instid0(VALU_DEP_1)
	v_cmp_ne_u32_e32 vcc_lo, 0x7f800000, v66
	v_mov_b32_e32 v66, 0x80
	scratch_store_b32 off, v66, s33 offset:328 ; 4-byte Folded Spill
	s_and_saveexec_b32 s23, vcc_lo
	s_cbranch_execz .LBB6_9749
; %bb.9742:                             ;   in Loop: Header=BB6_9656 Depth=2
	v_mov_b32_e32 v66, 0
	s_mov_b32 s24, exec_lo
	scratch_store_b32 off, v66, s33 offset:328 ; 4-byte Folded Spill
	v_cmpx_ne_u32_e32 0, v10
	s_cbranch_execz .LBB6_9748
; %bb.9743:                             ;   in Loop: Header=BB6_9656 Depth=2
	v_bfe_u32 v66, v10, 23, 8
	s_delay_alu instid0(VALU_DEP_1) | instskip(SKIP_1) | instid1(VALU_DEP_2)
	v_sub_nc_u32_e32 v83, 0x78, v66
	v_cmp_gt_u32_e32 vcc_lo, 0x79, v66
	v_dual_cndmask_b32 v83, 0, v83 :: v_dual_and_b32 v82, 0x7fffff, v10
	s_delay_alu instid0(VALU_DEP_1) | instskip(SKIP_2) | instid1(VALU_DEP_4)
	v_or_b32_e32 v84, 0x800000, v82
	v_cmp_eq_u32_e32 vcc_lo, 0, v66
	v_add_nc_u32_e32 v66, 0xffffff89, v66
	v_cndmask_b32_e64 v83, v83, 0x77, vcc_lo
	s_delay_alu instid0(VALU_DEP_4) | instskip(NEXT) | instid1(VALU_DEP_3)
	v_cndmask_b32_e32 v82, v84, v82, vcc_lo
	v_cndmask_b32_e64 v66, v66, 0xffffff8a, vcc_lo
	s_delay_alu instid0(VALU_DEP_3) | instskip(NEXT) | instid1(VALU_DEP_3)
	v_lshl_add_u32 v84, 0x100000, v83, -1
	v_lshrrev_b32_e32 v86, v83, v82
	v_lshlrev_b32_e64 v96, v83, 0x80000
	s_delay_alu instid0(VALU_DEP_4) | instskip(NEXT) | instid1(VALU_DEP_4)
	v_add_nc_u32_e32 v83, v83, v66
	v_and_b32_e32 v82, v84, v82
	s_delay_alu instid0(VALU_DEP_4) | instskip(NEXT) | instid1(VALU_DEP_2)
	v_bfe_u32 v87, v86, 20, 1
	v_cmp_eq_u32_e64 s10, v82, v96
	s_delay_alu instid0(VALU_DEP_2) | instskip(NEXT) | instid1(VALU_DEP_1)
	v_add_nc_u32_e32 v84, -1, v87
	v_cndmask_b32_e64 v82, 0, v84, s10
	v_lshrrev_b32_e32 v84, 23, v86
	s_mov_b32 s10, exec_lo
	s_delay_alu instid0(VALU_DEP_2) | instskip(NEXT) | instid1(VALU_DEP_2)
	v_add_nc_u32_e32 v82, v82, v86
	v_xor_b32_e32 v84, 1, v84
	s_delay_alu instid0(VALU_DEP_2) | instskip(NEXT) | instid1(VALU_DEP_1)
	v_and_b32_e32 v66, 0xfffff, v82
	v_add_nc_u32_e32 v82, v66, v86
                                        ; implicit-def: $vgpr66
	s_delay_alu instid0(VALU_DEP_3)
	v_cmpx_ne_u32_e64 v83, v84
	s_xor_b32 s10, exec_lo, s10
; %bb.9744:                             ;   in Loop: Header=BB6_9656 Depth=2
	s_delay_alu instid0(VALU_DEP_2) | instskip(SKIP_2) | instid1(VALU_DEP_2)
	v_cmp_lt_u32_e32 vcc_lo, 0xffffff, v82
	v_sub_nc_u32_e32 v66, v83, v84
	v_cndmask_b32_e64 v83, 0, 1, vcc_lo
	v_add_co_ci_u32_e32 v66, vcc_lo, 0, v66, vcc_lo
	s_delay_alu instid0(VALU_DEP_2)
	v_lshrrev_b32_e32 v82, v83, v82
; %bb.9745:                             ;   in Loop: Header=BB6_9656 Depth=2
	s_and_not1_saveexec_b32 s10, s10
; %bb.9746:                             ;   in Loop: Header=BB6_9656 Depth=2
	s_delay_alu instid0(VALU_DEP_1)
	v_bfe_u32 v66, v82, 23, 1
; %bb.9747:                             ;   in Loop: Header=BB6_9656 Depth=2
	s_or_b32 exec_lo, exec_lo, s10
	v_lshrrev_b32_e32 v82, 20, v82
	s_delay_alu instid0(VALU_DEP_2) | instskip(SKIP_2) | instid1(VALU_DEP_2)
	v_cmp_gt_i32_e32 vcc_lo, 16, v66
	v_min_i32_e32 v83, 15, v66
	v_lshrrev_b32_e32 v10, 24, v10
	v_dual_cndmask_b32 v82, 7, v82 :: v_dual_lshlrev_b32 v83, 3, v83
	s_delay_alu instid0(VALU_DEP_2) | instskip(NEXT) | instid1(VALU_DEP_2)
	v_and_b32_e32 v10, 0x80, v10
	v_or_b32_e32 v66, v66, v82
	v_and_b32_e32 v84, 7, v82
	s_delay_alu instid0(VALU_DEP_2) | instskip(SKIP_1) | instid1(VALU_DEP_1)
	v_cmp_ne_u32_e32 vcc_lo, 0, v66
	v_and_b32_e32 v83, 0xf8, v83
	v_or3_b32 v10, v83, v10, v84
	s_delay_alu instid0(VALU_DEP_1)
	v_cndmask_b32_e32 v10, 0, v10, vcc_lo
	scratch_store_b32 off, v10, s33 offset:328 ; 4-byte Folded Spill
.LBB6_9748:                             ;   in Loop: Header=BB6_9656 Depth=2
	s_or_b32 exec_lo, exec_lo, s24
.LBB6_9749:                             ;   in Loop: Header=BB6_9656 Depth=2
	s_delay_alu instid0(SALU_CYCLE_1) | instskip(SKIP_3) | instid1(VALU_DEP_1)
	s_or_b32 exec_lo, exec_lo, s23
	v_lshrrev_b32_e32 v10, 24, v11
	s_mov_b32 s10, 0
	s_mov_b32 s24, exec_lo
                                        ; implicit-def: $sgpr23
	v_cmpx_lt_i16_e32 0x7f, v10
	s_xor_b32 s24, exec_lo, s24
	s_cbranch_execnz .LBB6_11227
; %bb.9750:                             ;   in Loop: Header=BB6_9656 Depth=2
	s_or_saveexec_b32 s24, s24
	v_mov_b32_e32 v66, s23
	s_xor_b32 exec_lo, exec_lo, s24
	s_cbranch_execnz .LBB6_11230
.LBB6_9751:                             ;   in Loop: Header=BB6_9656 Depth=2
	s_or_b32 exec_lo, exec_lo, s24
	s_and_saveexec_b32 s23, s10
	s_cbranch_execz .LBB6_9753
.LBB6_9752:                             ;   in Loop: Header=BB6_9656 Depth=2
	v_bfe_u32 v66, v11, 24, 3
	s_delay_alu instid0(VALU_DEP_1) | instskip(NEXT) | instid1(VALU_DEP_1)
	v_clz_i32_u32_e32 v82, v66
	v_min_u32_e32 v82, 32, v82
	s_delay_alu instid0(VALU_DEP_1) | instskip(SKIP_1) | instid1(VALU_DEP_2)
	v_subrev_nc_u32_e32 v83, 28, v82
	v_sub_nc_u32_e32 v82, 29, v82
	v_lshlrev_b32_e32 v10, v83, v10
	v_bfe_u32 v83, v11, 27, 4
	v_and_b32_e32 v11, 0x80000000, v11
	s_delay_alu instid0(VALU_DEP_3) | instskip(NEXT) | instid1(VALU_DEP_3)
	v_and_b32_e32 v10, 7, v10
	v_cmp_eq_u32_e32 vcc_lo, 0, v83
	v_cndmask_b32_e32 v82, v83, v82, vcc_lo
	s_delay_alu instid0(VALU_DEP_3) | instskip(NEXT) | instid1(VALU_DEP_2)
	v_cndmask_b32_e32 v10, v66, v10, vcc_lo
	v_lshl_add_u32 v66, v82, 23, 0x3b800000
	s_delay_alu instid0(VALU_DEP_2) | instskip(NEXT) | instid1(VALU_DEP_1)
	v_lshlrev_b32_e32 v10, 20, v10
	v_or3_b32 v66, v11, v66, v10
.LBB6_9753:                             ;   in Loop: Header=BB6_9656 Depth=2
	s_or_b32 exec_lo, exec_lo, s23
	s_delay_alu instid0(VALU_DEP_1) | instskip(NEXT) | instid1(VALU_DEP_1)
	v_mul_f32_e32 v10, s22, v66
	v_and_b32_e32 v11, 0x7f800000, v10
	s_delay_alu instid0(VALU_DEP_1)
	v_cmp_ne_u32_e32 vcc_lo, 0x7f800000, v11
	v_mov_b32_e32 v11, 0x8000
	s_and_saveexec_b32 s23, vcc_lo
	s_cbranch_execz .LBB6_9761
; %bb.9754:                             ;   in Loop: Header=BB6_9656 Depth=2
	v_mov_b32_e32 v11, 0
	s_mov_b32 s24, exec_lo
	v_cmpx_ne_u32_e32 0, v10
	s_cbranch_execz .LBB6_9760
; %bb.9755:                             ;   in Loop: Header=BB6_9656 Depth=2
	v_bfe_u32 v11, v10, 23, 8
	v_and_b32_e32 v66, 0x7fffff, v10
	s_delay_alu instid0(VALU_DEP_2) | instskip(SKIP_1) | instid1(VALU_DEP_3)
	v_sub_nc_u32_e32 v82, 0x78, v11
	v_cmp_gt_u32_e32 vcc_lo, 0x79, v11
	v_or_b32_e32 v83, 0x800000, v66
	s_delay_alu instid0(VALU_DEP_3) | instskip(SKIP_2) | instid1(VALU_DEP_3)
	v_cndmask_b32_e32 v82, 0, v82, vcc_lo
	v_cmp_eq_u32_e32 vcc_lo, 0, v11
	v_add_nc_u32_e32 v11, 0xffffff89, v11
	v_cndmask_b32_e64 v82, v82, 0x77, vcc_lo
	v_cndmask_b32_e32 v66, v83, v66, vcc_lo
	s_delay_alu instid0(VALU_DEP_3) | instskip(NEXT) | instid1(VALU_DEP_3)
	v_cndmask_b32_e64 v11, v11, 0xffffff8a, vcc_lo
	v_lshl_add_u32 v83, 0x100000, v82, -1
	s_delay_alu instid0(VALU_DEP_3) | instskip(SKIP_1) | instid1(VALU_DEP_4)
	v_lshrrev_b32_e32 v84, v82, v66
	v_lshlrev_b32_e64 v87, v82, 0x80000
	v_add_nc_u32_e32 v82, v82, v11
	s_delay_alu instid0(VALU_DEP_4) | instskip(NEXT) | instid1(VALU_DEP_4)
	v_and_b32_e32 v66, v83, v66
	v_bfe_u32 v86, v84, 20, 1
	s_delay_alu instid0(VALU_DEP_2) | instskip(NEXT) | instid1(VALU_DEP_2)
	v_cmp_eq_u32_e64 s10, v66, v87
	v_add_nc_u32_e32 v83, -1, v86
	s_delay_alu instid0(VALU_DEP_1) | instskip(SKIP_2) | instid1(VALU_DEP_2)
	v_cndmask_b32_e64 v66, 0, v83, s10
	v_lshrrev_b32_e32 v83, 23, v84
	s_mov_b32 s10, exec_lo
	v_add_nc_u32_e32 v66, v66, v84
	s_delay_alu instid0(VALU_DEP_2) | instskip(NEXT) | instid1(VALU_DEP_2)
	v_xor_b32_e32 v83, 1, v83
	v_and_b32_e32 v11, 0xfffff, v66
	s_delay_alu instid0(VALU_DEP_1) | instskip(NEXT) | instid1(VALU_DEP_3)
	v_add_nc_u32_e32 v66, v11, v84
                                        ; implicit-def: $vgpr11
	v_cmpx_ne_u32_e64 v82, v83
	s_xor_b32 s10, exec_lo, s10
; %bb.9756:                             ;   in Loop: Header=BB6_9656 Depth=2
	s_delay_alu instid0(VALU_DEP_2) | instskip(SKIP_2) | instid1(VALU_DEP_2)
	v_cmp_lt_u32_e32 vcc_lo, 0xffffff, v66
	v_sub_nc_u32_e32 v11, v82, v83
	v_cndmask_b32_e64 v82, 0, 1, vcc_lo
	v_add_co_ci_u32_e32 v11, vcc_lo, 0, v11, vcc_lo
	s_delay_alu instid0(VALU_DEP_2)
	v_lshrrev_b32_e32 v66, v82, v66
; %bb.9757:                             ;   in Loop: Header=BB6_9656 Depth=2
	s_and_not1_saveexec_b32 s10, s10
; %bb.9758:                             ;   in Loop: Header=BB6_9656 Depth=2
	s_delay_alu instid0(VALU_DEP_1)
	v_bfe_u32 v11, v66, 23, 1
; %bb.9759:                             ;   in Loop: Header=BB6_9656 Depth=2
	s_or_b32 exec_lo, exec_lo, s10
	v_lshrrev_b32_e32 v66, 20, v66
	s_delay_alu instid0(VALU_DEP_2) | instskip(SKIP_2) | instid1(VALU_DEP_3)
	v_min_i32_e32 v82, 15, v11
	v_cmp_gt_i32_e32 vcc_lo, 16, v11
	v_lshrrev_b32_e32 v10, 24, v10
	v_lshlrev_b32_e32 v82, 3, v82
	v_cndmask_b32_e32 v66, 7, v66, vcc_lo
	s_delay_alu instid0(VALU_DEP_3) | instskip(NEXT) | instid1(VALU_DEP_3)
	v_and_b32_e32 v10, 0x80, v10
	v_and_b32_e32 v82, 0xf8, v82
	s_delay_alu instid0(VALU_DEP_3) | instskip(SKIP_1) | instid1(VALU_DEP_2)
	v_and_b32_e32 v83, 7, v66
	v_or_b32_e32 v11, v11, v66
	v_or3_b32 v10, v10, v82, v83
	s_delay_alu instid0(VALU_DEP_2) | instskip(NEXT) | instid1(VALU_DEP_2)
	v_cmp_ne_u32_e32 vcc_lo, 0, v11
	v_lshlrev_b32_e32 v10, 8, v10
	s_delay_alu instid0(VALU_DEP_1)
	v_cndmask_b32_e32 v11, 0, v10, vcc_lo
.LBB6_9760:                             ;   in Loop: Header=BB6_9656 Depth=2
	s_or_b32 exec_lo, exec_lo, s24
.LBB6_9761:                             ;   in Loop: Header=BB6_9656 Depth=2
	s_delay_alu instid0(SALU_CYCLE_1) | instskip(SKIP_4) | instid1(VALU_DEP_1)
	s_or_b32 exec_lo, exec_lo, s23
	scratch_store_b32 off, v11, s33 offset:388 ; 4-byte Folded Spill
	v_and_b32_e32 v11, 0xff, v12
	s_mov_b32 s10, 0
	s_mov_b32 s24, exec_lo
                                        ; implicit-def: $sgpr23
	v_cmpx_lt_i16_e32 0x7f, v11
	s_xor_b32 s24, exec_lo, s24
	s_cbranch_execnz .LBB6_11231
; %bb.9762:                             ;   in Loop: Header=BB6_9656 Depth=2
	s_or_saveexec_b32 s24, s24
	v_mov_b32_e32 v10, s23
	s_xor_b32 exec_lo, exec_lo, s24
	s_cbranch_execnz .LBB6_11234
.LBB6_9763:                             ;   in Loop: Header=BB6_9656 Depth=2
	s_or_b32 exec_lo, exec_lo, s24
	s_and_saveexec_b32 s23, s10
	s_cbranch_execz .LBB6_9765
.LBB6_9764:                             ;   in Loop: Header=BB6_9656 Depth=2
	v_bfe_u32 v82, v12, 3, 4
	s_delay_alu instid0(VALU_DEP_1) | instskip(SKIP_1) | instid1(VALU_DEP_1)
	v_cmp_eq_u32_e32 vcc_lo, 0, v82
	v_and_b32_e32 v10, 7, v12
	v_clz_i32_u32_e32 v11, v10
	s_delay_alu instid0(VALU_DEP_1) | instskip(NEXT) | instid1(VALU_DEP_1)
	v_min_u32_e32 v11, 32, v11
	v_subrev_nc_u32_e32 v66, 28, v11
	v_sub_nc_u32_e32 v11, 29, v11
	s_delay_alu instid0(VALU_DEP_2) | instskip(NEXT) | instid1(VALU_DEP_1)
	v_lshlrev_b32_e32 v66, v66, v12
	v_dual_cndmask_b32 v11, v82, v11 :: v_dual_and_b32 v66, 7, v66
	v_lshlrev_b32_e32 v83, 24, v12
	s_delay_alu instid0(VALU_DEP_2) | instskip(NEXT) | instid1(VALU_DEP_3)
	v_lshl_add_u32 v11, v11, 23, 0x3b800000
	v_cndmask_b32_e32 v10, v10, v66, vcc_lo
	s_delay_alu instid0(VALU_DEP_3) | instskip(NEXT) | instid1(VALU_DEP_2)
	v_and_b32_e32 v66, 0x80000000, v83
	v_lshlrev_b32_e32 v10, 20, v10
	s_delay_alu instid0(VALU_DEP_1)
	v_or3_b32 v10, v66, v11, v10
.LBB6_9765:                             ;   in Loop: Header=BB6_9656 Depth=2
	s_or_b32 exec_lo, exec_lo, s23
	s_delay_alu instid0(VALU_DEP_1) | instskip(NEXT) | instid1(VALU_DEP_1)
	v_mul_f32_e32 v10, s22, v10
	v_and_b32_e32 v11, 0x7f800000, v10
	s_delay_alu instid0(VALU_DEP_1)
	v_cmp_ne_u32_e32 vcc_lo, 0x7f800000, v11
	v_mov_b32_e32 v11, 0x80
	scratch_store_b32 off, v11, s33 offset:332 ; 4-byte Folded Spill
	s_and_saveexec_b32 s23, vcc_lo
	s_cbranch_execz .LBB6_9773
; %bb.9766:                             ;   in Loop: Header=BB6_9656 Depth=2
	v_mov_b32_e32 v11, 0
	s_mov_b32 s24, exec_lo
	scratch_store_b32 off, v11, s33 offset:332 ; 4-byte Folded Spill
	v_cmpx_ne_u32_e32 0, v10
	s_cbranch_execz .LBB6_9772
; %bb.9767:                             ;   in Loop: Header=BB6_9656 Depth=2
	v_bfe_u32 v11, v10, 23, 8
	v_and_b32_e32 v66, 0x7fffff, v10
	s_delay_alu instid0(VALU_DEP_2) | instskip(SKIP_1) | instid1(VALU_DEP_3)
	v_sub_nc_u32_e32 v82, 0x78, v11
	v_cmp_gt_u32_e32 vcc_lo, 0x79, v11
	v_or_b32_e32 v83, 0x800000, v66
	s_delay_alu instid0(VALU_DEP_3) | instskip(SKIP_2) | instid1(VALU_DEP_3)
	v_cndmask_b32_e32 v82, 0, v82, vcc_lo
	v_cmp_eq_u32_e32 vcc_lo, 0, v11
	v_add_nc_u32_e32 v11, 0xffffff89, v11
	v_cndmask_b32_e64 v82, v82, 0x77, vcc_lo
	v_cndmask_b32_e32 v66, v83, v66, vcc_lo
	s_delay_alu instid0(VALU_DEP_3) | instskip(NEXT) | instid1(VALU_DEP_3)
	v_cndmask_b32_e64 v11, v11, 0xffffff8a, vcc_lo
	v_lshl_add_u32 v83, 0x100000, v82, -1
	s_delay_alu instid0(VALU_DEP_3) | instskip(SKIP_1) | instid1(VALU_DEP_4)
	v_lshrrev_b32_e32 v84, v82, v66
	v_lshlrev_b32_e64 v87, v82, 0x80000
	v_add_nc_u32_e32 v82, v82, v11
	s_delay_alu instid0(VALU_DEP_4) | instskip(NEXT) | instid1(VALU_DEP_4)
	v_and_b32_e32 v66, v83, v66
	v_bfe_u32 v86, v84, 20, 1
	s_delay_alu instid0(VALU_DEP_2) | instskip(NEXT) | instid1(VALU_DEP_2)
	v_cmp_eq_u32_e64 s10, v66, v87
	v_add_nc_u32_e32 v83, -1, v86
	s_delay_alu instid0(VALU_DEP_1) | instskip(SKIP_2) | instid1(VALU_DEP_2)
	v_cndmask_b32_e64 v66, 0, v83, s10
	v_lshrrev_b32_e32 v83, 23, v84
	s_mov_b32 s10, exec_lo
	v_add_nc_u32_e32 v66, v66, v84
	s_delay_alu instid0(VALU_DEP_2) | instskip(NEXT) | instid1(VALU_DEP_2)
	v_xor_b32_e32 v83, 1, v83
	v_and_b32_e32 v11, 0xfffff, v66
	s_delay_alu instid0(VALU_DEP_1) | instskip(NEXT) | instid1(VALU_DEP_3)
	v_add_nc_u32_e32 v66, v11, v84
                                        ; implicit-def: $vgpr11
	v_cmpx_ne_u32_e64 v82, v83
	s_xor_b32 s10, exec_lo, s10
; %bb.9768:                             ;   in Loop: Header=BB6_9656 Depth=2
	s_delay_alu instid0(VALU_DEP_2) | instskip(SKIP_2) | instid1(VALU_DEP_2)
	v_cmp_lt_u32_e32 vcc_lo, 0xffffff, v66
	v_sub_nc_u32_e32 v11, v82, v83
	v_cndmask_b32_e64 v82, 0, 1, vcc_lo
	v_add_co_ci_u32_e32 v11, vcc_lo, 0, v11, vcc_lo
	s_delay_alu instid0(VALU_DEP_2)
	v_lshrrev_b32_e32 v66, v82, v66
; %bb.9769:                             ;   in Loop: Header=BB6_9656 Depth=2
	s_and_not1_saveexec_b32 s10, s10
; %bb.9770:                             ;   in Loop: Header=BB6_9656 Depth=2
	s_delay_alu instid0(VALU_DEP_1)
	v_bfe_u32 v11, v66, 23, 1
; %bb.9771:                             ;   in Loop: Header=BB6_9656 Depth=2
	s_or_b32 exec_lo, exec_lo, s10
	v_lshrrev_b32_e32 v66, 20, v66
	s_delay_alu instid0(VALU_DEP_2) | instskip(SKIP_2) | instid1(VALU_DEP_4)
	v_cmp_gt_i32_e32 vcc_lo, 16, v11
	v_lshrrev_b32_e32 v10, 24, v10
	v_min_i32_e32 v82, 15, v11
	v_cndmask_b32_e32 v66, 7, v66, vcc_lo
	s_delay_alu instid0(VALU_DEP_3) | instskip(NEXT) | instid1(VALU_DEP_3)
	v_and_b32_e32 v10, 0x80, v10
	v_lshlrev_b32_e32 v82, 3, v82
	s_delay_alu instid0(VALU_DEP_3) | instskip(SKIP_1) | instid1(VALU_DEP_2)
	v_and_b32_e32 v83, 7, v66
	v_or_b32_e32 v11, v11, v66
	v_or3_b32 v10, v82, v10, v83
	s_delay_alu instid0(VALU_DEP_2) | instskip(NEXT) | instid1(VALU_DEP_2)
	v_cmp_ne_u32_e32 vcc_lo, 0, v11
	v_cndmask_b32_e32 v10, 0, v10, vcc_lo
	scratch_store_b32 off, v10, s33 offset:332 ; 4-byte Folded Spill
.LBB6_9772:                             ;   in Loop: Header=BB6_9656 Depth=2
	s_or_b32 exec_lo, exec_lo, s24
.LBB6_9773:                             ;   in Loop: Header=BB6_9656 Depth=2
	s_delay_alu instid0(SALU_CYCLE_1) | instskip(SKIP_3) | instid1(VALU_DEP_1)
	s_or_b32 exec_lo, exec_lo, s23
	v_lshrrev_b16 v10, 8, v12
	s_mov_b32 s10, 0
	s_mov_b32 s24, exec_lo
                                        ; implicit-def: $sgpr23
	v_cmpx_lt_i16_e32 0x7f, v10
	s_xor_b32 s24, exec_lo, s24
	s_cbranch_execnz .LBB6_11235
; %bb.9774:                             ;   in Loop: Header=BB6_9656 Depth=2
	s_or_saveexec_b32 s24, s24
	v_mov_b32_e32 v11, s23
	s_xor_b32 exec_lo, exec_lo, s24
	s_cbranch_execnz .LBB6_11238
.LBB6_9775:                             ;   in Loop: Header=BB6_9656 Depth=2
	s_or_b32 exec_lo, exec_lo, s24
	s_and_saveexec_b32 s23, s10
	s_cbranch_execz .LBB6_9777
.LBB6_9776:                             ;   in Loop: Header=BB6_9656 Depth=2
	v_and_b32_e32 v11, 0xffff, v10
	v_lshlrev_b32_e32 v10, 24, v10
	s_delay_alu instid0(VALU_DEP_2) | instskip(NEXT) | instid1(VALU_DEP_2)
	v_and_b32_e32 v66, 7, v11
	v_and_b32_e32 v10, 0x80000000, v10
	s_delay_alu instid0(VALU_DEP_2) | instskip(NEXT) | instid1(VALU_DEP_1)
	v_clz_i32_u32_e32 v82, v66
	v_min_u32_e32 v82, 32, v82
	s_delay_alu instid0(VALU_DEP_1) | instskip(SKIP_1) | instid1(VALU_DEP_2)
	v_subrev_nc_u32_e32 v83, 28, v82
	v_sub_nc_u32_e32 v82, 29, v82
	v_lshlrev_b32_e32 v83, v83, v11
	v_bfe_u32 v11, v11, 3, 4
	s_delay_alu instid0(VALU_DEP_2) | instskip(NEXT) | instid1(VALU_DEP_2)
	v_and_b32_e32 v83, 7, v83
	v_cmp_eq_u32_e32 vcc_lo, 0, v11
	s_delay_alu instid0(VALU_DEP_2) | instskip(NEXT) | instid1(VALU_DEP_1)
	v_dual_cndmask_b32 v11, v11, v82 :: v_dual_cndmask_b32 v66, v66, v83
	v_lshl_add_u32 v11, v11, 23, 0x3b800000
	s_delay_alu instid0(VALU_DEP_2) | instskip(NEXT) | instid1(VALU_DEP_1)
	v_lshlrev_b32_e32 v66, 20, v66
	v_or3_b32 v11, v10, v11, v66
.LBB6_9777:                             ;   in Loop: Header=BB6_9656 Depth=2
	s_or_b32 exec_lo, exec_lo, s23
	s_delay_alu instid0(VALU_DEP_1) | instskip(NEXT) | instid1(VALU_DEP_1)
	v_mul_f32_e32 v10, s22, v11
	v_and_b32_e32 v11, 0x7f800000, v10
	s_delay_alu instid0(VALU_DEP_1)
	v_cmp_ne_u32_e32 vcc_lo, 0x7f800000, v11
	v_mov_b32_e32 v11, 0x80
	s_and_saveexec_b32 s23, vcc_lo
	s_cbranch_execz .LBB6_9785
; %bb.9778:                             ;   in Loop: Header=BB6_9656 Depth=2
	v_mov_b32_e32 v11, 0
	s_mov_b32 s24, exec_lo
	v_cmpx_ne_u32_e32 0, v10
	s_cbranch_execz .LBB6_9784
; %bb.9779:                             ;   in Loop: Header=BB6_9656 Depth=2
	v_bfe_u32 v11, v10, 23, 8
	v_and_b32_e32 v66, 0x7fffff, v10
	s_delay_alu instid0(VALU_DEP_2) | instskip(SKIP_1) | instid1(VALU_DEP_3)
	v_sub_nc_u32_e32 v82, 0x78, v11
	v_cmp_gt_u32_e32 vcc_lo, 0x79, v11
	v_or_b32_e32 v83, 0x800000, v66
	s_delay_alu instid0(VALU_DEP_3) | instskip(SKIP_2) | instid1(VALU_DEP_3)
	v_cndmask_b32_e32 v82, 0, v82, vcc_lo
	v_cmp_eq_u32_e32 vcc_lo, 0, v11
	v_add_nc_u32_e32 v11, 0xffffff89, v11
	v_cndmask_b32_e64 v82, v82, 0x77, vcc_lo
	v_cndmask_b32_e32 v66, v83, v66, vcc_lo
	s_delay_alu instid0(VALU_DEP_3) | instskip(NEXT) | instid1(VALU_DEP_3)
	v_cndmask_b32_e64 v11, v11, 0xffffff8a, vcc_lo
	v_lshl_add_u32 v83, 0x100000, v82, -1
	s_delay_alu instid0(VALU_DEP_3) | instskip(SKIP_1) | instid1(VALU_DEP_4)
	v_lshrrev_b32_e32 v84, v82, v66
	v_lshlrev_b32_e64 v87, v82, 0x80000
	v_add_nc_u32_e32 v82, v82, v11
	s_delay_alu instid0(VALU_DEP_4) | instskip(NEXT) | instid1(VALU_DEP_4)
	v_and_b32_e32 v66, v83, v66
	v_bfe_u32 v86, v84, 20, 1
	s_delay_alu instid0(VALU_DEP_2) | instskip(NEXT) | instid1(VALU_DEP_2)
	v_cmp_eq_u32_e64 s10, v66, v87
	v_add_nc_u32_e32 v83, -1, v86
	s_delay_alu instid0(VALU_DEP_1) | instskip(SKIP_2) | instid1(VALU_DEP_2)
	v_cndmask_b32_e64 v66, 0, v83, s10
	v_lshrrev_b32_e32 v83, 23, v84
	s_mov_b32 s10, exec_lo
	v_add_nc_u32_e32 v66, v66, v84
	s_delay_alu instid0(VALU_DEP_2) | instskip(NEXT) | instid1(VALU_DEP_2)
	v_xor_b32_e32 v83, 1, v83
	v_and_b32_e32 v11, 0xfffff, v66
	s_delay_alu instid0(VALU_DEP_1) | instskip(NEXT) | instid1(VALU_DEP_3)
	v_add_nc_u32_e32 v66, v11, v84
                                        ; implicit-def: $vgpr11
	v_cmpx_ne_u32_e64 v82, v83
	s_xor_b32 s10, exec_lo, s10
; %bb.9780:                             ;   in Loop: Header=BB6_9656 Depth=2
	s_delay_alu instid0(VALU_DEP_2) | instskip(SKIP_2) | instid1(VALU_DEP_2)
	v_cmp_lt_u32_e32 vcc_lo, 0xffffff, v66
	v_sub_nc_u32_e32 v11, v82, v83
	v_cndmask_b32_e64 v82, 0, 1, vcc_lo
	v_add_co_ci_u32_e32 v11, vcc_lo, 0, v11, vcc_lo
	s_delay_alu instid0(VALU_DEP_2)
	v_lshrrev_b32_e32 v66, v82, v66
; %bb.9781:                             ;   in Loop: Header=BB6_9656 Depth=2
	s_and_not1_saveexec_b32 s10, s10
; %bb.9782:                             ;   in Loop: Header=BB6_9656 Depth=2
	s_delay_alu instid0(VALU_DEP_1)
	v_bfe_u32 v11, v66, 23, 1
; %bb.9783:                             ;   in Loop: Header=BB6_9656 Depth=2
	s_or_b32 exec_lo, exec_lo, s10
	v_lshrrev_b32_e32 v66, 20, v66
	s_delay_alu instid0(VALU_DEP_2) | instskip(SKIP_2) | instid1(VALU_DEP_4)
	v_cmp_gt_i32_e32 vcc_lo, 16, v11
	v_lshrrev_b32_e32 v10, 24, v10
	v_min_i32_e32 v82, 15, v11
	v_cndmask_b32_e32 v66, 7, v66, vcc_lo
	s_delay_alu instid0(VALU_DEP_3) | instskip(NEXT) | instid1(VALU_DEP_3)
	v_and_b32_e32 v10, 0x80, v10
	v_lshlrev_b32_e32 v82, 3, v82
	s_delay_alu instid0(VALU_DEP_3) | instskip(SKIP_1) | instid1(VALU_DEP_2)
	v_and_b32_e32 v83, 7, v66
	v_or_b32_e32 v11, v11, v66
	v_or3_b32 v10, v82, v10, v83
	s_delay_alu instid0(VALU_DEP_2) | instskip(NEXT) | instid1(VALU_DEP_2)
	v_cmp_ne_u32_e32 vcc_lo, 0, v11
	v_cndmask_b32_e32 v11, 0, v10, vcc_lo
.LBB6_9784:                             ;   in Loop: Header=BB6_9656 Depth=2
	s_or_b32 exec_lo, exec_lo, s24
.LBB6_9785:                             ;   in Loop: Header=BB6_9656 Depth=2
	s_delay_alu instid0(SALU_CYCLE_1)
	s_or_b32 exec_lo, exec_lo, s23
	v_lshrrev_b32_e32 v10, 16, v12
	s_mov_b32 s10, 0
	s_mov_b32 s24, exec_lo
	scratch_store_b32 off, v11, s33 offset:392 ; 4-byte Folded Spill
                                        ; implicit-def: $sgpr23
	v_and_b32_e32 v66, 0xff, v10
	s_delay_alu instid0(VALU_DEP_1)
	v_cmpx_lt_i16_e32 0x7f, v66
	s_xor_b32 s24, exec_lo, s24
	s_cbranch_execnz .LBB6_11239
; %bb.9786:                             ;   in Loop: Header=BB6_9656 Depth=2
	s_or_saveexec_b32 s24, s24
	v_mov_b32_e32 v11, s23
	s_xor_b32 exec_lo, exec_lo, s24
	s_cbranch_execnz .LBB6_11242
.LBB6_9787:                             ;   in Loop: Header=BB6_9656 Depth=2
	s_or_b32 exec_lo, exec_lo, s24
	s_and_saveexec_b32 s23, s10
	s_cbranch_execz .LBB6_9789
.LBB6_9788:                             ;   in Loop: Header=BB6_9656 Depth=2
	v_bfe_u32 v11, v12, 16, 3
	s_delay_alu instid0(VALU_DEP_1) | instskip(NEXT) | instid1(VALU_DEP_1)
	v_clz_i32_u32_e32 v66, v11
	v_min_u32_e32 v66, 32, v66
	s_delay_alu instid0(VALU_DEP_1) | instskip(SKIP_1) | instid1(VALU_DEP_2)
	v_subrev_nc_u32_e32 v82, 28, v66
	v_sub_nc_u32_e32 v66, 29, v66
	v_lshlrev_b32_e32 v10, v82, v10
	v_bfe_u32 v82, v12, 19, 4
	s_delay_alu instid0(VALU_DEP_2) | instskip(NEXT) | instid1(VALU_DEP_2)
	v_and_b32_e32 v10, 7, v10
	v_cmp_eq_u32_e32 vcc_lo, 0, v82
	v_dual_cndmask_b32 v66, v82, v66 :: v_dual_lshlrev_b32 v83, 8, v12
	s_delay_alu instid0(VALU_DEP_1) | instskip(NEXT) | instid1(VALU_DEP_2)
	v_dual_cndmask_b32 v10, v11, v10 :: v_dual_and_b32 v11, 0x80000000, v83
	v_lshl_add_u32 v66, v66, 23, 0x3b800000
	s_delay_alu instid0(VALU_DEP_2) | instskip(NEXT) | instid1(VALU_DEP_1)
	v_lshlrev_b32_e32 v10, 20, v10
	v_or3_b32 v11, v11, v66, v10
.LBB6_9789:                             ;   in Loop: Header=BB6_9656 Depth=2
	s_or_b32 exec_lo, exec_lo, s23
	s_delay_alu instid0(VALU_DEP_1) | instskip(NEXT) | instid1(VALU_DEP_1)
	v_mul_f32_e32 v10, s22, v11
	v_and_b32_e32 v11, 0x7f800000, v10
	s_delay_alu instid0(VALU_DEP_1)
	v_cmp_ne_u32_e32 vcc_lo, 0x7f800000, v11
	v_mov_b32_e32 v11, 0x80
	scratch_store_b32 off, v11, s33 offset:336 ; 4-byte Folded Spill
	s_and_saveexec_b32 s23, vcc_lo
	s_cbranch_execz .LBB6_9797
; %bb.9790:                             ;   in Loop: Header=BB6_9656 Depth=2
	v_mov_b32_e32 v11, 0
	s_mov_b32 s24, exec_lo
	scratch_store_b32 off, v11, s33 offset:336 ; 4-byte Folded Spill
	v_cmpx_ne_u32_e32 0, v10
	s_cbranch_execz .LBB6_9796
; %bb.9791:                             ;   in Loop: Header=BB6_9656 Depth=2
	v_bfe_u32 v11, v10, 23, 8
	v_and_b32_e32 v66, 0x7fffff, v10
	s_delay_alu instid0(VALU_DEP_2) | instskip(SKIP_1) | instid1(VALU_DEP_3)
	v_sub_nc_u32_e32 v82, 0x78, v11
	v_cmp_gt_u32_e32 vcc_lo, 0x79, v11
	v_or_b32_e32 v83, 0x800000, v66
	s_delay_alu instid0(VALU_DEP_3) | instskip(SKIP_2) | instid1(VALU_DEP_3)
	v_cndmask_b32_e32 v82, 0, v82, vcc_lo
	v_cmp_eq_u32_e32 vcc_lo, 0, v11
	v_add_nc_u32_e32 v11, 0xffffff89, v11
	v_cndmask_b32_e64 v82, v82, 0x77, vcc_lo
	v_cndmask_b32_e32 v66, v83, v66, vcc_lo
	s_delay_alu instid0(VALU_DEP_3) | instskip(NEXT) | instid1(VALU_DEP_3)
	v_cndmask_b32_e64 v11, v11, 0xffffff8a, vcc_lo
	v_lshl_add_u32 v83, 0x100000, v82, -1
	s_delay_alu instid0(VALU_DEP_3) | instskip(SKIP_1) | instid1(VALU_DEP_4)
	v_lshrrev_b32_e32 v84, v82, v66
	v_lshlrev_b32_e64 v87, v82, 0x80000
	v_add_nc_u32_e32 v82, v82, v11
	s_delay_alu instid0(VALU_DEP_4) | instskip(NEXT) | instid1(VALU_DEP_4)
	v_and_b32_e32 v66, v83, v66
	v_bfe_u32 v86, v84, 20, 1
	s_delay_alu instid0(VALU_DEP_2) | instskip(NEXT) | instid1(VALU_DEP_2)
	v_cmp_eq_u32_e64 s10, v66, v87
	v_add_nc_u32_e32 v83, -1, v86
	s_delay_alu instid0(VALU_DEP_1) | instskip(SKIP_2) | instid1(VALU_DEP_2)
	v_cndmask_b32_e64 v66, 0, v83, s10
	v_lshrrev_b32_e32 v83, 23, v84
	s_mov_b32 s10, exec_lo
	v_add_nc_u32_e32 v66, v66, v84
	s_delay_alu instid0(VALU_DEP_2) | instskip(NEXT) | instid1(VALU_DEP_2)
	v_xor_b32_e32 v83, 1, v83
	v_and_b32_e32 v11, 0xfffff, v66
	s_delay_alu instid0(VALU_DEP_1) | instskip(NEXT) | instid1(VALU_DEP_3)
	v_add_nc_u32_e32 v66, v11, v84
                                        ; implicit-def: $vgpr11
	v_cmpx_ne_u32_e64 v82, v83
	s_xor_b32 s10, exec_lo, s10
; %bb.9792:                             ;   in Loop: Header=BB6_9656 Depth=2
	s_delay_alu instid0(VALU_DEP_2) | instskip(SKIP_2) | instid1(VALU_DEP_2)
	v_cmp_lt_u32_e32 vcc_lo, 0xffffff, v66
	v_sub_nc_u32_e32 v11, v82, v83
	v_cndmask_b32_e64 v82, 0, 1, vcc_lo
	v_add_co_ci_u32_e32 v11, vcc_lo, 0, v11, vcc_lo
	s_delay_alu instid0(VALU_DEP_2)
	v_lshrrev_b32_e32 v66, v82, v66
; %bb.9793:                             ;   in Loop: Header=BB6_9656 Depth=2
	s_and_not1_saveexec_b32 s10, s10
; %bb.9794:                             ;   in Loop: Header=BB6_9656 Depth=2
	s_delay_alu instid0(VALU_DEP_1)
	v_bfe_u32 v11, v66, 23, 1
; %bb.9795:                             ;   in Loop: Header=BB6_9656 Depth=2
	s_or_b32 exec_lo, exec_lo, s10
	v_lshrrev_b32_e32 v66, 20, v66
	s_delay_alu instid0(VALU_DEP_2) | instskip(SKIP_2) | instid1(VALU_DEP_4)
	v_cmp_gt_i32_e32 vcc_lo, 16, v11
	v_lshrrev_b32_e32 v10, 24, v10
	v_min_i32_e32 v82, 15, v11
	v_cndmask_b32_e32 v66, 7, v66, vcc_lo
	s_delay_alu instid0(VALU_DEP_3) | instskip(NEXT) | instid1(VALU_DEP_3)
	v_and_b32_e32 v10, 0x80, v10
	v_lshlrev_b32_e32 v82, 3, v82
	s_delay_alu instid0(VALU_DEP_3) | instskip(SKIP_1) | instid1(VALU_DEP_2)
	v_and_b32_e32 v83, 7, v66
	v_or_b32_e32 v11, v11, v66
	v_or3_b32 v10, v82, v10, v83
	s_delay_alu instid0(VALU_DEP_2) | instskip(NEXT) | instid1(VALU_DEP_2)
	v_cmp_ne_u32_e32 vcc_lo, 0, v11
	v_cndmask_b32_e32 v10, 0, v10, vcc_lo
	scratch_store_b32 off, v10, s33 offset:336 ; 4-byte Folded Spill
.LBB6_9796:                             ;   in Loop: Header=BB6_9656 Depth=2
	s_or_b32 exec_lo, exec_lo, s24
.LBB6_9797:                             ;   in Loop: Header=BB6_9656 Depth=2
	s_delay_alu instid0(SALU_CYCLE_1) | instskip(SKIP_3) | instid1(VALU_DEP_1)
	s_or_b32 exec_lo, exec_lo, s23
	v_lshrrev_b32_e32 v10, 24, v12
	s_mov_b32 s10, 0
	s_mov_b32 s24, exec_lo
                                        ; implicit-def: $sgpr23
	v_cmpx_lt_i16_e32 0x7f, v10
	s_xor_b32 s24, exec_lo, s24
	s_cbranch_execnz .LBB6_11243
; %bb.9798:                             ;   in Loop: Header=BB6_9656 Depth=2
	s_or_saveexec_b32 s24, s24
	v_mov_b32_e32 v11, s23
	s_xor_b32 exec_lo, exec_lo, s24
	s_cbranch_execnz .LBB6_11246
.LBB6_9799:                             ;   in Loop: Header=BB6_9656 Depth=2
	s_or_b32 exec_lo, exec_lo, s24
	s_and_saveexec_b32 s23, s10
	s_cbranch_execz .LBB6_9801
.LBB6_9800:                             ;   in Loop: Header=BB6_9656 Depth=2
	v_bfe_u32 v11, v12, 24, 3
	s_delay_alu instid0(VALU_DEP_1) | instskip(NEXT) | instid1(VALU_DEP_1)
	v_clz_i32_u32_e32 v66, v11
	v_min_u32_e32 v66, 32, v66
	s_delay_alu instid0(VALU_DEP_1) | instskip(SKIP_1) | instid1(VALU_DEP_2)
	v_subrev_nc_u32_e32 v82, 28, v66
	v_sub_nc_u32_e32 v66, 29, v66
	v_lshlrev_b32_e32 v10, v82, v10
	v_bfe_u32 v82, v12, 27, 4
	s_delay_alu instid0(VALU_DEP_2) | instskip(NEXT) | instid1(VALU_DEP_2)
	v_and_b32_e32 v10, 7, v10
	v_cmp_eq_u32_e32 vcc_lo, 0, v82
	v_cndmask_b32_e32 v66, v82, v66, vcc_lo
	s_delay_alu instid0(VALU_DEP_3) | instskip(NEXT) | instid1(VALU_DEP_2)
	v_dual_cndmask_b32 v10, v11, v10 :: v_dual_and_b32 v11, 0x80000000, v12
	v_lshl_add_u32 v12, v66, 23, 0x3b800000
	s_delay_alu instid0(VALU_DEP_2) | instskip(NEXT) | instid1(VALU_DEP_1)
	v_lshlrev_b32_e32 v10, 20, v10
	v_or3_b32 v11, v11, v12, v10
.LBB6_9801:                             ;   in Loop: Header=BB6_9656 Depth=2
	s_or_b32 exec_lo, exec_lo, s23
	s_delay_alu instid0(VALU_DEP_1) | instskip(NEXT) | instid1(VALU_DEP_1)
	v_mul_f32_e32 v10, s22, v11
	v_and_b32_e32 v11, 0x7f800000, v10
	s_delay_alu instid0(VALU_DEP_1)
	v_cmp_ne_u32_e32 vcc_lo, 0x7f800000, v11
	v_mov_b32_e32 v11, 0x80
	s_and_saveexec_b32 s23, vcc_lo
	s_cbranch_execz .LBB6_9809
; %bb.9802:                             ;   in Loop: Header=BB6_9656 Depth=2
	v_mov_b32_e32 v11, 0
	s_mov_b32 s24, exec_lo
	v_cmpx_ne_u32_e32 0, v10
	s_cbranch_execz .LBB6_9808
; %bb.9803:                             ;   in Loop: Header=BB6_9656 Depth=2
	v_bfe_u32 v11, v10, 23, 8
	v_and_b32_e32 v12, 0x7fffff, v10
	s_delay_alu instid0(VALU_DEP_2) | instskip(SKIP_1) | instid1(VALU_DEP_3)
	v_sub_nc_u32_e32 v66, 0x78, v11
	v_cmp_gt_u32_e32 vcc_lo, 0x79, v11
	v_or_b32_e32 v82, 0x800000, v12
	s_delay_alu instid0(VALU_DEP_3) | instskip(SKIP_2) | instid1(VALU_DEP_3)
	v_cndmask_b32_e32 v66, 0, v66, vcc_lo
	v_cmp_eq_u32_e32 vcc_lo, 0, v11
	v_add_nc_u32_e32 v11, 0xffffff89, v11
	v_cndmask_b32_e64 v66, v66, 0x77, vcc_lo
	v_cndmask_b32_e32 v12, v82, v12, vcc_lo
	s_delay_alu instid0(VALU_DEP_3) | instskip(NEXT) | instid1(VALU_DEP_3)
	v_cndmask_b32_e64 v11, v11, 0xffffff8a, vcc_lo
	v_lshl_add_u32 v82, 0x100000, v66, -1
	s_delay_alu instid0(VALU_DEP_3) | instskip(SKIP_1) | instid1(VALU_DEP_4)
	v_lshrrev_b32_e32 v83, v66, v12
	v_lshlrev_b32_e64 v86, v66, 0x80000
	v_add_nc_u32_e32 v66, v66, v11
	s_delay_alu instid0(VALU_DEP_4) | instskip(NEXT) | instid1(VALU_DEP_4)
	v_and_b32_e32 v12, v82, v12
	v_bfe_u32 v84, v83, 20, 1
	s_delay_alu instid0(VALU_DEP_2) | instskip(NEXT) | instid1(VALU_DEP_2)
	v_cmp_eq_u32_e64 s10, v12, v86
	v_add_nc_u32_e32 v82, -1, v84
	s_delay_alu instid0(VALU_DEP_1) | instskip(SKIP_2) | instid1(VALU_DEP_2)
	v_cndmask_b32_e64 v12, 0, v82, s10
	v_lshrrev_b32_e32 v82, 23, v83
	s_mov_b32 s10, exec_lo
	v_add_nc_u32_e32 v12, v12, v83
	s_delay_alu instid0(VALU_DEP_2) | instskip(NEXT) | instid1(VALU_DEP_2)
	v_xor_b32_e32 v82, 1, v82
	v_and_b32_e32 v11, 0xfffff, v12
	s_delay_alu instid0(VALU_DEP_1) | instskip(NEXT) | instid1(VALU_DEP_3)
	v_add_nc_u32_e32 v12, v11, v83
                                        ; implicit-def: $vgpr11
	v_cmpx_ne_u32_e64 v66, v82
	s_xor_b32 s10, exec_lo, s10
; %bb.9804:                             ;   in Loop: Header=BB6_9656 Depth=2
	s_delay_alu instid0(VALU_DEP_2) | instskip(SKIP_2) | instid1(VALU_DEP_2)
	v_cmp_lt_u32_e32 vcc_lo, 0xffffff, v12
	v_sub_nc_u32_e32 v11, v66, v82
	v_cndmask_b32_e64 v66, 0, 1, vcc_lo
	v_add_co_ci_u32_e32 v11, vcc_lo, 0, v11, vcc_lo
	s_delay_alu instid0(VALU_DEP_2)
	v_lshrrev_b32_e32 v12, v66, v12
; %bb.9805:                             ;   in Loop: Header=BB6_9656 Depth=2
	s_and_not1_saveexec_b32 s10, s10
; %bb.9806:                             ;   in Loop: Header=BB6_9656 Depth=2
	s_delay_alu instid0(VALU_DEP_1)
	v_bfe_u32 v11, v12, 23, 1
; %bb.9807:                             ;   in Loop: Header=BB6_9656 Depth=2
	s_or_b32 exec_lo, exec_lo, s10
	v_lshrrev_b32_e32 v12, 20, v12
	s_delay_alu instid0(VALU_DEP_2) | instskip(SKIP_2) | instid1(VALU_DEP_4)
	v_cmp_gt_i32_e32 vcc_lo, 16, v11
	v_lshrrev_b32_e32 v10, 24, v10
	v_min_i32_e32 v66, 15, v11
	v_cndmask_b32_e32 v12, 7, v12, vcc_lo
	s_delay_alu instid0(VALU_DEP_3) | instskip(NEXT) | instid1(VALU_DEP_3)
	v_and_b32_e32 v10, 0x80, v10
	v_lshlrev_b32_e32 v66, 3, v66
	s_delay_alu instid0(VALU_DEP_3) | instskip(SKIP_1) | instid1(VALU_DEP_2)
	v_and_b32_e32 v82, 7, v12
	v_or_b32_e32 v11, v11, v12
	v_or3_b32 v10, v66, v10, v82
	s_delay_alu instid0(VALU_DEP_2) | instskip(NEXT) | instid1(VALU_DEP_2)
	v_cmp_ne_u32_e32 vcc_lo, 0, v11
	v_cndmask_b32_e32 v11, 0, v10, vcc_lo
.LBB6_9808:                             ;   in Loop: Header=BB6_9656 Depth=2
	s_or_b32 exec_lo, exec_lo, s24
.LBB6_9809:                             ;   in Loop: Header=BB6_9656 Depth=2
	s_delay_alu instid0(SALU_CYCLE_1) | instskip(SKIP_4) | instid1(VALU_DEP_1)
	s_or_b32 exec_lo, exec_lo, s23
	scratch_store_b32 off, v11, s33 offset:396 ; 4-byte Folded Spill
	v_and_b32_e32 v11, 0xff, v13
	s_mov_b32 s10, 0
	s_mov_b32 s24, exec_lo
                                        ; implicit-def: $sgpr23
	v_cmpx_lt_i16_e32 0x7f, v11
	s_xor_b32 s24, exec_lo, s24
	s_cbranch_execnz .LBB6_11247
; %bb.9810:                             ;   in Loop: Header=BB6_9656 Depth=2
	s_or_saveexec_b32 s24, s24
	v_mov_b32_e32 v10, s23
	s_xor_b32 exec_lo, exec_lo, s24
	s_cbranch_execnz .LBB6_11250
.LBB6_9811:                             ;   in Loop: Header=BB6_9656 Depth=2
	s_or_b32 exec_lo, exec_lo, s24
	s_and_saveexec_b32 s23, s10
	s_cbranch_execz .LBB6_9813
.LBB6_9812:                             ;   in Loop: Header=BB6_9656 Depth=2
	v_bfe_u32 v66, v13, 3, 4
	v_lshlrev_b32_e32 v82, 24, v13
	s_delay_alu instid0(VALU_DEP_2) | instskip(SKIP_1) | instid1(VALU_DEP_1)
	v_cmp_eq_u32_e32 vcc_lo, 0, v66
	v_and_b32_e32 v10, 7, v13
	v_clz_i32_u32_e32 v11, v10
	s_delay_alu instid0(VALU_DEP_1) | instskip(NEXT) | instid1(VALU_DEP_1)
	v_min_u32_e32 v11, 32, v11
	v_subrev_nc_u32_e32 v12, 28, v11
	v_sub_nc_u32_e32 v11, 29, v11
	s_delay_alu instid0(VALU_DEP_1) | instskip(NEXT) | instid1(VALU_DEP_1)
	v_dual_cndmask_b32 v11, v66, v11 :: v_dual_lshlrev_b32 v12, v12, v13
	v_and_b32_e32 v12, 7, v12
	s_delay_alu instid0(VALU_DEP_2) | instskip(NEXT) | instid1(VALU_DEP_2)
	v_lshl_add_u32 v11, v11, 23, 0x3b800000
	v_cndmask_b32_e32 v10, v10, v12, vcc_lo
	v_and_b32_e32 v12, 0x80000000, v82
	s_delay_alu instid0(VALU_DEP_2) | instskip(NEXT) | instid1(VALU_DEP_1)
	v_lshlrev_b32_e32 v10, 20, v10
	v_or3_b32 v10, v12, v11, v10
.LBB6_9813:                             ;   in Loop: Header=BB6_9656 Depth=2
	s_or_b32 exec_lo, exec_lo, s23
	s_delay_alu instid0(VALU_DEP_1) | instskip(NEXT) | instid1(VALU_DEP_1)
	v_mul_f32_e32 v10, s22, v10
	v_and_b32_e32 v11, 0x7f800000, v10
	s_delay_alu instid0(VALU_DEP_1)
	v_cmp_ne_u32_e32 vcc_lo, 0x7f800000, v11
	v_mov_b32_e32 v11, 0x80
	scratch_store_b32 off, v11, s33 offset:340 ; 4-byte Folded Spill
	s_and_saveexec_b32 s23, vcc_lo
	s_cbranch_execz .LBB6_9821
; %bb.9814:                             ;   in Loop: Header=BB6_9656 Depth=2
	v_mov_b32_e32 v11, 0
	s_mov_b32 s24, exec_lo
	scratch_store_b32 off, v11, s33 offset:340 ; 4-byte Folded Spill
	v_cmpx_ne_u32_e32 0, v10
	s_cbranch_execz .LBB6_9820
; %bb.9815:                             ;   in Loop: Header=BB6_9656 Depth=2
	v_bfe_u32 v11, v10, 23, 8
	v_and_b32_e32 v12, 0x7fffff, v10
	s_delay_alu instid0(VALU_DEP_2) | instskip(SKIP_1) | instid1(VALU_DEP_3)
	v_sub_nc_u32_e32 v66, 0x78, v11
	v_cmp_gt_u32_e32 vcc_lo, 0x79, v11
	v_or_b32_e32 v82, 0x800000, v12
	s_delay_alu instid0(VALU_DEP_3) | instskip(SKIP_2) | instid1(VALU_DEP_3)
	v_cndmask_b32_e32 v66, 0, v66, vcc_lo
	v_cmp_eq_u32_e32 vcc_lo, 0, v11
	v_add_nc_u32_e32 v11, 0xffffff89, v11
	v_cndmask_b32_e64 v66, v66, 0x77, vcc_lo
	v_cndmask_b32_e32 v12, v82, v12, vcc_lo
	s_delay_alu instid0(VALU_DEP_3) | instskip(NEXT) | instid1(VALU_DEP_3)
	v_cndmask_b32_e64 v11, v11, 0xffffff8a, vcc_lo
	v_lshl_add_u32 v82, 0x100000, v66, -1
	s_delay_alu instid0(VALU_DEP_3) | instskip(SKIP_1) | instid1(VALU_DEP_4)
	v_lshrrev_b32_e32 v83, v66, v12
	v_lshlrev_b32_e64 v86, v66, 0x80000
	v_add_nc_u32_e32 v66, v66, v11
	s_delay_alu instid0(VALU_DEP_4) | instskip(NEXT) | instid1(VALU_DEP_4)
	v_and_b32_e32 v12, v82, v12
	v_bfe_u32 v84, v83, 20, 1
	s_delay_alu instid0(VALU_DEP_2) | instskip(NEXT) | instid1(VALU_DEP_2)
	v_cmp_eq_u32_e64 s10, v12, v86
	v_add_nc_u32_e32 v82, -1, v84
	s_delay_alu instid0(VALU_DEP_1) | instskip(SKIP_2) | instid1(VALU_DEP_2)
	v_cndmask_b32_e64 v12, 0, v82, s10
	v_lshrrev_b32_e32 v82, 23, v83
	s_mov_b32 s10, exec_lo
	v_add_nc_u32_e32 v12, v12, v83
	s_delay_alu instid0(VALU_DEP_2) | instskip(NEXT) | instid1(VALU_DEP_2)
	v_xor_b32_e32 v82, 1, v82
	v_and_b32_e32 v11, 0xfffff, v12
	s_delay_alu instid0(VALU_DEP_1) | instskip(NEXT) | instid1(VALU_DEP_3)
	v_add_nc_u32_e32 v12, v11, v83
                                        ; implicit-def: $vgpr11
	v_cmpx_ne_u32_e64 v66, v82
	s_xor_b32 s10, exec_lo, s10
; %bb.9816:                             ;   in Loop: Header=BB6_9656 Depth=2
	s_delay_alu instid0(VALU_DEP_2) | instskip(SKIP_2) | instid1(VALU_DEP_2)
	v_cmp_lt_u32_e32 vcc_lo, 0xffffff, v12
	v_sub_nc_u32_e32 v11, v66, v82
	v_cndmask_b32_e64 v66, 0, 1, vcc_lo
	v_add_co_ci_u32_e32 v11, vcc_lo, 0, v11, vcc_lo
	s_delay_alu instid0(VALU_DEP_2)
	v_lshrrev_b32_e32 v12, v66, v12
; %bb.9817:                             ;   in Loop: Header=BB6_9656 Depth=2
	s_and_not1_saveexec_b32 s10, s10
; %bb.9818:                             ;   in Loop: Header=BB6_9656 Depth=2
	s_delay_alu instid0(VALU_DEP_1)
	v_bfe_u32 v11, v12, 23, 1
; %bb.9819:                             ;   in Loop: Header=BB6_9656 Depth=2
	s_or_b32 exec_lo, exec_lo, s10
	v_lshrrev_b32_e32 v12, 20, v12
	s_delay_alu instid0(VALU_DEP_2) | instskip(SKIP_2) | instid1(VALU_DEP_3)
	v_min_i32_e32 v66, 15, v11
	v_cmp_gt_i32_e32 vcc_lo, 16, v11
	v_lshrrev_b32_e32 v10, 24, v10
	v_lshlrev_b32_e32 v66, 3, v66
	v_cndmask_b32_e32 v12, 7, v12, vcc_lo
	s_delay_alu instid0(VALU_DEP_3) | instskip(NEXT) | instid1(VALU_DEP_3)
	v_and_b32_e32 v10, 0x80, v10
	v_and_b32_e32 v66, 0xf8, v66
	s_delay_alu instid0(VALU_DEP_3) | instskip(SKIP_1) | instid1(VALU_DEP_2)
	v_and_b32_e32 v82, 7, v12
	v_or_b32_e32 v11, v11, v12
	v_or3_b32 v10, v66, v10, v82
	s_delay_alu instid0(VALU_DEP_2) | instskip(NEXT) | instid1(VALU_DEP_2)
	v_cmp_ne_u32_e32 vcc_lo, 0, v11
	v_cndmask_b32_e32 v10, 0, v10, vcc_lo
	scratch_store_b32 off, v10, s33 offset:340 ; 4-byte Folded Spill
.LBB6_9820:                             ;   in Loop: Header=BB6_9656 Depth=2
	s_or_b32 exec_lo, exec_lo, s24
.LBB6_9821:                             ;   in Loop: Header=BB6_9656 Depth=2
	s_delay_alu instid0(SALU_CYCLE_1) | instskip(SKIP_3) | instid1(VALU_DEP_1)
	s_or_b32 exec_lo, exec_lo, s23
	v_lshrrev_b16 v10, 8, v13
	s_mov_b32 s10, 0
	s_mov_b32 s24, exec_lo
                                        ; implicit-def: $sgpr23
	v_cmpx_lt_i16_e32 0x7f, v10
	s_xor_b32 s24, exec_lo, s24
	s_cbranch_execnz .LBB6_11251
; %bb.9822:                             ;   in Loop: Header=BB6_9656 Depth=2
	s_or_saveexec_b32 s24, s24
	v_mov_b32_e32 v11, s23
	s_xor_b32 exec_lo, exec_lo, s24
	s_cbranch_execnz .LBB6_11254
.LBB6_9823:                             ;   in Loop: Header=BB6_9656 Depth=2
	s_or_b32 exec_lo, exec_lo, s24
	s_and_saveexec_b32 s23, s10
	s_cbranch_execz .LBB6_9825
.LBB6_9824:                             ;   in Loop: Header=BB6_9656 Depth=2
	v_and_b32_e32 v11, 0xffff, v10
	v_lshlrev_b32_e32 v10, 24, v10
	s_delay_alu instid0(VALU_DEP_2) | instskip(NEXT) | instid1(VALU_DEP_2)
	v_and_b32_e32 v12, 7, v11
	v_and_b32_e32 v10, 0x80000000, v10
	s_delay_alu instid0(VALU_DEP_2) | instskip(NEXT) | instid1(VALU_DEP_1)
	v_clz_i32_u32_e32 v66, v12
	v_min_u32_e32 v66, 32, v66
	s_delay_alu instid0(VALU_DEP_1) | instskip(SKIP_1) | instid1(VALU_DEP_2)
	v_subrev_nc_u32_e32 v82, 28, v66
	v_sub_nc_u32_e32 v66, 29, v66
	v_lshlrev_b32_e32 v82, v82, v11
	v_bfe_u32 v11, v11, 3, 4
	s_delay_alu instid0(VALU_DEP_2) | instskip(NEXT) | instid1(VALU_DEP_2)
	v_and_b32_e32 v82, 7, v82
	v_cmp_eq_u32_e32 vcc_lo, 0, v11
	v_cndmask_b32_e32 v11, v11, v66, vcc_lo
	s_delay_alu instid0(VALU_DEP_3) | instskip(NEXT) | instid1(VALU_DEP_2)
	v_cndmask_b32_e32 v12, v12, v82, vcc_lo
	v_lshl_add_u32 v11, v11, 23, 0x3b800000
	s_delay_alu instid0(VALU_DEP_2) | instskip(NEXT) | instid1(VALU_DEP_1)
	v_lshlrev_b32_e32 v12, 20, v12
	v_or3_b32 v11, v10, v11, v12
.LBB6_9825:                             ;   in Loop: Header=BB6_9656 Depth=2
	s_or_b32 exec_lo, exec_lo, s23
	s_delay_alu instid0(VALU_DEP_1) | instskip(NEXT) | instid1(VALU_DEP_1)
	v_mul_f32_e32 v10, s22, v11
	v_and_b32_e32 v11, 0x7f800000, v10
	s_delay_alu instid0(VALU_DEP_1)
	v_cmp_ne_u32_e32 vcc_lo, 0x7f800000, v11
	v_mov_b32_e32 v11, 0x8000
	s_and_saveexec_b32 s23, vcc_lo
	s_cbranch_execz .LBB6_9833
; %bb.9826:                             ;   in Loop: Header=BB6_9656 Depth=2
	v_mov_b32_e32 v11, 0
	s_mov_b32 s24, exec_lo
	v_cmpx_ne_u32_e32 0, v10
	s_cbranch_execz .LBB6_9832
; %bb.9827:                             ;   in Loop: Header=BB6_9656 Depth=2
	v_bfe_u32 v11, v10, 23, 8
	v_and_b32_e32 v12, 0x7fffff, v10
	s_delay_alu instid0(VALU_DEP_2) | instskip(SKIP_1) | instid1(VALU_DEP_3)
	v_sub_nc_u32_e32 v66, 0x78, v11
	v_cmp_gt_u32_e32 vcc_lo, 0x79, v11
	v_or_b32_e32 v82, 0x800000, v12
	s_delay_alu instid0(VALU_DEP_3) | instskip(SKIP_2) | instid1(VALU_DEP_3)
	v_cndmask_b32_e32 v66, 0, v66, vcc_lo
	v_cmp_eq_u32_e32 vcc_lo, 0, v11
	v_add_nc_u32_e32 v11, 0xffffff89, v11
	v_cndmask_b32_e64 v66, v66, 0x77, vcc_lo
	v_cndmask_b32_e32 v12, v82, v12, vcc_lo
	s_delay_alu instid0(VALU_DEP_3) | instskip(NEXT) | instid1(VALU_DEP_3)
	v_cndmask_b32_e64 v11, v11, 0xffffff8a, vcc_lo
	v_lshl_add_u32 v82, 0x100000, v66, -1
	s_delay_alu instid0(VALU_DEP_3) | instskip(SKIP_1) | instid1(VALU_DEP_4)
	v_lshrrev_b32_e32 v83, v66, v12
	v_lshlrev_b32_e64 v86, v66, 0x80000
	v_add_nc_u32_e32 v66, v66, v11
	s_delay_alu instid0(VALU_DEP_4) | instskip(NEXT) | instid1(VALU_DEP_4)
	v_and_b32_e32 v12, v82, v12
	v_bfe_u32 v84, v83, 20, 1
	s_delay_alu instid0(VALU_DEP_2) | instskip(NEXT) | instid1(VALU_DEP_2)
	v_cmp_eq_u32_e64 s10, v12, v86
	v_add_nc_u32_e32 v82, -1, v84
	s_delay_alu instid0(VALU_DEP_1) | instskip(SKIP_2) | instid1(VALU_DEP_2)
	v_cndmask_b32_e64 v12, 0, v82, s10
	v_lshrrev_b32_e32 v82, 23, v83
	s_mov_b32 s10, exec_lo
	v_add_nc_u32_e32 v12, v12, v83
	s_delay_alu instid0(VALU_DEP_2) | instskip(NEXT) | instid1(VALU_DEP_2)
	v_xor_b32_e32 v82, 1, v82
	v_and_b32_e32 v11, 0xfffff, v12
	s_delay_alu instid0(VALU_DEP_1) | instskip(NEXT) | instid1(VALU_DEP_3)
	v_add_nc_u32_e32 v12, v11, v83
                                        ; implicit-def: $vgpr11
	v_cmpx_ne_u32_e64 v66, v82
	s_xor_b32 s10, exec_lo, s10
; %bb.9828:                             ;   in Loop: Header=BB6_9656 Depth=2
	s_delay_alu instid0(VALU_DEP_2) | instskip(SKIP_2) | instid1(VALU_DEP_2)
	v_cmp_lt_u32_e32 vcc_lo, 0xffffff, v12
	v_sub_nc_u32_e32 v11, v66, v82
	v_cndmask_b32_e64 v66, 0, 1, vcc_lo
	v_add_co_ci_u32_e32 v11, vcc_lo, 0, v11, vcc_lo
	s_delay_alu instid0(VALU_DEP_2)
	v_lshrrev_b32_e32 v12, v66, v12
; %bb.9829:                             ;   in Loop: Header=BB6_9656 Depth=2
	s_and_not1_saveexec_b32 s10, s10
; %bb.9830:                             ;   in Loop: Header=BB6_9656 Depth=2
	s_delay_alu instid0(VALU_DEP_1)
	v_bfe_u32 v11, v12, 23, 1
; %bb.9831:                             ;   in Loop: Header=BB6_9656 Depth=2
	s_or_b32 exec_lo, exec_lo, s10
	v_lshrrev_b32_e32 v12, 20, v12
	s_delay_alu instid0(VALU_DEP_2) | instskip(SKIP_2) | instid1(VALU_DEP_3)
	v_min_i32_e32 v66, 15, v11
	v_cmp_gt_i32_e32 vcc_lo, 16, v11
	v_lshrrev_b32_e32 v10, 24, v10
	v_lshlrev_b32_e32 v66, 3, v66
	v_cndmask_b32_e32 v12, 7, v12, vcc_lo
	s_delay_alu instid0(VALU_DEP_3) | instskip(NEXT) | instid1(VALU_DEP_3)
	v_and_b32_e32 v10, 0x80, v10
	v_and_b32_e32 v66, 0xf8, v66
	s_delay_alu instid0(VALU_DEP_3) | instskip(SKIP_1) | instid1(VALU_DEP_2)
	v_and_b32_e32 v82, 7, v12
	v_or_b32_e32 v11, v11, v12
	v_or3_b32 v10, v10, v66, v82
	s_delay_alu instid0(VALU_DEP_2) | instskip(NEXT) | instid1(VALU_DEP_2)
	v_cmp_ne_u32_e32 vcc_lo, 0, v11
	v_lshlrev_b32_e32 v10, 8, v10
	s_delay_alu instid0(VALU_DEP_1)
	v_cndmask_b32_e32 v11, 0, v10, vcc_lo
.LBB6_9832:                             ;   in Loop: Header=BB6_9656 Depth=2
	s_or_b32 exec_lo, exec_lo, s24
.LBB6_9833:                             ;   in Loop: Header=BB6_9656 Depth=2
	s_delay_alu instid0(SALU_CYCLE_1)
	s_or_b32 exec_lo, exec_lo, s23
	v_lshrrev_b32_e32 v10, 16, v13
	s_mov_b32 s10, 0
	s_mov_b32 s24, exec_lo
	scratch_store_b32 off, v11, s33 offset:400 ; 4-byte Folded Spill
                                        ; implicit-def: $sgpr23
	v_and_b32_e32 v12, 0xff, v10
	s_delay_alu instid0(VALU_DEP_1)
	v_cmpx_lt_i16_e32 0x7f, v12
	s_xor_b32 s24, exec_lo, s24
	s_cbranch_execnz .LBB6_11255
; %bb.9834:                             ;   in Loop: Header=BB6_9656 Depth=2
	s_or_saveexec_b32 s24, s24
	v_mov_b32_e32 v11, s23
	s_xor_b32 exec_lo, exec_lo, s24
	s_cbranch_execnz .LBB6_11258
.LBB6_9835:                             ;   in Loop: Header=BB6_9656 Depth=2
	s_or_b32 exec_lo, exec_lo, s24
	s_and_saveexec_b32 s23, s10
	s_cbranch_execz .LBB6_9837
.LBB6_9836:                             ;   in Loop: Header=BB6_9656 Depth=2
	v_bfe_u32 v11, v13, 16, 3
	v_lshlrev_b32_e32 v82, 8, v13
	s_delay_alu instid0(VALU_DEP_2) | instskip(NEXT) | instid1(VALU_DEP_1)
	v_clz_i32_u32_e32 v12, v11
	v_min_u32_e32 v12, 32, v12
	s_delay_alu instid0(VALU_DEP_1) | instskip(SKIP_1) | instid1(VALU_DEP_2)
	v_subrev_nc_u32_e32 v66, 28, v12
	v_sub_nc_u32_e32 v12, 29, v12
	v_lshlrev_b32_e32 v10, v66, v10
	v_bfe_u32 v66, v13, 19, 4
	s_delay_alu instid0(VALU_DEP_2) | instskip(NEXT) | instid1(VALU_DEP_2)
	v_and_b32_e32 v10, 7, v10
	v_cmp_eq_u32_e32 vcc_lo, 0, v66
	v_cndmask_b32_e32 v12, v66, v12, vcc_lo
	s_delay_alu instid0(VALU_DEP_3) | instskip(SKIP_1) | instid1(VALU_DEP_3)
	v_cndmask_b32_e32 v10, v11, v10, vcc_lo
	v_and_b32_e32 v11, 0x80000000, v82
	v_lshl_add_u32 v12, v12, 23, 0x3b800000
	s_delay_alu instid0(VALU_DEP_3) | instskip(NEXT) | instid1(VALU_DEP_1)
	v_lshlrev_b32_e32 v10, 20, v10
	v_or3_b32 v11, v11, v12, v10
.LBB6_9837:                             ;   in Loop: Header=BB6_9656 Depth=2
	s_or_b32 exec_lo, exec_lo, s23
	s_delay_alu instid0(VALU_DEP_1) | instskip(SKIP_2) | instid1(VALU_DEP_2)
	v_mul_f32_e32 v10, s22, v11
	v_mov_b32_e32 v82, 0x80
	s_mov_b32 s23, exec_lo
	v_and_b32_e32 v11, 0x7f800000, v10
	s_delay_alu instid0(VALU_DEP_1)
	v_cmpx_ne_u32_e32 0x7f800000, v11
	s_cbranch_execz .LBB6_9845
; %bb.9838:                             ;   in Loop: Header=BB6_9656 Depth=2
	v_mov_b32_e32 v82, 0
	s_mov_b32 s24, exec_lo
	v_cmpx_ne_u32_e32 0, v10
	s_cbranch_execz .LBB6_9844
; %bb.9839:                             ;   in Loop: Header=BB6_9656 Depth=2
	v_bfe_u32 v11, v10, 23, 8
	v_and_b32_e32 v12, 0x7fffff, v10
	s_delay_alu instid0(VALU_DEP_2) | instskip(SKIP_1) | instid1(VALU_DEP_3)
	v_sub_nc_u32_e32 v66, 0x78, v11
	v_cmp_gt_u32_e32 vcc_lo, 0x79, v11
	v_or_b32_e32 v82, 0x800000, v12
	s_delay_alu instid0(VALU_DEP_3) | instskip(SKIP_2) | instid1(VALU_DEP_3)
	v_cndmask_b32_e32 v66, 0, v66, vcc_lo
	v_cmp_eq_u32_e32 vcc_lo, 0, v11
	v_add_nc_u32_e32 v11, 0xffffff89, v11
	v_cndmask_b32_e64 v66, v66, 0x77, vcc_lo
	v_cndmask_b32_e32 v12, v82, v12, vcc_lo
	s_delay_alu instid0(VALU_DEP_3) | instskip(NEXT) | instid1(VALU_DEP_3)
	v_cndmask_b32_e64 v11, v11, 0xffffff8a, vcc_lo
	v_lshl_add_u32 v82, 0x100000, v66, -1
	s_delay_alu instid0(VALU_DEP_3) | instskip(SKIP_1) | instid1(VALU_DEP_4)
	v_lshrrev_b32_e32 v83, v66, v12
	v_lshlrev_b32_e64 v86, v66, 0x80000
	v_add_nc_u32_e32 v66, v66, v11
	s_delay_alu instid0(VALU_DEP_4) | instskip(NEXT) | instid1(VALU_DEP_4)
	v_and_b32_e32 v12, v82, v12
	v_bfe_u32 v84, v83, 20, 1
	s_delay_alu instid0(VALU_DEP_2) | instskip(NEXT) | instid1(VALU_DEP_2)
	v_cmp_eq_u32_e64 s10, v12, v86
	v_add_nc_u32_e32 v82, -1, v84
	s_delay_alu instid0(VALU_DEP_1) | instskip(SKIP_2) | instid1(VALU_DEP_2)
	v_cndmask_b32_e64 v12, 0, v82, s10
	v_lshrrev_b32_e32 v82, 23, v83
	s_mov_b32 s10, exec_lo
	v_add_nc_u32_e32 v12, v12, v83
	s_delay_alu instid0(VALU_DEP_2) | instskip(NEXT) | instid1(VALU_DEP_2)
	v_xor_b32_e32 v82, 1, v82
	v_and_b32_e32 v11, 0xfffff, v12
	s_delay_alu instid0(VALU_DEP_1) | instskip(NEXT) | instid1(VALU_DEP_3)
	v_add_nc_u32_e32 v12, v11, v83
                                        ; implicit-def: $vgpr11
	v_cmpx_ne_u32_e64 v66, v82
	s_xor_b32 s10, exec_lo, s10
; %bb.9840:                             ;   in Loop: Header=BB6_9656 Depth=2
	s_delay_alu instid0(VALU_DEP_2) | instskip(SKIP_2) | instid1(VALU_DEP_2)
	v_cmp_lt_u32_e32 vcc_lo, 0xffffff, v12
	v_sub_nc_u32_e32 v11, v66, v82
	v_cndmask_b32_e64 v66, 0, 1, vcc_lo
	v_add_co_ci_u32_e32 v11, vcc_lo, 0, v11, vcc_lo
	s_delay_alu instid0(VALU_DEP_2)
	v_lshrrev_b32_e32 v12, v66, v12
; %bb.9841:                             ;   in Loop: Header=BB6_9656 Depth=2
	s_and_not1_saveexec_b32 s10, s10
; %bb.9842:                             ;   in Loop: Header=BB6_9656 Depth=2
	s_delay_alu instid0(VALU_DEP_1)
	v_bfe_u32 v11, v12, 23, 1
; %bb.9843:                             ;   in Loop: Header=BB6_9656 Depth=2
	s_or_b32 exec_lo, exec_lo, s10
	v_lshrrev_b32_e32 v12, 20, v12
	s_delay_alu instid0(VALU_DEP_2) | instskip(SKIP_2) | instid1(VALU_DEP_3)
	v_min_i32_e32 v66, 15, v11
	v_cmp_gt_i32_e32 vcc_lo, 16, v11
	v_lshrrev_b32_e32 v10, 24, v10
	v_lshlrev_b32_e32 v66, 3, v66
	v_cndmask_b32_e32 v12, 7, v12, vcc_lo
	s_delay_alu instid0(VALU_DEP_3) | instskip(NEXT) | instid1(VALU_DEP_3)
	v_and_b32_e32 v10, 0x80, v10
	v_and_b32_e32 v66, 0xf8, v66
	s_delay_alu instid0(VALU_DEP_3) | instskip(SKIP_1) | instid1(VALU_DEP_2)
	v_and_b32_e32 v82, 7, v12
	v_or_b32_e32 v11, v11, v12
	v_or3_b32 v10, v66, v10, v82
	s_delay_alu instid0(VALU_DEP_2) | instskip(NEXT) | instid1(VALU_DEP_2)
	v_cmp_ne_u32_e32 vcc_lo, 0, v11
	v_cndmask_b32_e32 v82, 0, v10, vcc_lo
.LBB6_9844:                             ;   in Loop: Header=BB6_9656 Depth=2
	s_or_b32 exec_lo, exec_lo, s24
.LBB6_9845:                             ;   in Loop: Header=BB6_9656 Depth=2
	s_delay_alu instid0(SALU_CYCLE_1) | instskip(SKIP_3) | instid1(VALU_DEP_1)
	s_or_b32 exec_lo, exec_lo, s23
	v_lshrrev_b32_e32 v10, 24, v13
	s_mov_b32 s10, 0
	s_mov_b32 s24, exec_lo
                                        ; implicit-def: $sgpr23
	v_cmpx_lt_i16_e32 0x7f, v10
	s_xor_b32 s24, exec_lo, s24
	s_cbranch_execnz .LBB6_11259
; %bb.9846:                             ;   in Loop: Header=BB6_9656 Depth=2
	s_or_saveexec_b32 s24, s24
	v_mov_b32_e32 v11, s23
	s_xor_b32 exec_lo, exec_lo, s24
	s_cbranch_execnz .LBB6_11262
.LBB6_9847:                             ;   in Loop: Header=BB6_9656 Depth=2
	s_or_b32 exec_lo, exec_lo, s24
	s_and_saveexec_b32 s23, s10
	s_cbranch_execz .LBB6_9849
.LBB6_9848:                             ;   in Loop: Header=BB6_9656 Depth=2
	v_bfe_u32 v11, v13, 24, 3
	s_delay_alu instid0(VALU_DEP_1) | instskip(NEXT) | instid1(VALU_DEP_1)
	v_clz_i32_u32_e32 v12, v11
	v_min_u32_e32 v12, 32, v12
	s_delay_alu instid0(VALU_DEP_1) | instskip(SKIP_1) | instid1(VALU_DEP_2)
	v_subrev_nc_u32_e32 v66, 28, v12
	v_sub_nc_u32_e32 v12, 29, v12
	v_lshlrev_b32_e32 v10, v66, v10
	v_bfe_u32 v66, v13, 27, 4
	s_delay_alu instid0(VALU_DEP_2) | instskip(NEXT) | instid1(VALU_DEP_2)
	v_and_b32_e32 v10, 7, v10
	v_cmp_eq_u32_e32 vcc_lo, 0, v66
	v_cndmask_b32_e32 v12, v66, v12, vcc_lo
	s_delay_alu instid0(VALU_DEP_3) | instskip(NEXT) | instid1(VALU_DEP_2)
	v_dual_cndmask_b32 v10, v11, v10 :: v_dual_and_b32 v11, 0x80000000, v13
	v_lshl_add_u32 v12, v12, 23, 0x3b800000
	s_delay_alu instid0(VALU_DEP_2) | instskip(NEXT) | instid1(VALU_DEP_1)
	v_lshlrev_b32_e32 v10, 20, v10
	v_or3_b32 v11, v11, v12, v10
.LBB6_9849:                             ;   in Loop: Header=BB6_9656 Depth=2
	s_or_b32 exec_lo, exec_lo, s23
	s_delay_alu instid0(VALU_DEP_1) | instskip(NEXT) | instid1(VALU_DEP_1)
	v_mul_f32_e32 v10, s22, v11
	v_and_b32_e32 v11, 0x7f800000, v10
	s_delay_alu instid0(VALU_DEP_1)
	v_cmp_ne_u32_e32 vcc_lo, 0x7f800000, v11
	v_mov_b32_e32 v11, 0x8000
	s_and_saveexec_b32 s23, vcc_lo
	s_cbranch_execz .LBB6_9857
; %bb.9850:                             ;   in Loop: Header=BB6_9656 Depth=2
	v_mov_b32_e32 v11, 0
	s_mov_b32 s24, exec_lo
	v_cmpx_ne_u32_e32 0, v10
	s_cbranch_execz .LBB6_9856
; %bb.9851:                             ;   in Loop: Header=BB6_9656 Depth=2
	v_bfe_u32 v11, v10, 23, 8
	v_and_b32_e32 v12, 0x7fffff, v10
	s_delay_alu instid0(VALU_DEP_2) | instskip(SKIP_2) | instid1(VALU_DEP_4)
	v_sub_nc_u32_e32 v13, 0x78, v11
	v_cmp_gt_u32_e32 vcc_lo, 0x79, v11
	v_mov_b32_e32 v86, v82
	v_or_b32_e32 v66, 0x800000, v12
	s_delay_alu instid0(VALU_DEP_4) | instskip(SKIP_2) | instid1(VALU_DEP_3)
	v_cndmask_b32_e32 v13, 0, v13, vcc_lo
	v_cmp_eq_u32_e32 vcc_lo, 0, v11
	v_add_nc_u32_e32 v11, 0xffffff89, v11
	v_cndmask_b32_e64 v13, v13, 0x77, vcc_lo
	v_cndmask_b32_e32 v12, v66, v12, vcc_lo
	s_delay_alu instid0(VALU_DEP_3) | instskip(NEXT) | instid1(VALU_DEP_3)
	v_cndmask_b32_e64 v11, v11, 0xffffff8a, vcc_lo
	v_lshl_add_u32 v66, 0x100000, v13, -1
	s_delay_alu instid0(VALU_DEP_3) | instskip(SKIP_1) | instid1(VALU_DEP_4)
	v_lshrrev_b32_e32 v82, v13, v12
	v_lshlrev_b32_e64 v84, v13, 0x80000
	v_add_nc_u32_e32 v13, v13, v11
	s_delay_alu instid0(VALU_DEP_4) | instskip(NEXT) | instid1(VALU_DEP_4)
	v_and_b32_e32 v12, v66, v12
	v_bfe_u32 v83, v82, 20, 1
	s_delay_alu instid0(VALU_DEP_2) | instskip(NEXT) | instid1(VALU_DEP_2)
	v_cmp_eq_u32_e64 s10, v12, v84
	v_add_nc_u32_e32 v66, -1, v83
	s_delay_alu instid0(VALU_DEP_1) | instskip(SKIP_2) | instid1(VALU_DEP_2)
	v_cndmask_b32_e64 v12, 0, v66, s10
	v_lshrrev_b32_e32 v66, 23, v82
	s_mov_b32 s10, exec_lo
	v_add_nc_u32_e32 v12, v12, v82
	s_delay_alu instid0(VALU_DEP_2) | instskip(NEXT) | instid1(VALU_DEP_2)
	v_xor_b32_e32 v66, 1, v66
	v_and_b32_e32 v11, 0xfffff, v12
	s_delay_alu instid0(VALU_DEP_1) | instskip(NEXT) | instid1(VALU_DEP_3)
	v_add_nc_u32_e32 v12, v11, v82
                                        ; implicit-def: $vgpr11
	v_cmpx_ne_u32_e64 v13, v66
	s_xor_b32 s10, exec_lo, s10
; %bb.9852:                             ;   in Loop: Header=BB6_9656 Depth=2
	s_delay_alu instid0(VALU_DEP_2) | instskip(SKIP_2) | instid1(VALU_DEP_2)
	v_cmp_lt_u32_e32 vcc_lo, 0xffffff, v12
	v_sub_nc_u32_e32 v11, v13, v66
	v_cndmask_b32_e64 v13, 0, 1, vcc_lo
	v_add_co_ci_u32_e32 v11, vcc_lo, 0, v11, vcc_lo
	s_delay_alu instid0(VALU_DEP_2)
	v_lshrrev_b32_e32 v12, v13, v12
; %bb.9853:                             ;   in Loop: Header=BB6_9656 Depth=2
	s_and_not1_saveexec_b32 s10, s10
; %bb.9854:                             ;   in Loop: Header=BB6_9656 Depth=2
	s_delay_alu instid0(VALU_DEP_1)
	v_bfe_u32 v11, v12, 23, 1
; %bb.9855:                             ;   in Loop: Header=BB6_9656 Depth=2
	s_or_b32 exec_lo, exec_lo, s10
	v_lshrrev_b32_e32 v12, 20, v12
	s_delay_alu instid0(VALU_DEP_2) | instskip(SKIP_3) | instid1(VALU_DEP_3)
	v_cmp_gt_i32_e32 vcc_lo, 16, v11
	v_min_i32_e32 v13, 15, v11
	v_lshrrev_b32_e32 v10, 24, v10
	v_mov_b32_e32 v82, v86
	v_dual_cndmask_b32 v12, 7, v12 :: v_dual_lshlrev_b32 v13, 3, v13
	s_delay_alu instid0(VALU_DEP_3) | instskip(NEXT) | instid1(VALU_DEP_2)
	v_and_b32_e32 v10, 0x80, v10
	v_or_b32_e32 v11, v11, v12
	s_delay_alu instid0(VALU_DEP_3) | instskip(NEXT) | instid1(VALU_DEP_2)
	v_and_b32_e32 v13, 0xf8, v13
	v_cmp_ne_u32_e32 vcc_lo, 0, v11
	v_and_b32_e32 v66, 7, v12
	s_delay_alu instid0(VALU_DEP_1) | instskip(NEXT) | instid1(VALU_DEP_1)
	v_or3_b32 v10, v10, v13, v66
	v_lshlrev_b32_e32 v10, 8, v10
	s_delay_alu instid0(VALU_DEP_1)
	v_cndmask_b32_e32 v11, 0, v10, vcc_lo
.LBB6_9856:                             ;   in Loop: Header=BB6_9656 Depth=2
	s_or_b32 exec_lo, exec_lo, s24
.LBB6_9857:                             ;   in Loop: Header=BB6_9656 Depth=2
	s_delay_alu instid0(SALU_CYCLE_1)
	s_or_b32 exec_lo, exec_lo, s23
	s_clause 0x1
	scratch_store_b32 off, v11, s33 offset:408
	scratch_store_b32 off, v82, s33 offset:404
	global_load_b128 v[10:13], v[23:24], off offset:512 slc dlc
	s_mov_b32 s10, 0
	s_mov_b32 s24, exec_lo
                                        ; implicit-def: $sgpr23
	s_waitcnt vmcnt(0)
	v_and_b32_e32 v82, 0xff, v10
	s_delay_alu instid0(VALU_DEP_1)
	v_cmpx_lt_i16_e32 0x7f, v82
	s_xor_b32 s24, exec_lo, s24
	s_cbranch_execnz .LBB6_11263
; %bb.9858:                             ;   in Loop: Header=BB6_9656 Depth=2
	s_or_saveexec_b32 s24, s24
	v_mov_b32_e32 v66, s23
	s_xor_b32 exec_lo, exec_lo, s24
	s_cbranch_execnz .LBB6_11266
.LBB6_9859:                             ;   in Loop: Header=BB6_9656 Depth=2
	s_or_b32 exec_lo, exec_lo, s24
	s_and_saveexec_b32 s23, s10
	s_cbranch_execz .LBB6_9861
.LBB6_9860:                             ;   in Loop: Header=BB6_9656 Depth=2
	v_and_b32_e32 v66, 7, v10
	v_bfe_u32 v84, v10, 3, 4
	v_lshlrev_b32_e32 v86, 24, v10
	s_delay_alu instid0(VALU_DEP_3) | instskip(NEXT) | instid1(VALU_DEP_3)
	v_clz_i32_u32_e32 v82, v66
	v_cmp_eq_u32_e32 vcc_lo, 0, v84
	s_delay_alu instid0(VALU_DEP_2) | instskip(NEXT) | instid1(VALU_DEP_1)
	v_min_u32_e32 v82, 32, v82
	v_subrev_nc_u32_e32 v83, 28, v82
	v_sub_nc_u32_e32 v82, 29, v82
	s_delay_alu instid0(VALU_DEP_2) | instskip(NEXT) | instid1(VALU_DEP_1)
	v_lshlrev_b32_e32 v83, v83, v10
	v_dual_cndmask_b32 v82, v84, v82 :: v_dual_and_b32 v83, 7, v83
	s_delay_alu instid0(VALU_DEP_1) | instskip(NEXT) | instid1(VALU_DEP_2)
	v_lshl_add_u32 v82, v82, 23, 0x3b800000
	v_dual_cndmask_b32 v66, v66, v83 :: v_dual_and_b32 v83, 0x80000000, v86
	s_delay_alu instid0(VALU_DEP_1) | instskip(NEXT) | instid1(VALU_DEP_1)
	v_lshlrev_b32_e32 v66, 20, v66
	v_or3_b32 v66, v83, v82, v66
.LBB6_9861:                             ;   in Loop: Header=BB6_9656 Depth=2
	s_or_b32 exec_lo, exec_lo, s23
	s_delay_alu instid0(VALU_DEP_1) | instskip(NEXT) | instid1(VALU_DEP_1)
	v_mul_f32_e32 v66, s22, v66
	v_and_b32_e32 v82, 0x7f800000, v66
	s_delay_alu instid0(VALU_DEP_1)
	v_cmp_ne_u32_e32 vcc_lo, 0x7f800000, v82
	v_mov_b32_e32 v82, 0x80
	scratch_store_b32 off, v82, s33 offset:344 ; 4-byte Folded Spill
	s_and_saveexec_b32 s23, vcc_lo
	s_cbranch_execz .LBB6_9869
; %bb.9862:                             ;   in Loop: Header=BB6_9656 Depth=2
	v_mov_b32_e32 v82, 0
	s_mov_b32 s24, exec_lo
	scratch_store_b32 off, v82, s33 offset:344 ; 4-byte Folded Spill
	v_cmpx_ne_u32_e32 0, v66
	s_cbranch_execz .LBB6_9868
; %bb.9863:                             ;   in Loop: Header=BB6_9656 Depth=2
	v_bfe_u32 v82, v66, 23, 8
	s_delay_alu instid0(VALU_DEP_1) | instskip(SKIP_1) | instid1(VALU_DEP_2)
	v_sub_nc_u32_e32 v84, 0x78, v82
	v_cmp_gt_u32_e32 vcc_lo, 0x79, v82
	v_dual_cndmask_b32 v84, 0, v84 :: v_dual_and_b32 v83, 0x7fffff, v66
	s_delay_alu instid0(VALU_DEP_1) | instskip(SKIP_2) | instid1(VALU_DEP_4)
	v_or_b32_e32 v86, 0x800000, v83
	v_cmp_eq_u32_e32 vcc_lo, 0, v82
	v_add_nc_u32_e32 v82, 0xffffff89, v82
	v_cndmask_b32_e64 v84, v84, 0x77, vcc_lo
	s_delay_alu instid0(VALU_DEP_4) | instskip(NEXT) | instid1(VALU_DEP_3)
	v_cndmask_b32_e32 v83, v86, v83, vcc_lo
	v_cndmask_b32_e64 v82, v82, 0xffffff8a, vcc_lo
	s_delay_alu instid0(VALU_DEP_3) | instskip(NEXT) | instid1(VALU_DEP_3)
	v_lshl_add_u32 v86, 0x100000, v84, -1
	v_lshrrev_b32_e32 v87, v84, v83
	v_lshlrev_b32_e64 v97, v84, 0x80000
	s_delay_alu instid0(VALU_DEP_4) | instskip(NEXT) | instid1(VALU_DEP_4)
	v_add_nc_u32_e32 v84, v84, v82
	v_and_b32_e32 v83, v86, v83
	s_delay_alu instid0(VALU_DEP_4) | instskip(NEXT) | instid1(VALU_DEP_2)
	v_bfe_u32 v96, v87, 20, 1
	v_cmp_eq_u32_e64 s10, v83, v97
	s_delay_alu instid0(VALU_DEP_2) | instskip(NEXT) | instid1(VALU_DEP_1)
	v_add_nc_u32_e32 v86, -1, v96
	v_cndmask_b32_e64 v83, 0, v86, s10
	v_lshrrev_b32_e32 v86, 23, v87
	s_mov_b32 s10, exec_lo
	s_delay_alu instid0(VALU_DEP_2) | instskip(NEXT) | instid1(VALU_DEP_2)
	v_add_nc_u32_e32 v83, v83, v87
	v_xor_b32_e32 v86, 1, v86
	s_delay_alu instid0(VALU_DEP_2) | instskip(NEXT) | instid1(VALU_DEP_1)
	v_and_b32_e32 v82, 0xfffff, v83
	v_add_nc_u32_e32 v83, v82, v87
                                        ; implicit-def: $vgpr82
	s_delay_alu instid0(VALU_DEP_3)
	v_cmpx_ne_u32_e64 v84, v86
	s_xor_b32 s10, exec_lo, s10
; %bb.9864:                             ;   in Loop: Header=BB6_9656 Depth=2
	s_delay_alu instid0(VALU_DEP_2) | instskip(SKIP_2) | instid1(VALU_DEP_2)
	v_cmp_lt_u32_e32 vcc_lo, 0xffffff, v83
	v_sub_nc_u32_e32 v82, v84, v86
	v_cndmask_b32_e64 v84, 0, 1, vcc_lo
	v_add_co_ci_u32_e32 v82, vcc_lo, 0, v82, vcc_lo
	s_delay_alu instid0(VALU_DEP_2)
	v_lshrrev_b32_e32 v83, v84, v83
; %bb.9865:                             ;   in Loop: Header=BB6_9656 Depth=2
	s_and_not1_saveexec_b32 s10, s10
; %bb.9866:                             ;   in Loop: Header=BB6_9656 Depth=2
	s_delay_alu instid0(VALU_DEP_1)
	v_bfe_u32 v82, v83, 23, 1
; %bb.9867:                             ;   in Loop: Header=BB6_9656 Depth=2
	s_or_b32 exec_lo, exec_lo, s10
	v_lshrrev_b32_e32 v83, 20, v83
	s_delay_alu instid0(VALU_DEP_2) | instskip(SKIP_2) | instid1(VALU_DEP_2)
	v_cmp_gt_i32_e32 vcc_lo, 16, v82
	v_lshrrev_b32_e32 v66, 24, v66
	v_min_i32_e32 v84, 15, v82
	v_dual_cndmask_b32 v83, 7, v83 :: v_dual_and_b32 v66, 0x80, v66
	s_delay_alu instid0(VALU_DEP_2) | instskip(NEXT) | instid1(VALU_DEP_2)
	v_lshlrev_b32_e32 v84, 3, v84
	v_and_b32_e32 v86, 7, v83
	v_or_b32_e32 v82, v82, v83
	s_delay_alu instid0(VALU_DEP_2) | instskip(NEXT) | instid1(VALU_DEP_2)
	v_or3_b32 v66, v84, v66, v86
	v_cmp_ne_u32_e32 vcc_lo, 0, v82
	s_delay_alu instid0(VALU_DEP_2)
	v_cndmask_b32_e32 v66, 0, v66, vcc_lo
	scratch_store_b32 off, v66, s33 offset:344 ; 4-byte Folded Spill
.LBB6_9868:                             ;   in Loop: Header=BB6_9656 Depth=2
	s_or_b32 exec_lo, exec_lo, s24
.LBB6_9869:                             ;   in Loop: Header=BB6_9656 Depth=2
	s_delay_alu instid0(SALU_CYCLE_1) | instskip(SKIP_3) | instid1(VALU_DEP_1)
	s_or_b32 exec_lo, exec_lo, s23
	v_lshrrev_b16 v66, 8, v10
	s_mov_b32 s10, 0
	s_mov_b32 s24, exec_lo
                                        ; implicit-def: $sgpr23
	v_cmpx_lt_i16_e32 0x7f, v66
	s_xor_b32 s24, exec_lo, s24
	s_cbranch_execnz .LBB6_11267
; %bb.9870:                             ;   in Loop: Header=BB6_9656 Depth=2
	s_or_saveexec_b32 s24, s24
	v_mov_b32_e32 v82, s23
	s_xor_b32 exec_lo, exec_lo, s24
	s_cbranch_execnz .LBB6_11270
.LBB6_9871:                             ;   in Loop: Header=BB6_9656 Depth=2
	s_or_b32 exec_lo, exec_lo, s24
	s_and_saveexec_b32 s23, s10
	s_cbranch_execz .LBB6_9873
.LBB6_9872:                             ;   in Loop: Header=BB6_9656 Depth=2
	v_and_b32_e32 v82, 0xffff, v66
	v_lshlrev_b32_e32 v66, 24, v66
	s_delay_alu instid0(VALU_DEP_2) | instskip(NEXT) | instid1(VALU_DEP_2)
	v_and_b32_e32 v83, 7, v82
	v_and_b32_e32 v66, 0x80000000, v66
	s_delay_alu instid0(VALU_DEP_2) | instskip(NEXT) | instid1(VALU_DEP_1)
	v_clz_i32_u32_e32 v84, v83
	v_min_u32_e32 v84, 32, v84
	s_delay_alu instid0(VALU_DEP_1) | instskip(SKIP_1) | instid1(VALU_DEP_2)
	v_subrev_nc_u32_e32 v86, 28, v84
	v_sub_nc_u32_e32 v84, 29, v84
	v_lshlrev_b32_e32 v86, v86, v82
	v_bfe_u32 v82, v82, 3, 4
	s_delay_alu instid0(VALU_DEP_2) | instskip(NEXT) | instid1(VALU_DEP_2)
	v_and_b32_e32 v86, 7, v86
	v_cmp_eq_u32_e32 vcc_lo, 0, v82
	s_delay_alu instid0(VALU_DEP_2) | instskip(NEXT) | instid1(VALU_DEP_1)
	v_dual_cndmask_b32 v82, v82, v84 :: v_dual_cndmask_b32 v83, v83, v86
	v_lshl_add_u32 v82, v82, 23, 0x3b800000
	s_delay_alu instid0(VALU_DEP_2) | instskip(NEXT) | instid1(VALU_DEP_1)
	v_lshlrev_b32_e32 v83, 20, v83
	v_or3_b32 v82, v66, v82, v83
.LBB6_9873:                             ;   in Loop: Header=BB6_9656 Depth=2
	s_or_b32 exec_lo, exec_lo, s23
	s_delay_alu instid0(VALU_DEP_1) | instskip(NEXT) | instid1(VALU_DEP_1)
	v_mul_f32_e32 v66, s22, v82
	v_and_b32_e32 v82, 0x7f800000, v66
	s_delay_alu instid0(VALU_DEP_1)
	v_cmp_ne_u32_e32 vcc_lo, 0x7f800000, v82
	v_mov_b32_e32 v82, 0x80
	s_and_saveexec_b32 s23, vcc_lo
	s_cbranch_execz .LBB6_9881
; %bb.9874:                             ;   in Loop: Header=BB6_9656 Depth=2
	v_mov_b32_e32 v82, 0
	s_mov_b32 s24, exec_lo
	v_cmpx_ne_u32_e32 0, v66
	s_cbranch_execz .LBB6_9880
; %bb.9875:                             ;   in Loop: Header=BB6_9656 Depth=2
	v_bfe_u32 v82, v66, 23, 8
	s_delay_alu instid0(VALU_DEP_1) | instskip(SKIP_1) | instid1(VALU_DEP_2)
	v_sub_nc_u32_e32 v84, 0x78, v82
	v_cmp_gt_u32_e32 vcc_lo, 0x79, v82
	v_dual_cndmask_b32 v84, 0, v84 :: v_dual_and_b32 v83, 0x7fffff, v66
	s_delay_alu instid0(VALU_DEP_1) | instskip(SKIP_2) | instid1(VALU_DEP_4)
	v_or_b32_e32 v86, 0x800000, v83
	v_cmp_eq_u32_e32 vcc_lo, 0, v82
	v_add_nc_u32_e32 v82, 0xffffff89, v82
	v_cndmask_b32_e64 v84, v84, 0x77, vcc_lo
	s_delay_alu instid0(VALU_DEP_4) | instskip(NEXT) | instid1(VALU_DEP_3)
	v_cndmask_b32_e32 v83, v86, v83, vcc_lo
	v_cndmask_b32_e64 v82, v82, 0xffffff8a, vcc_lo
	s_delay_alu instid0(VALU_DEP_3) | instskip(NEXT) | instid1(VALU_DEP_3)
	v_lshl_add_u32 v86, 0x100000, v84, -1
	v_lshrrev_b32_e32 v87, v84, v83
	v_lshlrev_b32_e64 v97, v84, 0x80000
	s_delay_alu instid0(VALU_DEP_4) | instskip(NEXT) | instid1(VALU_DEP_4)
	v_add_nc_u32_e32 v84, v84, v82
	v_and_b32_e32 v83, v86, v83
	s_delay_alu instid0(VALU_DEP_4) | instskip(NEXT) | instid1(VALU_DEP_2)
	v_bfe_u32 v96, v87, 20, 1
	v_cmp_eq_u32_e64 s10, v83, v97
	s_delay_alu instid0(VALU_DEP_2) | instskip(NEXT) | instid1(VALU_DEP_1)
	v_add_nc_u32_e32 v86, -1, v96
	v_cndmask_b32_e64 v83, 0, v86, s10
	v_lshrrev_b32_e32 v86, 23, v87
	s_mov_b32 s10, exec_lo
	s_delay_alu instid0(VALU_DEP_2) | instskip(NEXT) | instid1(VALU_DEP_2)
	v_add_nc_u32_e32 v83, v83, v87
	v_xor_b32_e32 v86, 1, v86
	s_delay_alu instid0(VALU_DEP_2) | instskip(NEXT) | instid1(VALU_DEP_1)
	v_and_b32_e32 v82, 0xfffff, v83
	v_add_nc_u32_e32 v83, v82, v87
                                        ; implicit-def: $vgpr82
	s_delay_alu instid0(VALU_DEP_3)
	v_cmpx_ne_u32_e64 v84, v86
	s_xor_b32 s10, exec_lo, s10
; %bb.9876:                             ;   in Loop: Header=BB6_9656 Depth=2
	s_delay_alu instid0(VALU_DEP_2) | instskip(SKIP_2) | instid1(VALU_DEP_2)
	v_cmp_lt_u32_e32 vcc_lo, 0xffffff, v83
	v_sub_nc_u32_e32 v82, v84, v86
	v_cndmask_b32_e64 v84, 0, 1, vcc_lo
	v_add_co_ci_u32_e32 v82, vcc_lo, 0, v82, vcc_lo
	s_delay_alu instid0(VALU_DEP_2)
	v_lshrrev_b32_e32 v83, v84, v83
; %bb.9877:                             ;   in Loop: Header=BB6_9656 Depth=2
	s_and_not1_saveexec_b32 s10, s10
; %bb.9878:                             ;   in Loop: Header=BB6_9656 Depth=2
	s_delay_alu instid0(VALU_DEP_1)
	v_bfe_u32 v82, v83, 23, 1
; %bb.9879:                             ;   in Loop: Header=BB6_9656 Depth=2
	s_or_b32 exec_lo, exec_lo, s10
	v_lshrrev_b32_e32 v83, 20, v83
	s_delay_alu instid0(VALU_DEP_2) | instskip(SKIP_2) | instid1(VALU_DEP_2)
	v_cmp_gt_i32_e32 vcc_lo, 16, v82
	v_lshrrev_b32_e32 v66, 24, v66
	v_min_i32_e32 v84, 15, v82
	v_dual_cndmask_b32 v83, 7, v83 :: v_dual_and_b32 v66, 0x80, v66
	s_delay_alu instid0(VALU_DEP_2) | instskip(NEXT) | instid1(VALU_DEP_2)
	v_lshlrev_b32_e32 v84, 3, v84
	v_and_b32_e32 v86, 7, v83
	v_or_b32_e32 v82, v82, v83
	s_delay_alu instid0(VALU_DEP_2) | instskip(NEXT) | instid1(VALU_DEP_2)
	v_or3_b32 v66, v84, v66, v86
	v_cmp_ne_u32_e32 vcc_lo, 0, v82
	s_delay_alu instid0(VALU_DEP_2)
	v_cndmask_b32_e32 v82, 0, v66, vcc_lo
.LBB6_9880:                             ;   in Loop: Header=BB6_9656 Depth=2
	s_or_b32 exec_lo, exec_lo, s24
.LBB6_9881:                             ;   in Loop: Header=BB6_9656 Depth=2
	s_delay_alu instid0(SALU_CYCLE_1)
	s_or_b32 exec_lo, exec_lo, s23
	v_lshrrev_b32_e32 v66, 16, v10
	s_mov_b32 s10, 0
	s_mov_b32 s24, exec_lo
	scratch_store_b32 off, v82, s33 offset:412 ; 4-byte Folded Spill
                                        ; implicit-def: $sgpr23
	v_and_b32_e32 v83, 0xff, v66
	s_delay_alu instid0(VALU_DEP_1)
	v_cmpx_lt_i16_e32 0x7f, v83
	s_xor_b32 s24, exec_lo, s24
	s_cbranch_execnz .LBB6_11271
; %bb.9882:                             ;   in Loop: Header=BB6_9656 Depth=2
	s_or_saveexec_b32 s24, s24
	v_mov_b32_e32 v82, s23
	s_xor_b32 exec_lo, exec_lo, s24
	s_cbranch_execnz .LBB6_11274
.LBB6_9883:                             ;   in Loop: Header=BB6_9656 Depth=2
	s_or_b32 exec_lo, exec_lo, s24
	s_and_saveexec_b32 s23, s10
	s_cbranch_execz .LBB6_9885
.LBB6_9884:                             ;   in Loop: Header=BB6_9656 Depth=2
	v_bfe_u32 v82, v10, 16, 3
	v_lshlrev_b32_e32 v86, 8, v10
	s_delay_alu instid0(VALU_DEP_2) | instskip(NEXT) | instid1(VALU_DEP_1)
	v_clz_i32_u32_e32 v83, v82
	v_min_u32_e32 v83, 32, v83
	s_delay_alu instid0(VALU_DEP_1) | instskip(SKIP_1) | instid1(VALU_DEP_2)
	v_subrev_nc_u32_e32 v84, 28, v83
	v_sub_nc_u32_e32 v83, 29, v83
	v_lshlrev_b32_e32 v66, v84, v66
	v_bfe_u32 v84, v10, 19, 4
	s_delay_alu instid0(VALU_DEP_1) | instskip(NEXT) | instid1(VALU_DEP_3)
	v_cmp_eq_u32_e32 vcc_lo, 0, v84
	v_dual_cndmask_b32 v83, v84, v83 :: v_dual_and_b32 v66, 7, v66
	s_delay_alu instid0(VALU_DEP_1) | instskip(SKIP_1) | instid1(VALU_DEP_3)
	v_cndmask_b32_e32 v66, v82, v66, vcc_lo
	v_and_b32_e32 v82, 0x80000000, v86
	v_lshl_add_u32 v83, v83, 23, 0x3b800000
	s_delay_alu instid0(VALU_DEP_3) | instskip(NEXT) | instid1(VALU_DEP_1)
	v_lshlrev_b32_e32 v66, 20, v66
	v_or3_b32 v82, v82, v83, v66
.LBB6_9885:                             ;   in Loop: Header=BB6_9656 Depth=2
	s_or_b32 exec_lo, exec_lo, s23
	s_delay_alu instid0(VALU_DEP_1) | instskip(NEXT) | instid1(VALU_DEP_1)
	v_mul_f32_e32 v66, s22, v82
	v_and_b32_e32 v82, 0x7f800000, v66
	s_delay_alu instid0(VALU_DEP_1)
	v_cmp_ne_u32_e32 vcc_lo, 0x7f800000, v82
	v_mov_b32_e32 v82, 0x80
	scratch_store_b32 off, v82, s33 offset:348 ; 4-byte Folded Spill
	s_and_saveexec_b32 s23, vcc_lo
	s_cbranch_execz .LBB6_9893
; %bb.9886:                             ;   in Loop: Header=BB6_9656 Depth=2
	v_mov_b32_e32 v82, 0
	s_mov_b32 s24, exec_lo
	scratch_store_b32 off, v82, s33 offset:348 ; 4-byte Folded Spill
	v_cmpx_ne_u32_e32 0, v66
	s_cbranch_execz .LBB6_9892
; %bb.9887:                             ;   in Loop: Header=BB6_9656 Depth=2
	v_bfe_u32 v82, v66, 23, 8
	s_delay_alu instid0(VALU_DEP_1) | instskip(SKIP_1) | instid1(VALU_DEP_2)
	v_sub_nc_u32_e32 v84, 0x78, v82
	v_cmp_gt_u32_e32 vcc_lo, 0x79, v82
	v_dual_cndmask_b32 v84, 0, v84 :: v_dual_and_b32 v83, 0x7fffff, v66
	s_delay_alu instid0(VALU_DEP_1) | instskip(SKIP_2) | instid1(VALU_DEP_4)
	v_or_b32_e32 v86, 0x800000, v83
	v_cmp_eq_u32_e32 vcc_lo, 0, v82
	v_add_nc_u32_e32 v82, 0xffffff89, v82
	v_cndmask_b32_e64 v84, v84, 0x77, vcc_lo
	s_delay_alu instid0(VALU_DEP_4) | instskip(NEXT) | instid1(VALU_DEP_3)
	v_cndmask_b32_e32 v83, v86, v83, vcc_lo
	v_cndmask_b32_e64 v82, v82, 0xffffff8a, vcc_lo
	s_delay_alu instid0(VALU_DEP_3) | instskip(NEXT) | instid1(VALU_DEP_3)
	v_lshl_add_u32 v86, 0x100000, v84, -1
	v_lshrrev_b32_e32 v87, v84, v83
	v_lshlrev_b32_e64 v97, v84, 0x80000
	s_delay_alu instid0(VALU_DEP_4) | instskip(NEXT) | instid1(VALU_DEP_4)
	v_add_nc_u32_e32 v84, v84, v82
	v_and_b32_e32 v83, v86, v83
	s_delay_alu instid0(VALU_DEP_4) | instskip(NEXT) | instid1(VALU_DEP_2)
	v_bfe_u32 v96, v87, 20, 1
	v_cmp_eq_u32_e64 s10, v83, v97
	s_delay_alu instid0(VALU_DEP_2) | instskip(NEXT) | instid1(VALU_DEP_1)
	v_add_nc_u32_e32 v86, -1, v96
	v_cndmask_b32_e64 v83, 0, v86, s10
	v_lshrrev_b32_e32 v86, 23, v87
	s_mov_b32 s10, exec_lo
	s_delay_alu instid0(VALU_DEP_2) | instskip(NEXT) | instid1(VALU_DEP_2)
	v_add_nc_u32_e32 v83, v83, v87
	v_xor_b32_e32 v86, 1, v86
	s_delay_alu instid0(VALU_DEP_2) | instskip(NEXT) | instid1(VALU_DEP_1)
	v_and_b32_e32 v82, 0xfffff, v83
	v_add_nc_u32_e32 v83, v82, v87
                                        ; implicit-def: $vgpr82
	s_delay_alu instid0(VALU_DEP_3)
	v_cmpx_ne_u32_e64 v84, v86
	s_xor_b32 s10, exec_lo, s10
; %bb.9888:                             ;   in Loop: Header=BB6_9656 Depth=2
	s_delay_alu instid0(VALU_DEP_2) | instskip(SKIP_2) | instid1(VALU_DEP_2)
	v_cmp_lt_u32_e32 vcc_lo, 0xffffff, v83
	v_sub_nc_u32_e32 v82, v84, v86
	v_cndmask_b32_e64 v84, 0, 1, vcc_lo
	v_add_co_ci_u32_e32 v82, vcc_lo, 0, v82, vcc_lo
	s_delay_alu instid0(VALU_DEP_2)
	v_lshrrev_b32_e32 v83, v84, v83
; %bb.9889:                             ;   in Loop: Header=BB6_9656 Depth=2
	s_and_not1_saveexec_b32 s10, s10
; %bb.9890:                             ;   in Loop: Header=BB6_9656 Depth=2
	s_delay_alu instid0(VALU_DEP_1)
	v_bfe_u32 v82, v83, 23, 1
; %bb.9891:                             ;   in Loop: Header=BB6_9656 Depth=2
	s_or_b32 exec_lo, exec_lo, s10
	v_lshrrev_b32_e32 v83, 20, v83
	s_delay_alu instid0(VALU_DEP_2) | instskip(SKIP_2) | instid1(VALU_DEP_2)
	v_cmp_gt_i32_e32 vcc_lo, 16, v82
	v_lshrrev_b32_e32 v66, 24, v66
	v_min_i32_e32 v84, 15, v82
	v_dual_cndmask_b32 v83, 7, v83 :: v_dual_and_b32 v66, 0x80, v66
	s_delay_alu instid0(VALU_DEP_2) | instskip(NEXT) | instid1(VALU_DEP_2)
	v_lshlrev_b32_e32 v84, 3, v84
	v_and_b32_e32 v86, 7, v83
	v_or_b32_e32 v82, v82, v83
	s_delay_alu instid0(VALU_DEP_2) | instskip(NEXT) | instid1(VALU_DEP_2)
	v_or3_b32 v66, v84, v66, v86
	v_cmp_ne_u32_e32 vcc_lo, 0, v82
	s_delay_alu instid0(VALU_DEP_2)
	v_cndmask_b32_e32 v66, 0, v66, vcc_lo
	scratch_store_b32 off, v66, s33 offset:348 ; 4-byte Folded Spill
.LBB6_9892:                             ;   in Loop: Header=BB6_9656 Depth=2
	s_or_b32 exec_lo, exec_lo, s24
.LBB6_9893:                             ;   in Loop: Header=BB6_9656 Depth=2
	s_delay_alu instid0(SALU_CYCLE_1) | instskip(SKIP_3) | instid1(VALU_DEP_1)
	s_or_b32 exec_lo, exec_lo, s23
	v_lshrrev_b32_e32 v66, 24, v10
	s_mov_b32 s10, 0
	s_mov_b32 s24, exec_lo
                                        ; implicit-def: $sgpr23
	v_cmpx_lt_i16_e32 0x7f, v66
	s_xor_b32 s24, exec_lo, s24
	s_cbranch_execnz .LBB6_11275
; %bb.9894:                             ;   in Loop: Header=BB6_9656 Depth=2
	s_or_saveexec_b32 s24, s24
	v_mov_b32_e32 v82, s23
	s_xor_b32 exec_lo, exec_lo, s24
	s_cbranch_execnz .LBB6_11278
.LBB6_9895:                             ;   in Loop: Header=BB6_9656 Depth=2
	s_or_b32 exec_lo, exec_lo, s24
	s_and_saveexec_b32 s23, s10
	s_cbranch_execz .LBB6_9897
.LBB6_9896:                             ;   in Loop: Header=BB6_9656 Depth=2
	v_bfe_u32 v82, v10, 24, 3
	s_delay_alu instid0(VALU_DEP_1) | instskip(NEXT) | instid1(VALU_DEP_1)
	v_clz_i32_u32_e32 v83, v82
	v_min_u32_e32 v83, 32, v83
	s_delay_alu instid0(VALU_DEP_1) | instskip(SKIP_1) | instid1(VALU_DEP_2)
	v_subrev_nc_u32_e32 v84, 28, v83
	v_sub_nc_u32_e32 v83, 29, v83
	v_lshlrev_b32_e32 v66, v84, v66
	v_bfe_u32 v84, v10, 27, 4
	v_and_b32_e32 v10, 0x80000000, v10
	s_delay_alu instid0(VALU_DEP_2) | instskip(NEXT) | instid1(VALU_DEP_4)
	v_cmp_eq_u32_e32 vcc_lo, 0, v84
	v_dual_cndmask_b32 v83, v84, v83 :: v_dual_and_b32 v66, 7, v66
	s_delay_alu instid0(VALU_DEP_1) | instskip(NEXT) | instid1(VALU_DEP_2)
	v_cndmask_b32_e32 v66, v82, v66, vcc_lo
	v_lshl_add_u32 v82, v83, 23, 0x3b800000
	s_delay_alu instid0(VALU_DEP_2) | instskip(NEXT) | instid1(VALU_DEP_1)
	v_lshlrev_b32_e32 v66, 20, v66
	v_or3_b32 v82, v10, v82, v66
.LBB6_9897:                             ;   in Loop: Header=BB6_9656 Depth=2
	s_or_b32 exec_lo, exec_lo, s23
	s_delay_alu instid0(VALU_DEP_1) | instskip(NEXT) | instid1(VALU_DEP_1)
	v_mul_f32_e32 v10, s22, v82
	v_and_b32_e32 v66, 0x7f800000, v10
	s_delay_alu instid0(VALU_DEP_1)
	v_cmp_ne_u32_e32 vcc_lo, 0x7f800000, v66
	v_mov_b32_e32 v66, 0x80
	s_and_saveexec_b32 s23, vcc_lo
	s_cbranch_execz .LBB6_9905
; %bb.9898:                             ;   in Loop: Header=BB6_9656 Depth=2
	v_mov_b32_e32 v66, 0
	s_mov_b32 s24, exec_lo
	v_cmpx_ne_u32_e32 0, v10
	s_cbranch_execz .LBB6_9904
; %bb.9899:                             ;   in Loop: Header=BB6_9656 Depth=2
	v_bfe_u32 v66, v10, 23, 8
	s_delay_alu instid0(VALU_DEP_1) | instskip(SKIP_1) | instid1(VALU_DEP_2)
	v_sub_nc_u32_e32 v83, 0x78, v66
	v_cmp_gt_u32_e32 vcc_lo, 0x79, v66
	v_dual_cndmask_b32 v83, 0, v83 :: v_dual_and_b32 v82, 0x7fffff, v10
	s_delay_alu instid0(VALU_DEP_1) | instskip(SKIP_2) | instid1(VALU_DEP_4)
	v_or_b32_e32 v84, 0x800000, v82
	v_cmp_eq_u32_e32 vcc_lo, 0, v66
	v_add_nc_u32_e32 v66, 0xffffff89, v66
	v_cndmask_b32_e64 v83, v83, 0x77, vcc_lo
	s_delay_alu instid0(VALU_DEP_4) | instskip(NEXT) | instid1(VALU_DEP_3)
	v_cndmask_b32_e32 v82, v84, v82, vcc_lo
	v_cndmask_b32_e64 v66, v66, 0xffffff8a, vcc_lo
	s_delay_alu instid0(VALU_DEP_3) | instskip(NEXT) | instid1(VALU_DEP_3)
	v_lshl_add_u32 v84, 0x100000, v83, -1
	v_lshrrev_b32_e32 v86, v83, v82
	v_lshlrev_b32_e64 v96, v83, 0x80000
	s_delay_alu instid0(VALU_DEP_4) | instskip(NEXT) | instid1(VALU_DEP_4)
	v_add_nc_u32_e32 v83, v83, v66
	v_and_b32_e32 v82, v84, v82
	s_delay_alu instid0(VALU_DEP_4) | instskip(NEXT) | instid1(VALU_DEP_2)
	v_bfe_u32 v87, v86, 20, 1
	v_cmp_eq_u32_e64 s10, v82, v96
	s_delay_alu instid0(VALU_DEP_2) | instskip(NEXT) | instid1(VALU_DEP_1)
	v_add_nc_u32_e32 v84, -1, v87
	v_cndmask_b32_e64 v82, 0, v84, s10
	v_lshrrev_b32_e32 v84, 23, v86
	s_mov_b32 s10, exec_lo
	s_delay_alu instid0(VALU_DEP_2) | instskip(NEXT) | instid1(VALU_DEP_2)
	v_add_nc_u32_e32 v82, v82, v86
	v_xor_b32_e32 v84, 1, v84
	s_delay_alu instid0(VALU_DEP_2) | instskip(NEXT) | instid1(VALU_DEP_1)
	v_and_b32_e32 v66, 0xfffff, v82
	v_add_nc_u32_e32 v82, v66, v86
                                        ; implicit-def: $vgpr66
	s_delay_alu instid0(VALU_DEP_3)
	v_cmpx_ne_u32_e64 v83, v84
	s_xor_b32 s10, exec_lo, s10
; %bb.9900:                             ;   in Loop: Header=BB6_9656 Depth=2
	s_delay_alu instid0(VALU_DEP_2) | instskip(SKIP_2) | instid1(VALU_DEP_2)
	v_cmp_lt_u32_e32 vcc_lo, 0xffffff, v82
	v_sub_nc_u32_e32 v66, v83, v84
	v_cndmask_b32_e64 v83, 0, 1, vcc_lo
	v_add_co_ci_u32_e32 v66, vcc_lo, 0, v66, vcc_lo
	s_delay_alu instid0(VALU_DEP_2)
	v_lshrrev_b32_e32 v82, v83, v82
; %bb.9901:                             ;   in Loop: Header=BB6_9656 Depth=2
	s_and_not1_saveexec_b32 s10, s10
; %bb.9902:                             ;   in Loop: Header=BB6_9656 Depth=2
	s_delay_alu instid0(VALU_DEP_1)
	v_bfe_u32 v66, v82, 23, 1
; %bb.9903:                             ;   in Loop: Header=BB6_9656 Depth=2
	s_or_b32 exec_lo, exec_lo, s10
	v_lshrrev_b32_e32 v82, 20, v82
	s_delay_alu instid0(VALU_DEP_2) | instskip(SKIP_2) | instid1(VALU_DEP_4)
	v_cmp_gt_i32_e32 vcc_lo, 16, v66
	v_lshrrev_b32_e32 v10, 24, v10
	v_min_i32_e32 v83, 15, v66
	v_cndmask_b32_e32 v82, 7, v82, vcc_lo
	s_delay_alu instid0(VALU_DEP_3) | instskip(NEXT) | instid1(VALU_DEP_3)
	v_and_b32_e32 v10, 0x80, v10
	v_lshlrev_b32_e32 v83, 3, v83
	s_delay_alu instid0(VALU_DEP_3) | instskip(SKIP_1) | instid1(VALU_DEP_2)
	v_and_b32_e32 v84, 7, v82
	v_or_b32_e32 v66, v66, v82
	v_or3_b32 v10, v83, v10, v84
	s_delay_alu instid0(VALU_DEP_2) | instskip(NEXT) | instid1(VALU_DEP_2)
	v_cmp_ne_u32_e32 vcc_lo, 0, v66
	v_cndmask_b32_e32 v66, 0, v10, vcc_lo
.LBB6_9904:                             ;   in Loop: Header=BB6_9656 Depth=2
	s_or_b32 exec_lo, exec_lo, s24
.LBB6_9905:                             ;   in Loop: Header=BB6_9656 Depth=2
	s_delay_alu instid0(SALU_CYCLE_1) | instskip(SKIP_4) | instid1(VALU_DEP_1)
	s_or_b32 exec_lo, exec_lo, s23
	scratch_store_b32 off, v66, s33 offset:416 ; 4-byte Folded Spill
	v_and_b32_e32 v66, 0xff, v11
	s_mov_b32 s10, 0
	s_mov_b32 s24, exec_lo
                                        ; implicit-def: $sgpr23
	v_cmpx_lt_i16_e32 0x7f, v66
	s_xor_b32 s24, exec_lo, s24
	s_cbranch_execnz .LBB6_11279
; %bb.9906:                             ;   in Loop: Header=BB6_9656 Depth=2
	s_or_saveexec_b32 s24, s24
	v_mov_b32_e32 v10, s23
	s_xor_b32 exec_lo, exec_lo, s24
	s_cbranch_execnz .LBB6_11282
.LBB6_9907:                             ;   in Loop: Header=BB6_9656 Depth=2
	s_or_b32 exec_lo, exec_lo, s24
	s_and_saveexec_b32 s23, s10
	s_cbranch_execz .LBB6_9909
.LBB6_9908:                             ;   in Loop: Header=BB6_9656 Depth=2
	v_and_b32_e32 v10, 7, v11
	v_bfe_u32 v83, v11, 3, 4
	v_lshlrev_b32_e32 v84, 24, v11
	s_delay_alu instid0(VALU_DEP_3) | instskip(NEXT) | instid1(VALU_DEP_3)
	v_clz_i32_u32_e32 v66, v10
	v_cmp_eq_u32_e32 vcc_lo, 0, v83
	s_delay_alu instid0(VALU_DEP_2) | instskip(NEXT) | instid1(VALU_DEP_1)
	v_min_u32_e32 v66, 32, v66
	v_subrev_nc_u32_e32 v82, 28, v66
	v_sub_nc_u32_e32 v66, 29, v66
	s_delay_alu instid0(VALU_DEP_2) | instskip(NEXT) | instid1(VALU_DEP_2)
	v_lshlrev_b32_e32 v82, v82, v11
	v_cndmask_b32_e32 v66, v83, v66, vcc_lo
	s_delay_alu instid0(VALU_DEP_2) | instskip(NEXT) | instid1(VALU_DEP_2)
	v_and_b32_e32 v82, 7, v82
	v_lshl_add_u32 v66, v66, 23, 0x3b800000
	s_delay_alu instid0(VALU_DEP_2) | instskip(SKIP_1) | instid1(VALU_DEP_2)
	v_cndmask_b32_e32 v10, v10, v82, vcc_lo
	v_and_b32_e32 v82, 0x80000000, v84
	v_lshlrev_b32_e32 v10, 20, v10
	s_delay_alu instid0(VALU_DEP_1)
	v_or3_b32 v10, v82, v66, v10
.LBB6_9909:                             ;   in Loop: Header=BB6_9656 Depth=2
	s_or_b32 exec_lo, exec_lo, s23
	s_delay_alu instid0(VALU_DEP_1) | instskip(NEXT) | instid1(VALU_DEP_1)
	v_mul_f32_e32 v10, s22, v10
	v_and_b32_e32 v66, 0x7f800000, v10
	s_delay_alu instid0(VALU_DEP_1)
	v_cmp_ne_u32_e32 vcc_lo, 0x7f800000, v66
	v_mov_b32_e32 v66, 0x80
	scratch_store_b32 off, v66, s33 offset:352 ; 4-byte Folded Spill
	s_and_saveexec_b32 s23, vcc_lo
	s_cbranch_execz .LBB6_9917
; %bb.9910:                             ;   in Loop: Header=BB6_9656 Depth=2
	v_mov_b32_e32 v66, 0
	s_mov_b32 s24, exec_lo
	scratch_store_b32 off, v66, s33 offset:352 ; 4-byte Folded Spill
	v_cmpx_ne_u32_e32 0, v10
	s_cbranch_execz .LBB6_9916
; %bb.9911:                             ;   in Loop: Header=BB6_9656 Depth=2
	v_bfe_u32 v66, v10, 23, 8
	s_delay_alu instid0(VALU_DEP_1) | instskip(SKIP_1) | instid1(VALU_DEP_2)
	v_sub_nc_u32_e32 v83, 0x78, v66
	v_cmp_gt_u32_e32 vcc_lo, 0x79, v66
	v_dual_cndmask_b32 v83, 0, v83 :: v_dual_and_b32 v82, 0x7fffff, v10
	s_delay_alu instid0(VALU_DEP_1) | instskip(SKIP_2) | instid1(VALU_DEP_4)
	v_or_b32_e32 v84, 0x800000, v82
	v_cmp_eq_u32_e32 vcc_lo, 0, v66
	v_add_nc_u32_e32 v66, 0xffffff89, v66
	v_cndmask_b32_e64 v83, v83, 0x77, vcc_lo
	s_delay_alu instid0(VALU_DEP_4) | instskip(NEXT) | instid1(VALU_DEP_3)
	v_cndmask_b32_e32 v82, v84, v82, vcc_lo
	v_cndmask_b32_e64 v66, v66, 0xffffff8a, vcc_lo
	s_delay_alu instid0(VALU_DEP_3) | instskip(NEXT) | instid1(VALU_DEP_3)
	v_lshl_add_u32 v84, 0x100000, v83, -1
	v_lshrrev_b32_e32 v86, v83, v82
	v_lshlrev_b32_e64 v96, v83, 0x80000
	s_delay_alu instid0(VALU_DEP_4) | instskip(NEXT) | instid1(VALU_DEP_4)
	v_add_nc_u32_e32 v83, v83, v66
	v_and_b32_e32 v82, v84, v82
	s_delay_alu instid0(VALU_DEP_4) | instskip(NEXT) | instid1(VALU_DEP_2)
	v_bfe_u32 v87, v86, 20, 1
	v_cmp_eq_u32_e64 s10, v82, v96
	s_delay_alu instid0(VALU_DEP_2) | instskip(NEXT) | instid1(VALU_DEP_1)
	v_add_nc_u32_e32 v84, -1, v87
	v_cndmask_b32_e64 v82, 0, v84, s10
	v_lshrrev_b32_e32 v84, 23, v86
	s_mov_b32 s10, exec_lo
	s_delay_alu instid0(VALU_DEP_2) | instskip(NEXT) | instid1(VALU_DEP_2)
	v_add_nc_u32_e32 v82, v82, v86
	v_xor_b32_e32 v84, 1, v84
	s_delay_alu instid0(VALU_DEP_2) | instskip(NEXT) | instid1(VALU_DEP_1)
	v_and_b32_e32 v66, 0xfffff, v82
	v_add_nc_u32_e32 v82, v66, v86
                                        ; implicit-def: $vgpr66
	s_delay_alu instid0(VALU_DEP_3)
	v_cmpx_ne_u32_e64 v83, v84
	s_xor_b32 s10, exec_lo, s10
; %bb.9912:                             ;   in Loop: Header=BB6_9656 Depth=2
	s_delay_alu instid0(VALU_DEP_2) | instskip(SKIP_2) | instid1(VALU_DEP_2)
	v_cmp_lt_u32_e32 vcc_lo, 0xffffff, v82
	v_sub_nc_u32_e32 v66, v83, v84
	v_cndmask_b32_e64 v83, 0, 1, vcc_lo
	v_add_co_ci_u32_e32 v66, vcc_lo, 0, v66, vcc_lo
	s_delay_alu instid0(VALU_DEP_2)
	v_lshrrev_b32_e32 v82, v83, v82
; %bb.9913:                             ;   in Loop: Header=BB6_9656 Depth=2
	s_and_not1_saveexec_b32 s10, s10
; %bb.9914:                             ;   in Loop: Header=BB6_9656 Depth=2
	s_delay_alu instid0(VALU_DEP_1)
	v_bfe_u32 v66, v82, 23, 1
; %bb.9915:                             ;   in Loop: Header=BB6_9656 Depth=2
	s_or_b32 exec_lo, exec_lo, s10
	v_lshrrev_b32_e32 v82, 20, v82
	s_delay_alu instid0(VALU_DEP_2) | instskip(SKIP_2) | instid1(VALU_DEP_2)
	v_cmp_gt_i32_e32 vcc_lo, 16, v66
	v_min_i32_e32 v83, 15, v66
	v_lshrrev_b32_e32 v10, 24, v10
	v_dual_cndmask_b32 v82, 7, v82 :: v_dual_lshlrev_b32 v83, 3, v83
	s_delay_alu instid0(VALU_DEP_2) | instskip(NEXT) | instid1(VALU_DEP_2)
	v_and_b32_e32 v10, 0x80, v10
	v_or_b32_e32 v66, v66, v82
	v_and_b32_e32 v84, 7, v82
	s_delay_alu instid0(VALU_DEP_2) | instskip(SKIP_1) | instid1(VALU_DEP_1)
	v_cmp_ne_u32_e32 vcc_lo, 0, v66
	v_and_b32_e32 v83, 0xf8, v83
	v_or3_b32 v10, v83, v10, v84
	s_delay_alu instid0(VALU_DEP_1)
	v_cndmask_b32_e32 v10, 0, v10, vcc_lo
	scratch_store_b32 off, v10, s33 offset:352 ; 4-byte Folded Spill
.LBB6_9916:                             ;   in Loop: Header=BB6_9656 Depth=2
	s_or_b32 exec_lo, exec_lo, s24
.LBB6_9917:                             ;   in Loop: Header=BB6_9656 Depth=2
	s_delay_alu instid0(SALU_CYCLE_1) | instskip(SKIP_3) | instid1(VALU_DEP_1)
	s_or_b32 exec_lo, exec_lo, s23
	v_lshrrev_b16 v10, 8, v11
	s_mov_b32 s10, 0
	s_mov_b32 s24, exec_lo
                                        ; implicit-def: $sgpr23
	v_cmpx_lt_i16_e32 0x7f, v10
	s_xor_b32 s24, exec_lo, s24
	s_cbranch_execnz .LBB6_11283
; %bb.9918:                             ;   in Loop: Header=BB6_9656 Depth=2
	s_or_saveexec_b32 s24, s24
	v_mov_b32_e32 v66, s23
	s_xor_b32 exec_lo, exec_lo, s24
	s_cbranch_execnz .LBB6_11286
.LBB6_9919:                             ;   in Loop: Header=BB6_9656 Depth=2
	s_or_b32 exec_lo, exec_lo, s24
	s_and_saveexec_b32 s23, s10
	s_cbranch_execz .LBB6_9921
.LBB6_9920:                             ;   in Loop: Header=BB6_9656 Depth=2
	v_and_b32_e32 v66, 0xffff, v10
	v_lshlrev_b32_e32 v10, 24, v10
	s_delay_alu instid0(VALU_DEP_2) | instskip(NEXT) | instid1(VALU_DEP_2)
	v_and_b32_e32 v82, 7, v66
	v_and_b32_e32 v10, 0x80000000, v10
	s_delay_alu instid0(VALU_DEP_2) | instskip(NEXT) | instid1(VALU_DEP_1)
	v_clz_i32_u32_e32 v83, v82
	v_min_u32_e32 v83, 32, v83
	s_delay_alu instid0(VALU_DEP_1) | instskip(SKIP_1) | instid1(VALU_DEP_2)
	v_subrev_nc_u32_e32 v84, 28, v83
	v_sub_nc_u32_e32 v83, 29, v83
	v_lshlrev_b32_e32 v84, v84, v66
	v_bfe_u32 v66, v66, 3, 4
	s_delay_alu instid0(VALU_DEP_2) | instskip(NEXT) | instid1(VALU_DEP_2)
	v_and_b32_e32 v84, 7, v84
	v_cmp_eq_u32_e32 vcc_lo, 0, v66
	v_cndmask_b32_e32 v66, v66, v83, vcc_lo
	s_delay_alu instid0(VALU_DEP_3) | instskip(NEXT) | instid1(VALU_DEP_2)
	v_cndmask_b32_e32 v82, v82, v84, vcc_lo
	v_lshl_add_u32 v66, v66, 23, 0x3b800000
	s_delay_alu instid0(VALU_DEP_2) | instskip(NEXT) | instid1(VALU_DEP_1)
	v_lshlrev_b32_e32 v82, 20, v82
	v_or3_b32 v66, v10, v66, v82
.LBB6_9921:                             ;   in Loop: Header=BB6_9656 Depth=2
	s_or_b32 exec_lo, exec_lo, s23
	s_delay_alu instid0(VALU_DEP_1) | instskip(NEXT) | instid1(VALU_DEP_1)
	v_mul_f32_e32 v10, s22, v66
	v_and_b32_e32 v66, 0x7f800000, v10
	s_delay_alu instid0(VALU_DEP_1)
	v_cmp_ne_u32_e32 vcc_lo, 0x7f800000, v66
	v_mov_b32_e32 v66, 0x8000
	s_and_saveexec_b32 s23, vcc_lo
	s_cbranch_execz .LBB6_9929
; %bb.9922:                             ;   in Loop: Header=BB6_9656 Depth=2
	v_mov_b32_e32 v66, 0
	s_mov_b32 s24, exec_lo
	v_cmpx_ne_u32_e32 0, v10
	s_cbranch_execz .LBB6_9928
; %bb.9923:                             ;   in Loop: Header=BB6_9656 Depth=2
	v_bfe_u32 v66, v10, 23, 8
	s_delay_alu instid0(VALU_DEP_1) | instskip(SKIP_1) | instid1(VALU_DEP_2)
	v_sub_nc_u32_e32 v83, 0x78, v66
	v_cmp_gt_u32_e32 vcc_lo, 0x79, v66
	v_dual_cndmask_b32 v83, 0, v83 :: v_dual_and_b32 v82, 0x7fffff, v10
	s_delay_alu instid0(VALU_DEP_1) | instskip(SKIP_2) | instid1(VALU_DEP_4)
	v_or_b32_e32 v84, 0x800000, v82
	v_cmp_eq_u32_e32 vcc_lo, 0, v66
	v_add_nc_u32_e32 v66, 0xffffff89, v66
	v_cndmask_b32_e64 v83, v83, 0x77, vcc_lo
	s_delay_alu instid0(VALU_DEP_4) | instskip(NEXT) | instid1(VALU_DEP_3)
	v_cndmask_b32_e32 v82, v84, v82, vcc_lo
	v_cndmask_b32_e64 v66, v66, 0xffffff8a, vcc_lo
	s_delay_alu instid0(VALU_DEP_3) | instskip(NEXT) | instid1(VALU_DEP_3)
	v_lshl_add_u32 v84, 0x100000, v83, -1
	v_lshrrev_b32_e32 v86, v83, v82
	v_lshlrev_b32_e64 v96, v83, 0x80000
	s_delay_alu instid0(VALU_DEP_4) | instskip(NEXT) | instid1(VALU_DEP_4)
	v_add_nc_u32_e32 v83, v83, v66
	v_and_b32_e32 v82, v84, v82
	s_delay_alu instid0(VALU_DEP_4) | instskip(NEXT) | instid1(VALU_DEP_2)
	v_bfe_u32 v87, v86, 20, 1
	v_cmp_eq_u32_e64 s10, v82, v96
	s_delay_alu instid0(VALU_DEP_2) | instskip(NEXT) | instid1(VALU_DEP_1)
	v_add_nc_u32_e32 v84, -1, v87
	v_cndmask_b32_e64 v82, 0, v84, s10
	v_lshrrev_b32_e32 v84, 23, v86
	s_mov_b32 s10, exec_lo
	s_delay_alu instid0(VALU_DEP_2) | instskip(NEXT) | instid1(VALU_DEP_2)
	v_add_nc_u32_e32 v82, v82, v86
	v_xor_b32_e32 v84, 1, v84
	s_delay_alu instid0(VALU_DEP_2) | instskip(NEXT) | instid1(VALU_DEP_1)
	v_and_b32_e32 v66, 0xfffff, v82
	v_add_nc_u32_e32 v82, v66, v86
                                        ; implicit-def: $vgpr66
	s_delay_alu instid0(VALU_DEP_3)
	v_cmpx_ne_u32_e64 v83, v84
	s_xor_b32 s10, exec_lo, s10
; %bb.9924:                             ;   in Loop: Header=BB6_9656 Depth=2
	s_delay_alu instid0(VALU_DEP_2) | instskip(SKIP_2) | instid1(VALU_DEP_2)
	v_cmp_lt_u32_e32 vcc_lo, 0xffffff, v82
	v_sub_nc_u32_e32 v66, v83, v84
	v_cndmask_b32_e64 v83, 0, 1, vcc_lo
	v_add_co_ci_u32_e32 v66, vcc_lo, 0, v66, vcc_lo
	s_delay_alu instid0(VALU_DEP_2)
	v_lshrrev_b32_e32 v82, v83, v82
; %bb.9925:                             ;   in Loop: Header=BB6_9656 Depth=2
	s_and_not1_saveexec_b32 s10, s10
; %bb.9926:                             ;   in Loop: Header=BB6_9656 Depth=2
	s_delay_alu instid0(VALU_DEP_1)
	v_bfe_u32 v66, v82, 23, 1
; %bb.9927:                             ;   in Loop: Header=BB6_9656 Depth=2
	s_or_b32 exec_lo, exec_lo, s10
	v_lshrrev_b32_e32 v82, 20, v82
	s_delay_alu instid0(VALU_DEP_2) | instskip(SKIP_2) | instid1(VALU_DEP_2)
	v_cmp_gt_i32_e32 vcc_lo, 16, v66
	v_min_i32_e32 v83, 15, v66
	v_lshrrev_b32_e32 v10, 24, v10
	v_dual_cndmask_b32 v82, 7, v82 :: v_dual_lshlrev_b32 v83, 3, v83
	s_delay_alu instid0(VALU_DEP_2) | instskip(NEXT) | instid1(VALU_DEP_2)
	v_and_b32_e32 v10, 0x80, v10
	v_or_b32_e32 v66, v66, v82
	v_and_b32_e32 v84, 7, v82
	s_delay_alu instid0(VALU_DEP_2) | instskip(SKIP_1) | instid1(VALU_DEP_1)
	v_cmp_ne_u32_e32 vcc_lo, 0, v66
	v_and_b32_e32 v83, 0xf8, v83
	v_or3_b32 v10, v10, v83, v84
	s_delay_alu instid0(VALU_DEP_1) | instskip(NEXT) | instid1(VALU_DEP_1)
	v_lshlrev_b32_e32 v10, 8, v10
	v_cndmask_b32_e32 v66, 0, v10, vcc_lo
.LBB6_9928:                             ;   in Loop: Header=BB6_9656 Depth=2
	s_or_b32 exec_lo, exec_lo, s24
.LBB6_9929:                             ;   in Loop: Header=BB6_9656 Depth=2
	s_delay_alu instid0(SALU_CYCLE_1)
	s_or_b32 exec_lo, exec_lo, s23
	v_lshrrev_b32_e32 v10, 16, v11
	s_mov_b32 s10, 0
	s_mov_b32 s24, exec_lo
	scratch_store_b32 off, v66, s33 offset:420 ; 4-byte Folded Spill
                                        ; implicit-def: $sgpr23
	v_and_b32_e32 v82, 0xff, v10
	s_delay_alu instid0(VALU_DEP_1)
	v_cmpx_lt_i16_e32 0x7f, v82
	s_xor_b32 s24, exec_lo, s24
	s_cbranch_execnz .LBB6_11287
; %bb.9930:                             ;   in Loop: Header=BB6_9656 Depth=2
	s_or_saveexec_b32 s24, s24
	v_mov_b32_e32 v66, s23
	s_xor_b32 exec_lo, exec_lo, s24
	s_cbranch_execnz .LBB6_11290
.LBB6_9931:                             ;   in Loop: Header=BB6_9656 Depth=2
	s_or_b32 exec_lo, exec_lo, s24
	s_and_saveexec_b32 s23, s10
	s_cbranch_execz .LBB6_9933
.LBB6_9932:                             ;   in Loop: Header=BB6_9656 Depth=2
	v_bfe_u32 v66, v11, 16, 3
	v_lshlrev_b32_e32 v84, 8, v11
	s_delay_alu instid0(VALU_DEP_2) | instskip(NEXT) | instid1(VALU_DEP_1)
	v_clz_i32_u32_e32 v82, v66
	v_min_u32_e32 v82, 32, v82
	s_delay_alu instid0(VALU_DEP_1) | instskip(SKIP_1) | instid1(VALU_DEP_2)
	v_subrev_nc_u32_e32 v83, 28, v82
	v_sub_nc_u32_e32 v82, 29, v82
	v_lshlrev_b32_e32 v10, v83, v10
	v_bfe_u32 v83, v11, 19, 4
	s_delay_alu instid0(VALU_DEP_2) | instskip(NEXT) | instid1(VALU_DEP_2)
	v_and_b32_e32 v10, 7, v10
	v_cmp_eq_u32_e32 vcc_lo, 0, v83
	v_cndmask_b32_e32 v82, v83, v82, vcc_lo
	s_delay_alu instid0(VALU_DEP_3) | instskip(SKIP_1) | instid1(VALU_DEP_3)
	v_cndmask_b32_e32 v10, v66, v10, vcc_lo
	v_and_b32_e32 v66, 0x80000000, v84
	v_lshl_add_u32 v82, v82, 23, 0x3b800000
	s_delay_alu instid0(VALU_DEP_3) | instskip(NEXT) | instid1(VALU_DEP_1)
	v_lshlrev_b32_e32 v10, 20, v10
	v_or3_b32 v66, v66, v82, v10
.LBB6_9933:                             ;   in Loop: Header=BB6_9656 Depth=2
	s_or_b32 exec_lo, exec_lo, s23
	s_delay_alu instid0(VALU_DEP_1) | instskip(NEXT) | instid1(VALU_DEP_1)
	v_mul_f32_e32 v10, s22, v66
	v_and_b32_e32 v66, 0x7f800000, v10
	s_delay_alu instid0(VALU_DEP_1)
	v_cmp_ne_u32_e32 vcc_lo, 0x7f800000, v66
	v_mov_b32_e32 v66, 0x80
	scratch_store_b32 off, v66, s33 offset:356 ; 4-byte Folded Spill
	s_and_saveexec_b32 s23, vcc_lo
	s_cbranch_execz .LBB6_9941
; %bb.9934:                             ;   in Loop: Header=BB6_9656 Depth=2
	v_mov_b32_e32 v66, 0
	s_mov_b32 s24, exec_lo
	scratch_store_b32 off, v66, s33 offset:356 ; 4-byte Folded Spill
	v_cmpx_ne_u32_e32 0, v10
	s_cbranch_execz .LBB6_9940
; %bb.9935:                             ;   in Loop: Header=BB6_9656 Depth=2
	v_bfe_u32 v66, v10, 23, 8
	s_delay_alu instid0(VALU_DEP_1) | instskip(SKIP_1) | instid1(VALU_DEP_2)
	v_sub_nc_u32_e32 v83, 0x78, v66
	v_cmp_gt_u32_e32 vcc_lo, 0x79, v66
	v_dual_cndmask_b32 v83, 0, v83 :: v_dual_and_b32 v82, 0x7fffff, v10
	s_delay_alu instid0(VALU_DEP_1) | instskip(SKIP_2) | instid1(VALU_DEP_4)
	v_or_b32_e32 v84, 0x800000, v82
	v_cmp_eq_u32_e32 vcc_lo, 0, v66
	v_add_nc_u32_e32 v66, 0xffffff89, v66
	v_cndmask_b32_e64 v83, v83, 0x77, vcc_lo
	s_delay_alu instid0(VALU_DEP_4) | instskip(NEXT) | instid1(VALU_DEP_3)
	v_cndmask_b32_e32 v82, v84, v82, vcc_lo
	v_cndmask_b32_e64 v66, v66, 0xffffff8a, vcc_lo
	s_delay_alu instid0(VALU_DEP_3) | instskip(NEXT) | instid1(VALU_DEP_3)
	v_lshl_add_u32 v84, 0x100000, v83, -1
	v_lshrrev_b32_e32 v86, v83, v82
	v_lshlrev_b32_e64 v96, v83, 0x80000
	s_delay_alu instid0(VALU_DEP_4) | instskip(NEXT) | instid1(VALU_DEP_4)
	v_add_nc_u32_e32 v83, v83, v66
	v_and_b32_e32 v82, v84, v82
	s_delay_alu instid0(VALU_DEP_4) | instskip(NEXT) | instid1(VALU_DEP_2)
	v_bfe_u32 v87, v86, 20, 1
	v_cmp_eq_u32_e64 s10, v82, v96
	s_delay_alu instid0(VALU_DEP_2) | instskip(NEXT) | instid1(VALU_DEP_1)
	v_add_nc_u32_e32 v84, -1, v87
	v_cndmask_b32_e64 v82, 0, v84, s10
	v_lshrrev_b32_e32 v84, 23, v86
	s_mov_b32 s10, exec_lo
	s_delay_alu instid0(VALU_DEP_2) | instskip(NEXT) | instid1(VALU_DEP_2)
	v_add_nc_u32_e32 v82, v82, v86
	v_xor_b32_e32 v84, 1, v84
	s_delay_alu instid0(VALU_DEP_2) | instskip(NEXT) | instid1(VALU_DEP_1)
	v_and_b32_e32 v66, 0xfffff, v82
	v_add_nc_u32_e32 v82, v66, v86
                                        ; implicit-def: $vgpr66
	s_delay_alu instid0(VALU_DEP_3)
	v_cmpx_ne_u32_e64 v83, v84
	s_xor_b32 s10, exec_lo, s10
; %bb.9936:                             ;   in Loop: Header=BB6_9656 Depth=2
	s_delay_alu instid0(VALU_DEP_2) | instskip(SKIP_2) | instid1(VALU_DEP_2)
	v_cmp_lt_u32_e32 vcc_lo, 0xffffff, v82
	v_sub_nc_u32_e32 v66, v83, v84
	v_cndmask_b32_e64 v83, 0, 1, vcc_lo
	v_add_co_ci_u32_e32 v66, vcc_lo, 0, v66, vcc_lo
	s_delay_alu instid0(VALU_DEP_2)
	v_lshrrev_b32_e32 v82, v83, v82
; %bb.9937:                             ;   in Loop: Header=BB6_9656 Depth=2
	s_and_not1_saveexec_b32 s10, s10
; %bb.9938:                             ;   in Loop: Header=BB6_9656 Depth=2
	s_delay_alu instid0(VALU_DEP_1)
	v_bfe_u32 v66, v82, 23, 1
; %bb.9939:                             ;   in Loop: Header=BB6_9656 Depth=2
	s_or_b32 exec_lo, exec_lo, s10
	v_lshrrev_b32_e32 v82, 20, v82
	s_delay_alu instid0(VALU_DEP_2) | instskip(SKIP_2) | instid1(VALU_DEP_2)
	v_cmp_gt_i32_e32 vcc_lo, 16, v66
	v_min_i32_e32 v83, 15, v66
	v_lshrrev_b32_e32 v10, 24, v10
	v_dual_cndmask_b32 v82, 7, v82 :: v_dual_lshlrev_b32 v83, 3, v83
	s_delay_alu instid0(VALU_DEP_2) | instskip(NEXT) | instid1(VALU_DEP_2)
	v_and_b32_e32 v10, 0x80, v10
	v_or_b32_e32 v66, v66, v82
	v_and_b32_e32 v84, 7, v82
	s_delay_alu instid0(VALU_DEP_2) | instskip(SKIP_1) | instid1(VALU_DEP_1)
	v_cmp_ne_u32_e32 vcc_lo, 0, v66
	v_and_b32_e32 v83, 0xf8, v83
	v_or3_b32 v10, v83, v10, v84
	s_delay_alu instid0(VALU_DEP_1)
	v_cndmask_b32_e32 v10, 0, v10, vcc_lo
	scratch_store_b32 off, v10, s33 offset:356 ; 4-byte Folded Spill
.LBB6_9940:                             ;   in Loop: Header=BB6_9656 Depth=2
	s_or_b32 exec_lo, exec_lo, s24
.LBB6_9941:                             ;   in Loop: Header=BB6_9656 Depth=2
	s_delay_alu instid0(SALU_CYCLE_1) | instskip(SKIP_3) | instid1(VALU_DEP_1)
	s_or_b32 exec_lo, exec_lo, s23
	v_lshrrev_b32_e32 v10, 24, v11
	s_mov_b32 s10, 0
	s_mov_b32 s24, exec_lo
                                        ; implicit-def: $sgpr23
	v_cmpx_lt_i16_e32 0x7f, v10
	s_xor_b32 s24, exec_lo, s24
	s_cbranch_execnz .LBB6_11291
; %bb.9942:                             ;   in Loop: Header=BB6_9656 Depth=2
	s_or_saveexec_b32 s24, s24
	v_mov_b32_e32 v66, s23
	s_xor_b32 exec_lo, exec_lo, s24
	s_cbranch_execnz .LBB6_11294
.LBB6_9943:                             ;   in Loop: Header=BB6_9656 Depth=2
	s_or_b32 exec_lo, exec_lo, s24
	s_and_saveexec_b32 s23, s10
	s_cbranch_execz .LBB6_9945
.LBB6_9944:                             ;   in Loop: Header=BB6_9656 Depth=2
	v_bfe_u32 v66, v11, 24, 3
	s_delay_alu instid0(VALU_DEP_1) | instskip(NEXT) | instid1(VALU_DEP_1)
	v_clz_i32_u32_e32 v82, v66
	v_min_u32_e32 v82, 32, v82
	s_delay_alu instid0(VALU_DEP_1) | instskip(SKIP_1) | instid1(VALU_DEP_2)
	v_subrev_nc_u32_e32 v83, 28, v82
	v_sub_nc_u32_e32 v82, 29, v82
	v_lshlrev_b32_e32 v10, v83, v10
	v_bfe_u32 v83, v11, 27, 4
	v_and_b32_e32 v11, 0x80000000, v11
	s_delay_alu instid0(VALU_DEP_3) | instskip(NEXT) | instid1(VALU_DEP_3)
	v_and_b32_e32 v10, 7, v10
	v_cmp_eq_u32_e32 vcc_lo, 0, v83
	v_cndmask_b32_e32 v82, v83, v82, vcc_lo
	s_delay_alu instid0(VALU_DEP_3) | instskip(NEXT) | instid1(VALU_DEP_2)
	v_cndmask_b32_e32 v10, v66, v10, vcc_lo
	v_lshl_add_u32 v66, v82, 23, 0x3b800000
	s_delay_alu instid0(VALU_DEP_2) | instskip(NEXT) | instid1(VALU_DEP_1)
	v_lshlrev_b32_e32 v10, 20, v10
	v_or3_b32 v66, v11, v66, v10
.LBB6_9945:                             ;   in Loop: Header=BB6_9656 Depth=2
	s_or_b32 exec_lo, exec_lo, s23
	s_delay_alu instid0(VALU_DEP_1) | instskip(NEXT) | instid1(VALU_DEP_1)
	v_mul_f32_e32 v10, s22, v66
	v_and_b32_e32 v11, 0x7f800000, v10
	s_delay_alu instid0(VALU_DEP_1)
	v_cmp_ne_u32_e32 vcc_lo, 0x7f800000, v11
	v_mov_b32_e32 v11, 0x8000
	s_and_saveexec_b32 s23, vcc_lo
	s_cbranch_execz .LBB6_9953
; %bb.9946:                             ;   in Loop: Header=BB6_9656 Depth=2
	v_mov_b32_e32 v11, 0
	s_mov_b32 s24, exec_lo
	v_cmpx_ne_u32_e32 0, v10
	s_cbranch_execz .LBB6_9952
; %bb.9947:                             ;   in Loop: Header=BB6_9656 Depth=2
	v_bfe_u32 v11, v10, 23, 8
	v_and_b32_e32 v66, 0x7fffff, v10
	s_delay_alu instid0(VALU_DEP_2) | instskip(SKIP_1) | instid1(VALU_DEP_3)
	v_sub_nc_u32_e32 v82, 0x78, v11
	v_cmp_gt_u32_e32 vcc_lo, 0x79, v11
	v_or_b32_e32 v83, 0x800000, v66
	s_delay_alu instid0(VALU_DEP_3) | instskip(SKIP_2) | instid1(VALU_DEP_3)
	v_cndmask_b32_e32 v82, 0, v82, vcc_lo
	v_cmp_eq_u32_e32 vcc_lo, 0, v11
	v_add_nc_u32_e32 v11, 0xffffff89, v11
	v_cndmask_b32_e64 v82, v82, 0x77, vcc_lo
	v_cndmask_b32_e32 v66, v83, v66, vcc_lo
	s_delay_alu instid0(VALU_DEP_3) | instskip(NEXT) | instid1(VALU_DEP_3)
	v_cndmask_b32_e64 v11, v11, 0xffffff8a, vcc_lo
	v_lshl_add_u32 v83, 0x100000, v82, -1
	s_delay_alu instid0(VALU_DEP_3) | instskip(SKIP_1) | instid1(VALU_DEP_4)
	v_lshrrev_b32_e32 v84, v82, v66
	v_lshlrev_b32_e64 v87, v82, 0x80000
	v_add_nc_u32_e32 v82, v82, v11
	s_delay_alu instid0(VALU_DEP_4) | instskip(NEXT) | instid1(VALU_DEP_4)
	v_and_b32_e32 v66, v83, v66
	v_bfe_u32 v86, v84, 20, 1
	s_delay_alu instid0(VALU_DEP_2) | instskip(NEXT) | instid1(VALU_DEP_2)
	v_cmp_eq_u32_e64 s10, v66, v87
	v_add_nc_u32_e32 v83, -1, v86
	s_delay_alu instid0(VALU_DEP_1) | instskip(SKIP_2) | instid1(VALU_DEP_2)
	v_cndmask_b32_e64 v66, 0, v83, s10
	v_lshrrev_b32_e32 v83, 23, v84
	s_mov_b32 s10, exec_lo
	v_add_nc_u32_e32 v66, v66, v84
	s_delay_alu instid0(VALU_DEP_2) | instskip(NEXT) | instid1(VALU_DEP_2)
	v_xor_b32_e32 v83, 1, v83
	v_and_b32_e32 v11, 0xfffff, v66
	s_delay_alu instid0(VALU_DEP_1) | instskip(NEXT) | instid1(VALU_DEP_3)
	v_add_nc_u32_e32 v66, v11, v84
                                        ; implicit-def: $vgpr11
	v_cmpx_ne_u32_e64 v82, v83
	s_xor_b32 s10, exec_lo, s10
; %bb.9948:                             ;   in Loop: Header=BB6_9656 Depth=2
	s_delay_alu instid0(VALU_DEP_2) | instskip(SKIP_2) | instid1(VALU_DEP_2)
	v_cmp_lt_u32_e32 vcc_lo, 0xffffff, v66
	v_sub_nc_u32_e32 v11, v82, v83
	v_cndmask_b32_e64 v82, 0, 1, vcc_lo
	v_add_co_ci_u32_e32 v11, vcc_lo, 0, v11, vcc_lo
	s_delay_alu instid0(VALU_DEP_2)
	v_lshrrev_b32_e32 v66, v82, v66
; %bb.9949:                             ;   in Loop: Header=BB6_9656 Depth=2
	s_and_not1_saveexec_b32 s10, s10
; %bb.9950:                             ;   in Loop: Header=BB6_9656 Depth=2
	s_delay_alu instid0(VALU_DEP_1)
	v_bfe_u32 v11, v66, 23, 1
; %bb.9951:                             ;   in Loop: Header=BB6_9656 Depth=2
	s_or_b32 exec_lo, exec_lo, s10
	v_lshrrev_b32_e32 v66, 20, v66
	s_delay_alu instid0(VALU_DEP_2) | instskip(SKIP_2) | instid1(VALU_DEP_3)
	v_min_i32_e32 v82, 15, v11
	v_cmp_gt_i32_e32 vcc_lo, 16, v11
	v_lshrrev_b32_e32 v10, 24, v10
	v_lshlrev_b32_e32 v82, 3, v82
	v_cndmask_b32_e32 v66, 7, v66, vcc_lo
	s_delay_alu instid0(VALU_DEP_3) | instskip(NEXT) | instid1(VALU_DEP_3)
	v_and_b32_e32 v10, 0x80, v10
	v_and_b32_e32 v82, 0xf8, v82
	s_delay_alu instid0(VALU_DEP_3) | instskip(SKIP_1) | instid1(VALU_DEP_2)
	v_and_b32_e32 v83, 7, v66
	v_or_b32_e32 v11, v11, v66
	v_or3_b32 v10, v10, v82, v83
	s_delay_alu instid0(VALU_DEP_2) | instskip(NEXT) | instid1(VALU_DEP_2)
	v_cmp_ne_u32_e32 vcc_lo, 0, v11
	v_lshlrev_b32_e32 v10, 8, v10
	s_delay_alu instid0(VALU_DEP_1)
	v_cndmask_b32_e32 v11, 0, v10, vcc_lo
.LBB6_9952:                             ;   in Loop: Header=BB6_9656 Depth=2
	s_or_b32 exec_lo, exec_lo, s24
.LBB6_9953:                             ;   in Loop: Header=BB6_9656 Depth=2
	s_delay_alu instid0(SALU_CYCLE_1) | instskip(SKIP_4) | instid1(VALU_DEP_1)
	s_or_b32 exec_lo, exec_lo, s23
	scratch_store_b32 off, v11, s33 offset:424 ; 4-byte Folded Spill
	v_and_b32_e32 v11, 0xff, v12
	s_mov_b32 s10, 0
	s_mov_b32 s24, exec_lo
                                        ; implicit-def: $sgpr23
	v_cmpx_lt_i16_e32 0x7f, v11
	s_xor_b32 s24, exec_lo, s24
	s_cbranch_execnz .LBB6_11295
; %bb.9954:                             ;   in Loop: Header=BB6_9656 Depth=2
	s_or_saveexec_b32 s24, s24
	v_mov_b32_e32 v10, s23
	s_xor_b32 exec_lo, exec_lo, s24
	s_cbranch_execnz .LBB6_11298
.LBB6_9955:                             ;   in Loop: Header=BB6_9656 Depth=2
	s_or_b32 exec_lo, exec_lo, s24
	s_and_saveexec_b32 s23, s10
	s_cbranch_execz .LBB6_9957
.LBB6_9956:                             ;   in Loop: Header=BB6_9656 Depth=2
	v_bfe_u32 v82, v12, 3, 4
	s_delay_alu instid0(VALU_DEP_1) | instskip(SKIP_1) | instid1(VALU_DEP_1)
	v_cmp_eq_u32_e32 vcc_lo, 0, v82
	v_and_b32_e32 v10, 7, v12
	v_clz_i32_u32_e32 v11, v10
	s_delay_alu instid0(VALU_DEP_1) | instskip(NEXT) | instid1(VALU_DEP_1)
	v_min_u32_e32 v11, 32, v11
	v_subrev_nc_u32_e32 v66, 28, v11
	v_sub_nc_u32_e32 v11, 29, v11
	s_delay_alu instid0(VALU_DEP_2) | instskip(NEXT) | instid1(VALU_DEP_1)
	v_lshlrev_b32_e32 v66, v66, v12
	v_dual_cndmask_b32 v11, v82, v11 :: v_dual_and_b32 v66, 7, v66
	v_lshlrev_b32_e32 v83, 24, v12
	s_delay_alu instid0(VALU_DEP_2) | instskip(NEXT) | instid1(VALU_DEP_3)
	v_lshl_add_u32 v11, v11, 23, 0x3b800000
	v_cndmask_b32_e32 v10, v10, v66, vcc_lo
	s_delay_alu instid0(VALU_DEP_3) | instskip(NEXT) | instid1(VALU_DEP_2)
	v_and_b32_e32 v66, 0x80000000, v83
	v_lshlrev_b32_e32 v10, 20, v10
	s_delay_alu instid0(VALU_DEP_1)
	v_or3_b32 v10, v66, v11, v10
.LBB6_9957:                             ;   in Loop: Header=BB6_9656 Depth=2
	s_or_b32 exec_lo, exec_lo, s23
	s_delay_alu instid0(VALU_DEP_1) | instskip(NEXT) | instid1(VALU_DEP_1)
	v_mul_f32_e32 v10, s22, v10
	v_and_b32_e32 v11, 0x7f800000, v10
	s_delay_alu instid0(VALU_DEP_1)
	v_cmp_ne_u32_e32 vcc_lo, 0x7f800000, v11
	v_mov_b32_e32 v11, 0x80
	scratch_store_b32 off, v11, s33 offset:360 ; 4-byte Folded Spill
	s_and_saveexec_b32 s23, vcc_lo
	s_cbranch_execz .LBB6_9965
; %bb.9958:                             ;   in Loop: Header=BB6_9656 Depth=2
	v_mov_b32_e32 v11, 0
	s_mov_b32 s24, exec_lo
	scratch_store_b32 off, v11, s33 offset:360 ; 4-byte Folded Spill
	v_cmpx_ne_u32_e32 0, v10
	s_cbranch_execz .LBB6_9964
; %bb.9959:                             ;   in Loop: Header=BB6_9656 Depth=2
	v_bfe_u32 v11, v10, 23, 8
	v_and_b32_e32 v66, 0x7fffff, v10
	s_delay_alu instid0(VALU_DEP_2) | instskip(SKIP_1) | instid1(VALU_DEP_3)
	v_sub_nc_u32_e32 v82, 0x78, v11
	v_cmp_gt_u32_e32 vcc_lo, 0x79, v11
	v_or_b32_e32 v83, 0x800000, v66
	s_delay_alu instid0(VALU_DEP_3) | instskip(SKIP_2) | instid1(VALU_DEP_3)
	v_cndmask_b32_e32 v82, 0, v82, vcc_lo
	v_cmp_eq_u32_e32 vcc_lo, 0, v11
	v_add_nc_u32_e32 v11, 0xffffff89, v11
	v_cndmask_b32_e64 v82, v82, 0x77, vcc_lo
	v_cndmask_b32_e32 v66, v83, v66, vcc_lo
	s_delay_alu instid0(VALU_DEP_3) | instskip(NEXT) | instid1(VALU_DEP_3)
	v_cndmask_b32_e64 v11, v11, 0xffffff8a, vcc_lo
	v_lshl_add_u32 v83, 0x100000, v82, -1
	s_delay_alu instid0(VALU_DEP_3) | instskip(SKIP_1) | instid1(VALU_DEP_4)
	v_lshrrev_b32_e32 v84, v82, v66
	v_lshlrev_b32_e64 v87, v82, 0x80000
	v_add_nc_u32_e32 v82, v82, v11
	s_delay_alu instid0(VALU_DEP_4) | instskip(NEXT) | instid1(VALU_DEP_4)
	v_and_b32_e32 v66, v83, v66
	v_bfe_u32 v86, v84, 20, 1
	s_delay_alu instid0(VALU_DEP_2) | instskip(NEXT) | instid1(VALU_DEP_2)
	v_cmp_eq_u32_e64 s10, v66, v87
	v_add_nc_u32_e32 v83, -1, v86
	s_delay_alu instid0(VALU_DEP_1) | instskip(SKIP_2) | instid1(VALU_DEP_2)
	v_cndmask_b32_e64 v66, 0, v83, s10
	v_lshrrev_b32_e32 v83, 23, v84
	s_mov_b32 s10, exec_lo
	v_add_nc_u32_e32 v66, v66, v84
	s_delay_alu instid0(VALU_DEP_2) | instskip(NEXT) | instid1(VALU_DEP_2)
	v_xor_b32_e32 v83, 1, v83
	v_and_b32_e32 v11, 0xfffff, v66
	s_delay_alu instid0(VALU_DEP_1) | instskip(NEXT) | instid1(VALU_DEP_3)
	v_add_nc_u32_e32 v66, v11, v84
                                        ; implicit-def: $vgpr11
	v_cmpx_ne_u32_e64 v82, v83
	s_xor_b32 s10, exec_lo, s10
; %bb.9960:                             ;   in Loop: Header=BB6_9656 Depth=2
	s_delay_alu instid0(VALU_DEP_2) | instskip(SKIP_2) | instid1(VALU_DEP_2)
	v_cmp_lt_u32_e32 vcc_lo, 0xffffff, v66
	v_sub_nc_u32_e32 v11, v82, v83
	v_cndmask_b32_e64 v82, 0, 1, vcc_lo
	v_add_co_ci_u32_e32 v11, vcc_lo, 0, v11, vcc_lo
	s_delay_alu instid0(VALU_DEP_2)
	v_lshrrev_b32_e32 v66, v82, v66
; %bb.9961:                             ;   in Loop: Header=BB6_9656 Depth=2
	s_and_not1_saveexec_b32 s10, s10
; %bb.9962:                             ;   in Loop: Header=BB6_9656 Depth=2
	s_delay_alu instid0(VALU_DEP_1)
	v_bfe_u32 v11, v66, 23, 1
; %bb.9963:                             ;   in Loop: Header=BB6_9656 Depth=2
	s_or_b32 exec_lo, exec_lo, s10
	v_lshrrev_b32_e32 v66, 20, v66
	s_delay_alu instid0(VALU_DEP_2) | instskip(SKIP_2) | instid1(VALU_DEP_4)
	v_cmp_gt_i32_e32 vcc_lo, 16, v11
	v_lshrrev_b32_e32 v10, 24, v10
	v_min_i32_e32 v82, 15, v11
	v_cndmask_b32_e32 v66, 7, v66, vcc_lo
	s_delay_alu instid0(VALU_DEP_3) | instskip(NEXT) | instid1(VALU_DEP_3)
	v_and_b32_e32 v10, 0x80, v10
	v_lshlrev_b32_e32 v82, 3, v82
	s_delay_alu instid0(VALU_DEP_3) | instskip(SKIP_1) | instid1(VALU_DEP_2)
	v_and_b32_e32 v83, 7, v66
	v_or_b32_e32 v11, v11, v66
	v_or3_b32 v10, v82, v10, v83
	s_delay_alu instid0(VALU_DEP_2) | instskip(NEXT) | instid1(VALU_DEP_2)
	v_cmp_ne_u32_e32 vcc_lo, 0, v11
	v_cndmask_b32_e32 v10, 0, v10, vcc_lo
	scratch_store_b32 off, v10, s33 offset:360 ; 4-byte Folded Spill
.LBB6_9964:                             ;   in Loop: Header=BB6_9656 Depth=2
	s_or_b32 exec_lo, exec_lo, s24
.LBB6_9965:                             ;   in Loop: Header=BB6_9656 Depth=2
	s_delay_alu instid0(SALU_CYCLE_1) | instskip(SKIP_3) | instid1(VALU_DEP_1)
	s_or_b32 exec_lo, exec_lo, s23
	v_lshrrev_b16 v10, 8, v12
	s_mov_b32 s10, 0
	s_mov_b32 s24, exec_lo
                                        ; implicit-def: $sgpr23
	v_cmpx_lt_i16_e32 0x7f, v10
	s_xor_b32 s24, exec_lo, s24
	s_cbranch_execnz .LBB6_11299
; %bb.9966:                             ;   in Loop: Header=BB6_9656 Depth=2
	s_or_saveexec_b32 s24, s24
	v_mov_b32_e32 v11, s23
	s_xor_b32 exec_lo, exec_lo, s24
	s_cbranch_execnz .LBB6_11302
.LBB6_9967:                             ;   in Loop: Header=BB6_9656 Depth=2
	s_or_b32 exec_lo, exec_lo, s24
	s_and_saveexec_b32 s23, s10
	s_cbranch_execz .LBB6_9969
.LBB6_9968:                             ;   in Loop: Header=BB6_9656 Depth=2
	v_and_b32_e32 v11, 0xffff, v10
	v_lshlrev_b32_e32 v10, 24, v10
	s_delay_alu instid0(VALU_DEP_2) | instskip(NEXT) | instid1(VALU_DEP_2)
	v_and_b32_e32 v66, 7, v11
	v_and_b32_e32 v10, 0x80000000, v10
	s_delay_alu instid0(VALU_DEP_2) | instskip(NEXT) | instid1(VALU_DEP_1)
	v_clz_i32_u32_e32 v82, v66
	v_min_u32_e32 v82, 32, v82
	s_delay_alu instid0(VALU_DEP_1) | instskip(SKIP_1) | instid1(VALU_DEP_2)
	v_subrev_nc_u32_e32 v83, 28, v82
	v_sub_nc_u32_e32 v82, 29, v82
	v_lshlrev_b32_e32 v83, v83, v11
	v_bfe_u32 v11, v11, 3, 4
	s_delay_alu instid0(VALU_DEP_2) | instskip(NEXT) | instid1(VALU_DEP_2)
	v_and_b32_e32 v83, 7, v83
	v_cmp_eq_u32_e32 vcc_lo, 0, v11
	s_delay_alu instid0(VALU_DEP_2) | instskip(NEXT) | instid1(VALU_DEP_1)
	v_dual_cndmask_b32 v11, v11, v82 :: v_dual_cndmask_b32 v66, v66, v83
	v_lshl_add_u32 v11, v11, 23, 0x3b800000
	s_delay_alu instid0(VALU_DEP_2) | instskip(NEXT) | instid1(VALU_DEP_1)
	v_lshlrev_b32_e32 v66, 20, v66
	v_or3_b32 v11, v10, v11, v66
.LBB6_9969:                             ;   in Loop: Header=BB6_9656 Depth=2
	s_or_b32 exec_lo, exec_lo, s23
	s_delay_alu instid0(VALU_DEP_1) | instskip(NEXT) | instid1(VALU_DEP_1)
	v_mul_f32_e32 v10, s22, v11
	v_and_b32_e32 v11, 0x7f800000, v10
	s_delay_alu instid0(VALU_DEP_1)
	v_cmp_ne_u32_e32 vcc_lo, 0x7f800000, v11
	v_mov_b32_e32 v11, 0x80
	s_and_saveexec_b32 s23, vcc_lo
	s_cbranch_execz .LBB6_9977
; %bb.9970:                             ;   in Loop: Header=BB6_9656 Depth=2
	v_mov_b32_e32 v11, 0
	s_mov_b32 s24, exec_lo
	v_cmpx_ne_u32_e32 0, v10
	s_cbranch_execz .LBB6_9976
; %bb.9971:                             ;   in Loop: Header=BB6_9656 Depth=2
	v_bfe_u32 v11, v10, 23, 8
	v_and_b32_e32 v66, 0x7fffff, v10
	s_delay_alu instid0(VALU_DEP_2) | instskip(SKIP_1) | instid1(VALU_DEP_3)
	v_sub_nc_u32_e32 v82, 0x78, v11
	v_cmp_gt_u32_e32 vcc_lo, 0x79, v11
	v_or_b32_e32 v83, 0x800000, v66
	s_delay_alu instid0(VALU_DEP_3) | instskip(SKIP_2) | instid1(VALU_DEP_3)
	v_cndmask_b32_e32 v82, 0, v82, vcc_lo
	v_cmp_eq_u32_e32 vcc_lo, 0, v11
	v_add_nc_u32_e32 v11, 0xffffff89, v11
	v_cndmask_b32_e64 v82, v82, 0x77, vcc_lo
	v_cndmask_b32_e32 v66, v83, v66, vcc_lo
	s_delay_alu instid0(VALU_DEP_3) | instskip(NEXT) | instid1(VALU_DEP_3)
	v_cndmask_b32_e64 v11, v11, 0xffffff8a, vcc_lo
	v_lshl_add_u32 v83, 0x100000, v82, -1
	s_delay_alu instid0(VALU_DEP_3) | instskip(SKIP_1) | instid1(VALU_DEP_4)
	v_lshrrev_b32_e32 v84, v82, v66
	v_lshlrev_b32_e64 v87, v82, 0x80000
	v_add_nc_u32_e32 v82, v82, v11
	s_delay_alu instid0(VALU_DEP_4) | instskip(NEXT) | instid1(VALU_DEP_4)
	v_and_b32_e32 v66, v83, v66
	v_bfe_u32 v86, v84, 20, 1
	s_delay_alu instid0(VALU_DEP_2) | instskip(NEXT) | instid1(VALU_DEP_2)
	v_cmp_eq_u32_e64 s10, v66, v87
	v_add_nc_u32_e32 v83, -1, v86
	s_delay_alu instid0(VALU_DEP_1) | instskip(SKIP_2) | instid1(VALU_DEP_2)
	v_cndmask_b32_e64 v66, 0, v83, s10
	v_lshrrev_b32_e32 v83, 23, v84
	s_mov_b32 s10, exec_lo
	v_add_nc_u32_e32 v66, v66, v84
	s_delay_alu instid0(VALU_DEP_2) | instskip(NEXT) | instid1(VALU_DEP_2)
	v_xor_b32_e32 v83, 1, v83
	v_and_b32_e32 v11, 0xfffff, v66
	s_delay_alu instid0(VALU_DEP_1) | instskip(NEXT) | instid1(VALU_DEP_3)
	v_add_nc_u32_e32 v66, v11, v84
                                        ; implicit-def: $vgpr11
	v_cmpx_ne_u32_e64 v82, v83
	s_xor_b32 s10, exec_lo, s10
; %bb.9972:                             ;   in Loop: Header=BB6_9656 Depth=2
	s_delay_alu instid0(VALU_DEP_2) | instskip(SKIP_2) | instid1(VALU_DEP_2)
	v_cmp_lt_u32_e32 vcc_lo, 0xffffff, v66
	v_sub_nc_u32_e32 v11, v82, v83
	v_cndmask_b32_e64 v82, 0, 1, vcc_lo
	v_add_co_ci_u32_e32 v11, vcc_lo, 0, v11, vcc_lo
	s_delay_alu instid0(VALU_DEP_2)
	v_lshrrev_b32_e32 v66, v82, v66
; %bb.9973:                             ;   in Loop: Header=BB6_9656 Depth=2
	s_and_not1_saveexec_b32 s10, s10
; %bb.9974:                             ;   in Loop: Header=BB6_9656 Depth=2
	s_delay_alu instid0(VALU_DEP_1)
	v_bfe_u32 v11, v66, 23, 1
; %bb.9975:                             ;   in Loop: Header=BB6_9656 Depth=2
	s_or_b32 exec_lo, exec_lo, s10
	v_lshrrev_b32_e32 v66, 20, v66
	s_delay_alu instid0(VALU_DEP_2) | instskip(SKIP_2) | instid1(VALU_DEP_4)
	v_cmp_gt_i32_e32 vcc_lo, 16, v11
	v_lshrrev_b32_e32 v10, 24, v10
	v_min_i32_e32 v82, 15, v11
	v_cndmask_b32_e32 v66, 7, v66, vcc_lo
	s_delay_alu instid0(VALU_DEP_3) | instskip(NEXT) | instid1(VALU_DEP_3)
	v_and_b32_e32 v10, 0x80, v10
	v_lshlrev_b32_e32 v82, 3, v82
	s_delay_alu instid0(VALU_DEP_3) | instskip(SKIP_1) | instid1(VALU_DEP_2)
	v_and_b32_e32 v83, 7, v66
	v_or_b32_e32 v11, v11, v66
	v_or3_b32 v10, v82, v10, v83
	s_delay_alu instid0(VALU_DEP_2) | instskip(NEXT) | instid1(VALU_DEP_2)
	v_cmp_ne_u32_e32 vcc_lo, 0, v11
	v_cndmask_b32_e32 v11, 0, v10, vcc_lo
.LBB6_9976:                             ;   in Loop: Header=BB6_9656 Depth=2
	s_or_b32 exec_lo, exec_lo, s24
.LBB6_9977:                             ;   in Loop: Header=BB6_9656 Depth=2
	s_delay_alu instid0(SALU_CYCLE_1)
	s_or_b32 exec_lo, exec_lo, s23
	v_lshrrev_b32_e32 v10, 16, v12
	s_mov_b32 s10, 0
	s_mov_b32 s24, exec_lo
	scratch_store_b32 off, v11, s33 offset:428 ; 4-byte Folded Spill
                                        ; implicit-def: $sgpr23
	v_and_b32_e32 v66, 0xff, v10
	s_delay_alu instid0(VALU_DEP_1)
	v_cmpx_lt_i16_e32 0x7f, v66
	s_xor_b32 s24, exec_lo, s24
	s_cbranch_execnz .LBB6_11303
; %bb.9978:                             ;   in Loop: Header=BB6_9656 Depth=2
	s_or_saveexec_b32 s24, s24
	v_mov_b32_e32 v11, s23
	s_xor_b32 exec_lo, exec_lo, s24
	s_cbranch_execnz .LBB6_11306
.LBB6_9979:                             ;   in Loop: Header=BB6_9656 Depth=2
	s_or_b32 exec_lo, exec_lo, s24
	s_and_saveexec_b32 s23, s10
	s_cbranch_execz .LBB6_9981
.LBB6_9980:                             ;   in Loop: Header=BB6_9656 Depth=2
	v_bfe_u32 v11, v12, 16, 3
	s_delay_alu instid0(VALU_DEP_1) | instskip(NEXT) | instid1(VALU_DEP_1)
	v_clz_i32_u32_e32 v66, v11
	v_min_u32_e32 v66, 32, v66
	s_delay_alu instid0(VALU_DEP_1) | instskip(SKIP_1) | instid1(VALU_DEP_2)
	v_subrev_nc_u32_e32 v82, 28, v66
	v_sub_nc_u32_e32 v66, 29, v66
	v_lshlrev_b32_e32 v10, v82, v10
	v_bfe_u32 v82, v12, 19, 4
	s_delay_alu instid0(VALU_DEP_2) | instskip(NEXT) | instid1(VALU_DEP_2)
	v_and_b32_e32 v10, 7, v10
	v_cmp_eq_u32_e32 vcc_lo, 0, v82
	v_dual_cndmask_b32 v66, v82, v66 :: v_dual_lshlrev_b32 v83, 8, v12
	s_delay_alu instid0(VALU_DEP_1) | instskip(NEXT) | instid1(VALU_DEP_2)
	v_dual_cndmask_b32 v10, v11, v10 :: v_dual_and_b32 v11, 0x80000000, v83
	v_lshl_add_u32 v66, v66, 23, 0x3b800000
	s_delay_alu instid0(VALU_DEP_2) | instskip(NEXT) | instid1(VALU_DEP_1)
	v_lshlrev_b32_e32 v10, 20, v10
	v_or3_b32 v11, v11, v66, v10
.LBB6_9981:                             ;   in Loop: Header=BB6_9656 Depth=2
	s_or_b32 exec_lo, exec_lo, s23
	s_delay_alu instid0(VALU_DEP_1) | instskip(NEXT) | instid1(VALU_DEP_1)
	v_mul_f32_e32 v10, s22, v11
	v_and_b32_e32 v11, 0x7f800000, v10
	s_delay_alu instid0(VALU_DEP_1)
	v_cmp_ne_u32_e32 vcc_lo, 0x7f800000, v11
	v_mov_b32_e32 v11, 0x80
	scratch_store_b32 off, v11, s33 offset:364 ; 4-byte Folded Spill
	s_and_saveexec_b32 s23, vcc_lo
	s_cbranch_execz .LBB6_9989
; %bb.9982:                             ;   in Loop: Header=BB6_9656 Depth=2
	v_mov_b32_e32 v11, 0
	s_mov_b32 s24, exec_lo
	scratch_store_b32 off, v11, s33 offset:364 ; 4-byte Folded Spill
	v_cmpx_ne_u32_e32 0, v10
	s_cbranch_execz .LBB6_9988
; %bb.9983:                             ;   in Loop: Header=BB6_9656 Depth=2
	v_bfe_u32 v11, v10, 23, 8
	v_and_b32_e32 v66, 0x7fffff, v10
	s_delay_alu instid0(VALU_DEP_2) | instskip(SKIP_1) | instid1(VALU_DEP_3)
	v_sub_nc_u32_e32 v82, 0x78, v11
	v_cmp_gt_u32_e32 vcc_lo, 0x79, v11
	v_or_b32_e32 v83, 0x800000, v66
	s_delay_alu instid0(VALU_DEP_3) | instskip(SKIP_2) | instid1(VALU_DEP_3)
	v_cndmask_b32_e32 v82, 0, v82, vcc_lo
	v_cmp_eq_u32_e32 vcc_lo, 0, v11
	v_add_nc_u32_e32 v11, 0xffffff89, v11
	v_cndmask_b32_e64 v82, v82, 0x77, vcc_lo
	v_cndmask_b32_e32 v66, v83, v66, vcc_lo
	s_delay_alu instid0(VALU_DEP_3) | instskip(NEXT) | instid1(VALU_DEP_3)
	v_cndmask_b32_e64 v11, v11, 0xffffff8a, vcc_lo
	v_lshl_add_u32 v83, 0x100000, v82, -1
	s_delay_alu instid0(VALU_DEP_3) | instskip(SKIP_1) | instid1(VALU_DEP_4)
	v_lshrrev_b32_e32 v84, v82, v66
	v_lshlrev_b32_e64 v87, v82, 0x80000
	v_add_nc_u32_e32 v82, v82, v11
	s_delay_alu instid0(VALU_DEP_4) | instskip(NEXT) | instid1(VALU_DEP_4)
	v_and_b32_e32 v66, v83, v66
	v_bfe_u32 v86, v84, 20, 1
	s_delay_alu instid0(VALU_DEP_2) | instskip(NEXT) | instid1(VALU_DEP_2)
	v_cmp_eq_u32_e64 s10, v66, v87
	v_add_nc_u32_e32 v83, -1, v86
	s_delay_alu instid0(VALU_DEP_1) | instskip(SKIP_2) | instid1(VALU_DEP_2)
	v_cndmask_b32_e64 v66, 0, v83, s10
	v_lshrrev_b32_e32 v83, 23, v84
	s_mov_b32 s10, exec_lo
	v_add_nc_u32_e32 v66, v66, v84
	s_delay_alu instid0(VALU_DEP_2) | instskip(NEXT) | instid1(VALU_DEP_2)
	v_xor_b32_e32 v83, 1, v83
	v_and_b32_e32 v11, 0xfffff, v66
	s_delay_alu instid0(VALU_DEP_1) | instskip(NEXT) | instid1(VALU_DEP_3)
	v_add_nc_u32_e32 v66, v11, v84
                                        ; implicit-def: $vgpr11
	v_cmpx_ne_u32_e64 v82, v83
	s_xor_b32 s10, exec_lo, s10
; %bb.9984:                             ;   in Loop: Header=BB6_9656 Depth=2
	s_delay_alu instid0(VALU_DEP_2) | instskip(SKIP_2) | instid1(VALU_DEP_2)
	v_cmp_lt_u32_e32 vcc_lo, 0xffffff, v66
	v_sub_nc_u32_e32 v11, v82, v83
	v_cndmask_b32_e64 v82, 0, 1, vcc_lo
	v_add_co_ci_u32_e32 v11, vcc_lo, 0, v11, vcc_lo
	s_delay_alu instid0(VALU_DEP_2)
	v_lshrrev_b32_e32 v66, v82, v66
; %bb.9985:                             ;   in Loop: Header=BB6_9656 Depth=2
	s_and_not1_saveexec_b32 s10, s10
; %bb.9986:                             ;   in Loop: Header=BB6_9656 Depth=2
	s_delay_alu instid0(VALU_DEP_1)
	v_bfe_u32 v11, v66, 23, 1
; %bb.9987:                             ;   in Loop: Header=BB6_9656 Depth=2
	s_or_b32 exec_lo, exec_lo, s10
	v_lshrrev_b32_e32 v66, 20, v66
	s_delay_alu instid0(VALU_DEP_2) | instskip(SKIP_2) | instid1(VALU_DEP_4)
	v_cmp_gt_i32_e32 vcc_lo, 16, v11
	v_lshrrev_b32_e32 v10, 24, v10
	v_min_i32_e32 v82, 15, v11
	v_cndmask_b32_e32 v66, 7, v66, vcc_lo
	s_delay_alu instid0(VALU_DEP_3) | instskip(NEXT) | instid1(VALU_DEP_3)
	v_and_b32_e32 v10, 0x80, v10
	v_lshlrev_b32_e32 v82, 3, v82
	s_delay_alu instid0(VALU_DEP_3) | instskip(SKIP_1) | instid1(VALU_DEP_2)
	v_and_b32_e32 v83, 7, v66
	v_or_b32_e32 v11, v11, v66
	v_or3_b32 v10, v82, v10, v83
	s_delay_alu instid0(VALU_DEP_2) | instskip(NEXT) | instid1(VALU_DEP_2)
	v_cmp_ne_u32_e32 vcc_lo, 0, v11
	v_cndmask_b32_e32 v10, 0, v10, vcc_lo
	scratch_store_b32 off, v10, s33 offset:364 ; 4-byte Folded Spill
.LBB6_9988:                             ;   in Loop: Header=BB6_9656 Depth=2
	s_or_b32 exec_lo, exec_lo, s24
.LBB6_9989:                             ;   in Loop: Header=BB6_9656 Depth=2
	s_delay_alu instid0(SALU_CYCLE_1) | instskip(SKIP_3) | instid1(VALU_DEP_1)
	s_or_b32 exec_lo, exec_lo, s23
	v_lshrrev_b32_e32 v10, 24, v12
	s_mov_b32 s10, 0
	s_mov_b32 s24, exec_lo
                                        ; implicit-def: $sgpr23
	v_cmpx_lt_i16_e32 0x7f, v10
	s_xor_b32 s24, exec_lo, s24
	s_cbranch_execnz .LBB6_11307
; %bb.9990:                             ;   in Loop: Header=BB6_9656 Depth=2
	s_or_saveexec_b32 s24, s24
	v_mov_b32_e32 v11, s23
	s_xor_b32 exec_lo, exec_lo, s24
	s_cbranch_execnz .LBB6_11310
.LBB6_9991:                             ;   in Loop: Header=BB6_9656 Depth=2
	s_or_b32 exec_lo, exec_lo, s24
	s_and_saveexec_b32 s23, s10
	s_cbranch_execz .LBB6_9993
.LBB6_9992:                             ;   in Loop: Header=BB6_9656 Depth=2
	v_bfe_u32 v11, v12, 24, 3
	s_delay_alu instid0(VALU_DEP_1) | instskip(NEXT) | instid1(VALU_DEP_1)
	v_clz_i32_u32_e32 v66, v11
	v_min_u32_e32 v66, 32, v66
	s_delay_alu instid0(VALU_DEP_1) | instskip(SKIP_1) | instid1(VALU_DEP_2)
	v_subrev_nc_u32_e32 v82, 28, v66
	v_sub_nc_u32_e32 v66, 29, v66
	v_lshlrev_b32_e32 v10, v82, v10
	v_bfe_u32 v82, v12, 27, 4
	s_delay_alu instid0(VALU_DEP_2) | instskip(NEXT) | instid1(VALU_DEP_2)
	v_and_b32_e32 v10, 7, v10
	v_cmp_eq_u32_e32 vcc_lo, 0, v82
	v_cndmask_b32_e32 v66, v82, v66, vcc_lo
	s_delay_alu instid0(VALU_DEP_3) | instskip(NEXT) | instid1(VALU_DEP_2)
	v_dual_cndmask_b32 v10, v11, v10 :: v_dual_and_b32 v11, 0x80000000, v12
	v_lshl_add_u32 v12, v66, 23, 0x3b800000
	s_delay_alu instid0(VALU_DEP_2) | instskip(NEXT) | instid1(VALU_DEP_1)
	v_lshlrev_b32_e32 v10, 20, v10
	v_or3_b32 v11, v11, v12, v10
.LBB6_9993:                             ;   in Loop: Header=BB6_9656 Depth=2
	s_or_b32 exec_lo, exec_lo, s23
	s_delay_alu instid0(VALU_DEP_1) | instskip(NEXT) | instid1(VALU_DEP_1)
	v_mul_f32_e32 v10, s22, v11
	v_and_b32_e32 v11, 0x7f800000, v10
	s_delay_alu instid0(VALU_DEP_1)
	v_cmp_ne_u32_e32 vcc_lo, 0x7f800000, v11
	v_mov_b32_e32 v11, 0x80
	s_and_saveexec_b32 s23, vcc_lo
	s_cbranch_execz .LBB6_10001
; %bb.9994:                             ;   in Loop: Header=BB6_9656 Depth=2
	v_mov_b32_e32 v11, 0
	s_mov_b32 s24, exec_lo
	v_cmpx_ne_u32_e32 0, v10
	s_cbranch_execz .LBB6_10000
; %bb.9995:                             ;   in Loop: Header=BB6_9656 Depth=2
	v_bfe_u32 v11, v10, 23, 8
	v_and_b32_e32 v12, 0x7fffff, v10
	s_delay_alu instid0(VALU_DEP_2) | instskip(SKIP_1) | instid1(VALU_DEP_3)
	v_sub_nc_u32_e32 v66, 0x78, v11
	v_cmp_gt_u32_e32 vcc_lo, 0x79, v11
	v_or_b32_e32 v82, 0x800000, v12
	s_delay_alu instid0(VALU_DEP_3) | instskip(SKIP_2) | instid1(VALU_DEP_3)
	v_cndmask_b32_e32 v66, 0, v66, vcc_lo
	v_cmp_eq_u32_e32 vcc_lo, 0, v11
	v_add_nc_u32_e32 v11, 0xffffff89, v11
	v_cndmask_b32_e64 v66, v66, 0x77, vcc_lo
	v_cndmask_b32_e32 v12, v82, v12, vcc_lo
	s_delay_alu instid0(VALU_DEP_3) | instskip(NEXT) | instid1(VALU_DEP_3)
	v_cndmask_b32_e64 v11, v11, 0xffffff8a, vcc_lo
	v_lshl_add_u32 v82, 0x100000, v66, -1
	s_delay_alu instid0(VALU_DEP_3) | instskip(SKIP_1) | instid1(VALU_DEP_4)
	v_lshrrev_b32_e32 v83, v66, v12
	v_lshlrev_b32_e64 v86, v66, 0x80000
	v_add_nc_u32_e32 v66, v66, v11
	s_delay_alu instid0(VALU_DEP_4) | instskip(NEXT) | instid1(VALU_DEP_4)
	v_and_b32_e32 v12, v82, v12
	v_bfe_u32 v84, v83, 20, 1
	s_delay_alu instid0(VALU_DEP_2) | instskip(NEXT) | instid1(VALU_DEP_2)
	v_cmp_eq_u32_e64 s10, v12, v86
	v_add_nc_u32_e32 v82, -1, v84
	s_delay_alu instid0(VALU_DEP_1) | instskip(SKIP_2) | instid1(VALU_DEP_2)
	v_cndmask_b32_e64 v12, 0, v82, s10
	v_lshrrev_b32_e32 v82, 23, v83
	s_mov_b32 s10, exec_lo
	v_add_nc_u32_e32 v12, v12, v83
	s_delay_alu instid0(VALU_DEP_2) | instskip(NEXT) | instid1(VALU_DEP_2)
	v_xor_b32_e32 v82, 1, v82
	v_and_b32_e32 v11, 0xfffff, v12
	s_delay_alu instid0(VALU_DEP_1) | instskip(NEXT) | instid1(VALU_DEP_3)
	v_add_nc_u32_e32 v12, v11, v83
                                        ; implicit-def: $vgpr11
	v_cmpx_ne_u32_e64 v66, v82
	s_xor_b32 s10, exec_lo, s10
; %bb.9996:                             ;   in Loop: Header=BB6_9656 Depth=2
	s_delay_alu instid0(VALU_DEP_2) | instskip(SKIP_2) | instid1(VALU_DEP_2)
	v_cmp_lt_u32_e32 vcc_lo, 0xffffff, v12
	v_sub_nc_u32_e32 v11, v66, v82
	v_cndmask_b32_e64 v66, 0, 1, vcc_lo
	v_add_co_ci_u32_e32 v11, vcc_lo, 0, v11, vcc_lo
	s_delay_alu instid0(VALU_DEP_2)
	v_lshrrev_b32_e32 v12, v66, v12
; %bb.9997:                             ;   in Loop: Header=BB6_9656 Depth=2
	s_and_not1_saveexec_b32 s10, s10
; %bb.9998:                             ;   in Loop: Header=BB6_9656 Depth=2
	s_delay_alu instid0(VALU_DEP_1)
	v_bfe_u32 v11, v12, 23, 1
; %bb.9999:                             ;   in Loop: Header=BB6_9656 Depth=2
	s_or_b32 exec_lo, exec_lo, s10
	v_lshrrev_b32_e32 v12, 20, v12
	s_delay_alu instid0(VALU_DEP_2) | instskip(SKIP_2) | instid1(VALU_DEP_4)
	v_cmp_gt_i32_e32 vcc_lo, 16, v11
	v_lshrrev_b32_e32 v10, 24, v10
	v_min_i32_e32 v66, 15, v11
	v_cndmask_b32_e32 v12, 7, v12, vcc_lo
	s_delay_alu instid0(VALU_DEP_3) | instskip(NEXT) | instid1(VALU_DEP_3)
	v_and_b32_e32 v10, 0x80, v10
	v_lshlrev_b32_e32 v66, 3, v66
	s_delay_alu instid0(VALU_DEP_3) | instskip(SKIP_1) | instid1(VALU_DEP_2)
	v_and_b32_e32 v82, 7, v12
	v_or_b32_e32 v11, v11, v12
	v_or3_b32 v10, v66, v10, v82
	s_delay_alu instid0(VALU_DEP_2) | instskip(NEXT) | instid1(VALU_DEP_2)
	v_cmp_ne_u32_e32 vcc_lo, 0, v11
	v_cndmask_b32_e32 v11, 0, v10, vcc_lo
.LBB6_10000:                            ;   in Loop: Header=BB6_9656 Depth=2
	s_or_b32 exec_lo, exec_lo, s24
.LBB6_10001:                            ;   in Loop: Header=BB6_9656 Depth=2
	s_delay_alu instid0(SALU_CYCLE_1) | instskip(SKIP_4) | instid1(VALU_DEP_1)
	s_or_b32 exec_lo, exec_lo, s23
	scratch_store_b32 off, v11, s33 offset:432 ; 4-byte Folded Spill
	v_and_b32_e32 v11, 0xff, v13
	s_mov_b32 s10, 0
	s_mov_b32 s24, exec_lo
                                        ; implicit-def: $sgpr23
	v_cmpx_lt_i16_e32 0x7f, v11
	s_xor_b32 s24, exec_lo, s24
	s_cbranch_execnz .LBB6_11311
; %bb.10002:                            ;   in Loop: Header=BB6_9656 Depth=2
	s_or_saveexec_b32 s24, s24
	v_mov_b32_e32 v10, s23
	s_xor_b32 exec_lo, exec_lo, s24
	s_cbranch_execnz .LBB6_11314
.LBB6_10003:                            ;   in Loop: Header=BB6_9656 Depth=2
	s_or_b32 exec_lo, exec_lo, s24
	s_and_saveexec_b32 s23, s10
	s_cbranch_execz .LBB6_10005
.LBB6_10004:                            ;   in Loop: Header=BB6_9656 Depth=2
	v_bfe_u32 v66, v13, 3, 4
	v_lshlrev_b32_e32 v82, 24, v13
	s_delay_alu instid0(VALU_DEP_2) | instskip(SKIP_1) | instid1(VALU_DEP_1)
	v_cmp_eq_u32_e32 vcc_lo, 0, v66
	v_and_b32_e32 v10, 7, v13
	v_clz_i32_u32_e32 v11, v10
	s_delay_alu instid0(VALU_DEP_1) | instskip(NEXT) | instid1(VALU_DEP_1)
	v_min_u32_e32 v11, 32, v11
	v_subrev_nc_u32_e32 v12, 28, v11
	v_sub_nc_u32_e32 v11, 29, v11
	s_delay_alu instid0(VALU_DEP_1) | instskip(NEXT) | instid1(VALU_DEP_1)
	v_dual_cndmask_b32 v11, v66, v11 :: v_dual_lshlrev_b32 v12, v12, v13
	v_and_b32_e32 v12, 7, v12
	s_delay_alu instid0(VALU_DEP_2) | instskip(NEXT) | instid1(VALU_DEP_2)
	v_lshl_add_u32 v11, v11, 23, 0x3b800000
	v_cndmask_b32_e32 v10, v10, v12, vcc_lo
	v_and_b32_e32 v12, 0x80000000, v82
	s_delay_alu instid0(VALU_DEP_2) | instskip(NEXT) | instid1(VALU_DEP_1)
	v_lshlrev_b32_e32 v10, 20, v10
	v_or3_b32 v10, v12, v11, v10
.LBB6_10005:                            ;   in Loop: Header=BB6_9656 Depth=2
	s_or_b32 exec_lo, exec_lo, s23
	s_delay_alu instid0(VALU_DEP_1) | instskip(NEXT) | instid1(VALU_DEP_1)
	v_mul_f32_e32 v10, s22, v10
	v_and_b32_e32 v11, 0x7f800000, v10
	s_delay_alu instid0(VALU_DEP_1)
	v_cmp_ne_u32_e32 vcc_lo, 0x7f800000, v11
	v_mov_b32_e32 v11, 0x80
	scratch_store_b32 off, v11, s33 offset:368 ; 4-byte Folded Spill
	s_and_saveexec_b32 s23, vcc_lo
	s_cbranch_execz .LBB6_10013
; %bb.10006:                            ;   in Loop: Header=BB6_9656 Depth=2
	v_mov_b32_e32 v11, 0
	s_mov_b32 s24, exec_lo
	scratch_store_b32 off, v11, s33 offset:368 ; 4-byte Folded Spill
	v_cmpx_ne_u32_e32 0, v10
	s_cbranch_execz .LBB6_10012
; %bb.10007:                            ;   in Loop: Header=BB6_9656 Depth=2
	v_bfe_u32 v11, v10, 23, 8
	v_and_b32_e32 v12, 0x7fffff, v10
	s_delay_alu instid0(VALU_DEP_2) | instskip(SKIP_1) | instid1(VALU_DEP_3)
	v_sub_nc_u32_e32 v66, 0x78, v11
	v_cmp_gt_u32_e32 vcc_lo, 0x79, v11
	v_or_b32_e32 v82, 0x800000, v12
	s_delay_alu instid0(VALU_DEP_3) | instskip(SKIP_2) | instid1(VALU_DEP_3)
	v_cndmask_b32_e32 v66, 0, v66, vcc_lo
	v_cmp_eq_u32_e32 vcc_lo, 0, v11
	v_add_nc_u32_e32 v11, 0xffffff89, v11
	v_cndmask_b32_e64 v66, v66, 0x77, vcc_lo
	v_cndmask_b32_e32 v12, v82, v12, vcc_lo
	s_delay_alu instid0(VALU_DEP_3) | instskip(NEXT) | instid1(VALU_DEP_3)
	v_cndmask_b32_e64 v11, v11, 0xffffff8a, vcc_lo
	v_lshl_add_u32 v82, 0x100000, v66, -1
	s_delay_alu instid0(VALU_DEP_3) | instskip(SKIP_1) | instid1(VALU_DEP_4)
	v_lshrrev_b32_e32 v83, v66, v12
	v_lshlrev_b32_e64 v86, v66, 0x80000
	v_add_nc_u32_e32 v66, v66, v11
	s_delay_alu instid0(VALU_DEP_4) | instskip(NEXT) | instid1(VALU_DEP_4)
	v_and_b32_e32 v12, v82, v12
	v_bfe_u32 v84, v83, 20, 1
	s_delay_alu instid0(VALU_DEP_2) | instskip(NEXT) | instid1(VALU_DEP_2)
	v_cmp_eq_u32_e64 s10, v12, v86
	v_add_nc_u32_e32 v82, -1, v84
	s_delay_alu instid0(VALU_DEP_1) | instskip(SKIP_2) | instid1(VALU_DEP_2)
	v_cndmask_b32_e64 v12, 0, v82, s10
	v_lshrrev_b32_e32 v82, 23, v83
	s_mov_b32 s10, exec_lo
	v_add_nc_u32_e32 v12, v12, v83
	s_delay_alu instid0(VALU_DEP_2) | instskip(NEXT) | instid1(VALU_DEP_2)
	v_xor_b32_e32 v82, 1, v82
	v_and_b32_e32 v11, 0xfffff, v12
	s_delay_alu instid0(VALU_DEP_1) | instskip(NEXT) | instid1(VALU_DEP_3)
	v_add_nc_u32_e32 v12, v11, v83
                                        ; implicit-def: $vgpr11
	v_cmpx_ne_u32_e64 v66, v82
	s_xor_b32 s10, exec_lo, s10
; %bb.10008:                            ;   in Loop: Header=BB6_9656 Depth=2
	s_delay_alu instid0(VALU_DEP_2) | instskip(SKIP_2) | instid1(VALU_DEP_2)
	v_cmp_lt_u32_e32 vcc_lo, 0xffffff, v12
	v_sub_nc_u32_e32 v11, v66, v82
	v_cndmask_b32_e64 v66, 0, 1, vcc_lo
	v_add_co_ci_u32_e32 v11, vcc_lo, 0, v11, vcc_lo
	s_delay_alu instid0(VALU_DEP_2)
	v_lshrrev_b32_e32 v12, v66, v12
; %bb.10009:                            ;   in Loop: Header=BB6_9656 Depth=2
	s_and_not1_saveexec_b32 s10, s10
; %bb.10010:                            ;   in Loop: Header=BB6_9656 Depth=2
	s_delay_alu instid0(VALU_DEP_1)
	v_bfe_u32 v11, v12, 23, 1
; %bb.10011:                            ;   in Loop: Header=BB6_9656 Depth=2
	s_or_b32 exec_lo, exec_lo, s10
	v_lshrrev_b32_e32 v12, 20, v12
	s_delay_alu instid0(VALU_DEP_2) | instskip(SKIP_2) | instid1(VALU_DEP_3)
	v_min_i32_e32 v66, 15, v11
	v_cmp_gt_i32_e32 vcc_lo, 16, v11
	v_lshrrev_b32_e32 v10, 24, v10
	v_lshlrev_b32_e32 v66, 3, v66
	v_cndmask_b32_e32 v12, 7, v12, vcc_lo
	s_delay_alu instid0(VALU_DEP_3) | instskip(NEXT) | instid1(VALU_DEP_3)
	v_and_b32_e32 v10, 0x80, v10
	v_and_b32_e32 v66, 0xf8, v66
	s_delay_alu instid0(VALU_DEP_3) | instskip(SKIP_1) | instid1(VALU_DEP_2)
	v_and_b32_e32 v82, 7, v12
	v_or_b32_e32 v11, v11, v12
	v_or3_b32 v10, v66, v10, v82
	s_delay_alu instid0(VALU_DEP_2) | instskip(NEXT) | instid1(VALU_DEP_2)
	v_cmp_ne_u32_e32 vcc_lo, 0, v11
	v_cndmask_b32_e32 v10, 0, v10, vcc_lo
	scratch_store_b32 off, v10, s33 offset:368 ; 4-byte Folded Spill
.LBB6_10012:                            ;   in Loop: Header=BB6_9656 Depth=2
	s_or_b32 exec_lo, exec_lo, s24
.LBB6_10013:                            ;   in Loop: Header=BB6_9656 Depth=2
	s_delay_alu instid0(SALU_CYCLE_1) | instskip(SKIP_3) | instid1(VALU_DEP_1)
	s_or_b32 exec_lo, exec_lo, s23
	v_lshrrev_b16 v10, 8, v13
	s_mov_b32 s10, 0
	s_mov_b32 s24, exec_lo
                                        ; implicit-def: $sgpr23
	v_cmpx_lt_i16_e32 0x7f, v10
	s_xor_b32 s24, exec_lo, s24
	s_cbranch_execnz .LBB6_11315
; %bb.10014:                            ;   in Loop: Header=BB6_9656 Depth=2
	s_or_saveexec_b32 s24, s24
	v_mov_b32_e32 v11, s23
	s_xor_b32 exec_lo, exec_lo, s24
	s_cbranch_execnz .LBB6_11318
.LBB6_10015:                            ;   in Loop: Header=BB6_9656 Depth=2
	s_or_b32 exec_lo, exec_lo, s24
	s_and_saveexec_b32 s23, s10
	s_cbranch_execz .LBB6_10017
.LBB6_10016:                            ;   in Loop: Header=BB6_9656 Depth=2
	v_and_b32_e32 v11, 0xffff, v10
	v_lshlrev_b32_e32 v10, 24, v10
	s_delay_alu instid0(VALU_DEP_2) | instskip(NEXT) | instid1(VALU_DEP_2)
	v_and_b32_e32 v12, 7, v11
	v_and_b32_e32 v10, 0x80000000, v10
	s_delay_alu instid0(VALU_DEP_2) | instskip(NEXT) | instid1(VALU_DEP_1)
	v_clz_i32_u32_e32 v66, v12
	v_min_u32_e32 v66, 32, v66
	s_delay_alu instid0(VALU_DEP_1) | instskip(SKIP_1) | instid1(VALU_DEP_2)
	v_subrev_nc_u32_e32 v82, 28, v66
	v_sub_nc_u32_e32 v66, 29, v66
	v_lshlrev_b32_e32 v82, v82, v11
	v_bfe_u32 v11, v11, 3, 4
	s_delay_alu instid0(VALU_DEP_2) | instskip(NEXT) | instid1(VALU_DEP_2)
	v_and_b32_e32 v82, 7, v82
	v_cmp_eq_u32_e32 vcc_lo, 0, v11
	v_cndmask_b32_e32 v11, v11, v66, vcc_lo
	s_delay_alu instid0(VALU_DEP_3) | instskip(NEXT) | instid1(VALU_DEP_2)
	v_cndmask_b32_e32 v12, v12, v82, vcc_lo
	v_lshl_add_u32 v11, v11, 23, 0x3b800000
	s_delay_alu instid0(VALU_DEP_2) | instskip(NEXT) | instid1(VALU_DEP_1)
	v_lshlrev_b32_e32 v12, 20, v12
	v_or3_b32 v11, v10, v11, v12
.LBB6_10017:                            ;   in Loop: Header=BB6_9656 Depth=2
	s_or_b32 exec_lo, exec_lo, s23
	s_delay_alu instid0(VALU_DEP_1) | instskip(NEXT) | instid1(VALU_DEP_1)
	v_mul_f32_e32 v10, s22, v11
	v_and_b32_e32 v11, 0x7f800000, v10
	s_delay_alu instid0(VALU_DEP_1)
	v_cmp_ne_u32_e32 vcc_lo, 0x7f800000, v11
	v_mov_b32_e32 v11, 0x8000
	s_and_saveexec_b32 s23, vcc_lo
	s_cbranch_execz .LBB6_10025
; %bb.10018:                            ;   in Loop: Header=BB6_9656 Depth=2
	v_mov_b32_e32 v11, 0
	s_mov_b32 s24, exec_lo
	v_cmpx_ne_u32_e32 0, v10
	s_cbranch_execz .LBB6_10024
; %bb.10019:                            ;   in Loop: Header=BB6_9656 Depth=2
	v_bfe_u32 v11, v10, 23, 8
	v_and_b32_e32 v12, 0x7fffff, v10
	s_delay_alu instid0(VALU_DEP_2) | instskip(SKIP_1) | instid1(VALU_DEP_3)
	v_sub_nc_u32_e32 v66, 0x78, v11
	v_cmp_gt_u32_e32 vcc_lo, 0x79, v11
	v_or_b32_e32 v82, 0x800000, v12
	s_delay_alu instid0(VALU_DEP_3) | instskip(SKIP_2) | instid1(VALU_DEP_3)
	v_cndmask_b32_e32 v66, 0, v66, vcc_lo
	v_cmp_eq_u32_e32 vcc_lo, 0, v11
	v_add_nc_u32_e32 v11, 0xffffff89, v11
	v_cndmask_b32_e64 v66, v66, 0x77, vcc_lo
	v_cndmask_b32_e32 v12, v82, v12, vcc_lo
	s_delay_alu instid0(VALU_DEP_3) | instskip(NEXT) | instid1(VALU_DEP_3)
	v_cndmask_b32_e64 v11, v11, 0xffffff8a, vcc_lo
	v_lshl_add_u32 v82, 0x100000, v66, -1
	s_delay_alu instid0(VALU_DEP_3) | instskip(SKIP_1) | instid1(VALU_DEP_4)
	v_lshrrev_b32_e32 v83, v66, v12
	v_lshlrev_b32_e64 v86, v66, 0x80000
	v_add_nc_u32_e32 v66, v66, v11
	s_delay_alu instid0(VALU_DEP_4) | instskip(NEXT) | instid1(VALU_DEP_4)
	v_and_b32_e32 v12, v82, v12
	v_bfe_u32 v84, v83, 20, 1
	s_delay_alu instid0(VALU_DEP_2) | instskip(NEXT) | instid1(VALU_DEP_2)
	v_cmp_eq_u32_e64 s10, v12, v86
	v_add_nc_u32_e32 v82, -1, v84
	s_delay_alu instid0(VALU_DEP_1) | instskip(SKIP_2) | instid1(VALU_DEP_2)
	v_cndmask_b32_e64 v12, 0, v82, s10
	v_lshrrev_b32_e32 v82, 23, v83
	s_mov_b32 s10, exec_lo
	v_add_nc_u32_e32 v12, v12, v83
	s_delay_alu instid0(VALU_DEP_2) | instskip(NEXT) | instid1(VALU_DEP_2)
	v_xor_b32_e32 v82, 1, v82
	v_and_b32_e32 v11, 0xfffff, v12
	s_delay_alu instid0(VALU_DEP_1) | instskip(NEXT) | instid1(VALU_DEP_3)
	v_add_nc_u32_e32 v12, v11, v83
                                        ; implicit-def: $vgpr11
	v_cmpx_ne_u32_e64 v66, v82
	s_xor_b32 s10, exec_lo, s10
; %bb.10020:                            ;   in Loop: Header=BB6_9656 Depth=2
	s_delay_alu instid0(VALU_DEP_2) | instskip(SKIP_2) | instid1(VALU_DEP_2)
	v_cmp_lt_u32_e32 vcc_lo, 0xffffff, v12
	v_sub_nc_u32_e32 v11, v66, v82
	v_cndmask_b32_e64 v66, 0, 1, vcc_lo
	v_add_co_ci_u32_e32 v11, vcc_lo, 0, v11, vcc_lo
	s_delay_alu instid0(VALU_DEP_2)
	v_lshrrev_b32_e32 v12, v66, v12
; %bb.10021:                            ;   in Loop: Header=BB6_9656 Depth=2
	s_and_not1_saveexec_b32 s10, s10
; %bb.10022:                            ;   in Loop: Header=BB6_9656 Depth=2
	s_delay_alu instid0(VALU_DEP_1)
	v_bfe_u32 v11, v12, 23, 1
; %bb.10023:                            ;   in Loop: Header=BB6_9656 Depth=2
	s_or_b32 exec_lo, exec_lo, s10
	v_lshrrev_b32_e32 v12, 20, v12
	s_delay_alu instid0(VALU_DEP_2) | instskip(SKIP_2) | instid1(VALU_DEP_3)
	v_min_i32_e32 v66, 15, v11
	v_cmp_gt_i32_e32 vcc_lo, 16, v11
	v_lshrrev_b32_e32 v10, 24, v10
	v_lshlrev_b32_e32 v66, 3, v66
	v_cndmask_b32_e32 v12, 7, v12, vcc_lo
	s_delay_alu instid0(VALU_DEP_3) | instskip(NEXT) | instid1(VALU_DEP_3)
	v_and_b32_e32 v10, 0x80, v10
	v_and_b32_e32 v66, 0xf8, v66
	s_delay_alu instid0(VALU_DEP_3) | instskip(SKIP_1) | instid1(VALU_DEP_2)
	v_and_b32_e32 v82, 7, v12
	v_or_b32_e32 v11, v11, v12
	v_or3_b32 v10, v10, v66, v82
	s_delay_alu instid0(VALU_DEP_2) | instskip(NEXT) | instid1(VALU_DEP_2)
	v_cmp_ne_u32_e32 vcc_lo, 0, v11
	v_lshlrev_b32_e32 v10, 8, v10
	s_delay_alu instid0(VALU_DEP_1)
	v_cndmask_b32_e32 v11, 0, v10, vcc_lo
.LBB6_10024:                            ;   in Loop: Header=BB6_9656 Depth=2
	s_or_b32 exec_lo, exec_lo, s24
.LBB6_10025:                            ;   in Loop: Header=BB6_9656 Depth=2
	s_delay_alu instid0(SALU_CYCLE_1)
	s_or_b32 exec_lo, exec_lo, s23
	v_lshrrev_b32_e32 v10, 16, v13
	s_mov_b32 s10, 0
	s_mov_b32 s24, exec_lo
	scratch_store_b32 off, v11, s33 offset:436 ; 4-byte Folded Spill
                                        ; implicit-def: $sgpr23
	v_and_b32_e32 v12, 0xff, v10
	s_delay_alu instid0(VALU_DEP_1)
	v_cmpx_lt_i16_e32 0x7f, v12
	s_xor_b32 s24, exec_lo, s24
	s_cbranch_execnz .LBB6_11319
; %bb.10026:                            ;   in Loop: Header=BB6_9656 Depth=2
	s_or_saveexec_b32 s24, s24
	v_mov_b32_e32 v11, s23
	s_xor_b32 exec_lo, exec_lo, s24
	s_cbranch_execnz .LBB6_11322
.LBB6_10027:                            ;   in Loop: Header=BB6_9656 Depth=2
	s_or_b32 exec_lo, exec_lo, s24
	s_and_saveexec_b32 s23, s10
	s_cbranch_execz .LBB6_10029
.LBB6_10028:                            ;   in Loop: Header=BB6_9656 Depth=2
	v_bfe_u32 v11, v13, 16, 3
	v_lshlrev_b32_e32 v82, 8, v13
	s_delay_alu instid0(VALU_DEP_2) | instskip(NEXT) | instid1(VALU_DEP_1)
	v_clz_i32_u32_e32 v12, v11
	v_min_u32_e32 v12, 32, v12
	s_delay_alu instid0(VALU_DEP_1) | instskip(SKIP_1) | instid1(VALU_DEP_2)
	v_subrev_nc_u32_e32 v66, 28, v12
	v_sub_nc_u32_e32 v12, 29, v12
	v_lshlrev_b32_e32 v10, v66, v10
	v_bfe_u32 v66, v13, 19, 4
	s_delay_alu instid0(VALU_DEP_2) | instskip(NEXT) | instid1(VALU_DEP_2)
	v_and_b32_e32 v10, 7, v10
	v_cmp_eq_u32_e32 vcc_lo, 0, v66
	v_cndmask_b32_e32 v12, v66, v12, vcc_lo
	s_delay_alu instid0(VALU_DEP_3) | instskip(SKIP_1) | instid1(VALU_DEP_3)
	v_cndmask_b32_e32 v10, v11, v10, vcc_lo
	v_and_b32_e32 v11, 0x80000000, v82
	v_lshl_add_u32 v12, v12, 23, 0x3b800000
	s_delay_alu instid0(VALU_DEP_3) | instskip(NEXT) | instid1(VALU_DEP_1)
	v_lshlrev_b32_e32 v10, 20, v10
	v_or3_b32 v11, v11, v12, v10
.LBB6_10029:                            ;   in Loop: Header=BB6_9656 Depth=2
	s_or_b32 exec_lo, exec_lo, s23
	s_delay_alu instid0(VALU_DEP_1) | instskip(SKIP_1) | instid1(VALU_DEP_1)
	v_dual_mul_f32 v10, s22, v11 :: v_dual_mov_b32 v149, 0x80
	s_mov_b32 s23, exec_lo
	v_and_b32_e32 v11, 0x7f800000, v10
	s_delay_alu instid0(VALU_DEP_1)
	v_cmpx_ne_u32_e32 0x7f800000, v11
	s_cbranch_execz .LBB6_10037
; %bb.10030:                            ;   in Loop: Header=BB6_9656 Depth=2
	v_mov_b32_e32 v149, 0
	s_mov_b32 s24, exec_lo
	v_cmpx_ne_u32_e32 0, v10
	s_cbranch_execz .LBB6_10036
; %bb.10031:                            ;   in Loop: Header=BB6_9656 Depth=2
	v_bfe_u32 v11, v10, 23, 8
	v_and_b32_e32 v12, 0x7fffff, v10
	s_delay_alu instid0(VALU_DEP_2) | instskip(SKIP_1) | instid1(VALU_DEP_3)
	v_sub_nc_u32_e32 v66, 0x78, v11
	v_cmp_gt_u32_e32 vcc_lo, 0x79, v11
	v_or_b32_e32 v82, 0x800000, v12
	s_delay_alu instid0(VALU_DEP_3) | instskip(SKIP_2) | instid1(VALU_DEP_3)
	v_cndmask_b32_e32 v66, 0, v66, vcc_lo
	v_cmp_eq_u32_e32 vcc_lo, 0, v11
	v_add_nc_u32_e32 v11, 0xffffff89, v11
	v_cndmask_b32_e64 v66, v66, 0x77, vcc_lo
	v_cndmask_b32_e32 v12, v82, v12, vcc_lo
	s_delay_alu instid0(VALU_DEP_3) | instskip(NEXT) | instid1(VALU_DEP_3)
	v_cndmask_b32_e64 v11, v11, 0xffffff8a, vcc_lo
	v_lshl_add_u32 v82, 0x100000, v66, -1
	s_delay_alu instid0(VALU_DEP_3) | instskip(SKIP_1) | instid1(VALU_DEP_4)
	v_lshrrev_b32_e32 v83, v66, v12
	v_lshlrev_b32_e64 v86, v66, 0x80000
	v_add_nc_u32_e32 v66, v66, v11
	s_delay_alu instid0(VALU_DEP_4) | instskip(NEXT) | instid1(VALU_DEP_4)
	v_and_b32_e32 v12, v82, v12
	v_bfe_u32 v84, v83, 20, 1
	s_delay_alu instid0(VALU_DEP_2) | instskip(NEXT) | instid1(VALU_DEP_2)
	v_cmp_eq_u32_e64 s10, v12, v86
	v_add_nc_u32_e32 v82, -1, v84
	s_delay_alu instid0(VALU_DEP_1) | instskip(SKIP_2) | instid1(VALU_DEP_2)
	v_cndmask_b32_e64 v12, 0, v82, s10
	v_lshrrev_b32_e32 v82, 23, v83
	s_mov_b32 s10, exec_lo
	v_add_nc_u32_e32 v12, v12, v83
	s_delay_alu instid0(VALU_DEP_2) | instskip(NEXT) | instid1(VALU_DEP_2)
	v_xor_b32_e32 v82, 1, v82
	v_and_b32_e32 v11, 0xfffff, v12
	s_delay_alu instid0(VALU_DEP_1) | instskip(NEXT) | instid1(VALU_DEP_3)
	v_add_nc_u32_e32 v12, v11, v83
                                        ; implicit-def: $vgpr11
	v_cmpx_ne_u32_e64 v66, v82
	s_xor_b32 s10, exec_lo, s10
; %bb.10032:                            ;   in Loop: Header=BB6_9656 Depth=2
	s_delay_alu instid0(VALU_DEP_2) | instskip(SKIP_2) | instid1(VALU_DEP_2)
	v_cmp_lt_u32_e32 vcc_lo, 0xffffff, v12
	v_sub_nc_u32_e32 v11, v66, v82
	v_cndmask_b32_e64 v66, 0, 1, vcc_lo
	v_add_co_ci_u32_e32 v11, vcc_lo, 0, v11, vcc_lo
	s_delay_alu instid0(VALU_DEP_2)
	v_lshrrev_b32_e32 v12, v66, v12
; %bb.10033:                            ;   in Loop: Header=BB6_9656 Depth=2
	s_and_not1_saveexec_b32 s10, s10
; %bb.10034:                            ;   in Loop: Header=BB6_9656 Depth=2
	s_delay_alu instid0(VALU_DEP_1)
	v_bfe_u32 v11, v12, 23, 1
; %bb.10035:                            ;   in Loop: Header=BB6_9656 Depth=2
	s_or_b32 exec_lo, exec_lo, s10
	v_lshrrev_b32_e32 v12, 20, v12
	s_delay_alu instid0(VALU_DEP_2) | instskip(SKIP_2) | instid1(VALU_DEP_3)
	v_min_i32_e32 v66, 15, v11
	v_cmp_gt_i32_e32 vcc_lo, 16, v11
	v_lshrrev_b32_e32 v10, 24, v10
	v_lshlrev_b32_e32 v66, 3, v66
	v_cndmask_b32_e32 v12, 7, v12, vcc_lo
	s_delay_alu instid0(VALU_DEP_3) | instskip(NEXT) | instid1(VALU_DEP_3)
	v_and_b32_e32 v10, 0x80, v10
	v_and_b32_e32 v66, 0xf8, v66
	s_delay_alu instid0(VALU_DEP_3) | instskip(SKIP_1) | instid1(VALU_DEP_2)
	v_and_b32_e32 v82, 7, v12
	v_or_b32_e32 v11, v11, v12
	v_or3_b32 v10, v66, v10, v82
	s_delay_alu instid0(VALU_DEP_2) | instskip(NEXT) | instid1(VALU_DEP_2)
	v_cmp_ne_u32_e32 vcc_lo, 0, v11
	v_cndmask_b32_e32 v149, 0, v10, vcc_lo
.LBB6_10036:                            ;   in Loop: Header=BB6_9656 Depth=2
	s_or_b32 exec_lo, exec_lo, s24
.LBB6_10037:                            ;   in Loop: Header=BB6_9656 Depth=2
	s_delay_alu instid0(SALU_CYCLE_1) | instskip(SKIP_3) | instid1(VALU_DEP_1)
	s_or_b32 exec_lo, exec_lo, s23
	v_lshrrev_b32_e32 v10, 24, v13
	s_mov_b32 s10, 0
	s_mov_b32 s24, exec_lo
                                        ; implicit-def: $sgpr23
	v_cmpx_lt_i16_e32 0x7f, v10
	s_xor_b32 s24, exec_lo, s24
	s_cbranch_execnz .LBB6_11323
; %bb.10038:                            ;   in Loop: Header=BB6_9656 Depth=2
	s_or_saveexec_b32 s24, s24
	v_mov_b32_e32 v11, s23
	s_xor_b32 exec_lo, exec_lo, s24
	s_cbranch_execnz .LBB6_11326
.LBB6_10039:                            ;   in Loop: Header=BB6_9656 Depth=2
	s_or_b32 exec_lo, exec_lo, s24
	s_and_saveexec_b32 s23, s10
	s_cbranch_execz .LBB6_10041
.LBB6_10040:                            ;   in Loop: Header=BB6_9656 Depth=2
	v_bfe_u32 v11, v13, 24, 3
	s_delay_alu instid0(VALU_DEP_1) | instskip(NEXT) | instid1(VALU_DEP_1)
	v_clz_i32_u32_e32 v12, v11
	v_min_u32_e32 v12, 32, v12
	s_delay_alu instid0(VALU_DEP_1) | instskip(SKIP_1) | instid1(VALU_DEP_2)
	v_subrev_nc_u32_e32 v66, 28, v12
	v_sub_nc_u32_e32 v12, 29, v12
	v_lshlrev_b32_e32 v10, v66, v10
	v_bfe_u32 v66, v13, 27, 4
	s_delay_alu instid0(VALU_DEP_2) | instskip(NEXT) | instid1(VALU_DEP_2)
	v_and_b32_e32 v10, 7, v10
	v_cmp_eq_u32_e32 vcc_lo, 0, v66
	v_cndmask_b32_e32 v12, v66, v12, vcc_lo
	s_delay_alu instid0(VALU_DEP_3) | instskip(NEXT) | instid1(VALU_DEP_2)
	v_dual_cndmask_b32 v10, v11, v10 :: v_dual_and_b32 v11, 0x80000000, v13
	v_lshl_add_u32 v12, v12, 23, 0x3b800000
	s_delay_alu instid0(VALU_DEP_2) | instskip(NEXT) | instid1(VALU_DEP_1)
	v_lshlrev_b32_e32 v10, 20, v10
	v_or3_b32 v11, v11, v12, v10
.LBB6_10041:                            ;   in Loop: Header=BB6_9656 Depth=2
	s_or_b32 exec_lo, exec_lo, s23
	s_delay_alu instid0(VALU_DEP_1) | instskip(SKIP_2) | instid1(VALU_DEP_2)
	v_mul_f32_e32 v10, s22, v11
	v_mov_b32_e32 v150, 0x8000
	s_mov_b32 s23, exec_lo
	v_and_b32_e32 v11, 0x7f800000, v10
	s_delay_alu instid0(VALU_DEP_1)
	v_cmpx_ne_u32_e32 0x7f800000, v11
	s_cbranch_execz .LBB6_10049
; %bb.10042:                            ;   in Loop: Header=BB6_9656 Depth=2
	v_mov_b32_e32 v150, 0
	s_mov_b32 s24, exec_lo
	v_cmpx_ne_u32_e32 0, v10
	s_cbranch_execz .LBB6_10048
; %bb.10043:                            ;   in Loop: Header=BB6_9656 Depth=2
	v_bfe_u32 v11, v10, 23, 8
	s_delay_alu instid0(VALU_DEP_1) | instskip(SKIP_1) | instid1(VALU_DEP_2)
	v_sub_nc_u32_e32 v13, 0x78, v11
	v_cmp_gt_u32_e32 vcc_lo, 0x79, v11
	v_dual_cndmask_b32 v13, 0, v13 :: v_dual_and_b32 v12, 0x7fffff, v10
	s_delay_alu instid0(VALU_DEP_1) | instskip(SKIP_2) | instid1(VALU_DEP_4)
	v_or_b32_e32 v66, 0x800000, v12
	v_cmp_eq_u32_e32 vcc_lo, 0, v11
	v_add_nc_u32_e32 v11, 0xffffff89, v11
	v_cndmask_b32_e64 v13, v13, 0x77, vcc_lo
	s_delay_alu instid0(VALU_DEP_4) | instskip(NEXT) | instid1(VALU_DEP_3)
	v_cndmask_b32_e32 v12, v66, v12, vcc_lo
	v_cndmask_b32_e64 v11, v11, 0xffffff8a, vcc_lo
	s_delay_alu instid0(VALU_DEP_3) | instskip(NEXT) | instid1(VALU_DEP_3)
	v_lshl_add_u32 v66, 0x100000, v13, -1
	v_lshrrev_b32_e32 v82, v13, v12
	v_lshlrev_b32_e64 v84, v13, 0x80000
	s_delay_alu instid0(VALU_DEP_4) | instskip(NEXT) | instid1(VALU_DEP_4)
	v_add_nc_u32_e32 v13, v13, v11
	v_and_b32_e32 v12, v66, v12
	s_delay_alu instid0(VALU_DEP_4) | instskip(NEXT) | instid1(VALU_DEP_2)
	v_bfe_u32 v83, v82, 20, 1
	v_cmp_eq_u32_e64 s10, v12, v84
	s_delay_alu instid0(VALU_DEP_2) | instskip(NEXT) | instid1(VALU_DEP_1)
	v_add_nc_u32_e32 v66, -1, v83
	v_cndmask_b32_e64 v12, 0, v66, s10
	v_lshrrev_b32_e32 v66, 23, v82
	s_mov_b32 s10, exec_lo
	s_delay_alu instid0(VALU_DEP_2) | instskip(NEXT) | instid1(VALU_DEP_2)
	v_add_nc_u32_e32 v12, v12, v82
	v_xor_b32_e32 v66, 1, v66
	s_delay_alu instid0(VALU_DEP_2) | instskip(NEXT) | instid1(VALU_DEP_1)
	v_and_b32_e32 v11, 0xfffff, v12
	v_add_nc_u32_e32 v12, v11, v82
                                        ; implicit-def: $vgpr11
	s_delay_alu instid0(VALU_DEP_3)
	v_cmpx_ne_u32_e64 v13, v66
	s_xor_b32 s10, exec_lo, s10
; %bb.10044:                            ;   in Loop: Header=BB6_9656 Depth=2
	s_delay_alu instid0(VALU_DEP_2) | instskip(SKIP_2) | instid1(VALU_DEP_2)
	v_cmp_lt_u32_e32 vcc_lo, 0xffffff, v12
	v_sub_nc_u32_e32 v11, v13, v66
	v_cndmask_b32_e64 v13, 0, 1, vcc_lo
	v_add_co_ci_u32_e32 v11, vcc_lo, 0, v11, vcc_lo
	s_delay_alu instid0(VALU_DEP_2)
	v_lshrrev_b32_e32 v12, v13, v12
; %bb.10045:                            ;   in Loop: Header=BB6_9656 Depth=2
	s_and_not1_saveexec_b32 s10, s10
; %bb.10046:                            ;   in Loop: Header=BB6_9656 Depth=2
	s_delay_alu instid0(VALU_DEP_1)
	v_bfe_u32 v11, v12, 23, 1
; %bb.10047:                            ;   in Loop: Header=BB6_9656 Depth=2
	s_or_b32 exec_lo, exec_lo, s10
	v_lshrrev_b32_e32 v12, 20, v12
	s_delay_alu instid0(VALU_DEP_2) | instskip(SKIP_2) | instid1(VALU_DEP_2)
	v_cmp_gt_i32_e32 vcc_lo, 16, v11
	v_min_i32_e32 v13, 15, v11
	v_lshrrev_b32_e32 v10, 24, v10
	v_dual_cndmask_b32 v12, 7, v12 :: v_dual_lshlrev_b32 v13, 3, v13
	s_delay_alu instid0(VALU_DEP_2) | instskip(NEXT) | instid1(VALU_DEP_2)
	v_and_b32_e32 v10, 0x80, v10
	v_or_b32_e32 v11, v11, v12
	v_and_b32_e32 v66, 7, v12
	s_delay_alu instid0(VALU_DEP_2) | instskip(SKIP_1) | instid1(VALU_DEP_1)
	v_cmp_ne_u32_e32 vcc_lo, 0, v11
	v_and_b32_e32 v13, 0xf8, v13
	v_or3_b32 v10, v10, v13, v66
	s_delay_alu instid0(VALU_DEP_1) | instskip(NEXT) | instid1(VALU_DEP_1)
	v_lshlrev_b32_e32 v10, 8, v10
	v_cndmask_b32_e32 v150, 0, v10, vcc_lo
.LBB6_10048:                            ;   in Loop: Header=BB6_9656 Depth=2
	s_or_b32 exec_lo, exec_lo, s24
.LBB6_10049:                            ;   in Loop: Header=BB6_9656 Depth=2
	s_delay_alu instid0(SALU_CYCLE_1)
	s_or_b32 exec_lo, exec_lo, s23
	global_load_b128 v[10:13], v[23:24], off offset:1024 slc dlc
	s_mov_b32 s10, 0
	s_mov_b32 s24, exec_lo
                                        ; implicit-def: $sgpr23
	s_waitcnt vmcnt(0)
	v_and_b32_e32 v82, 0xff, v10
	s_delay_alu instid0(VALU_DEP_1)
	v_cmpx_lt_i16_e32 0x7f, v82
	s_xor_b32 s24, exec_lo, s24
	s_cbranch_execnz .LBB6_11327
; %bb.10050:                            ;   in Loop: Header=BB6_9656 Depth=2
	s_or_saveexec_b32 s24, s24
	v_mov_b32_e32 v66, s23
	s_xor_b32 exec_lo, exec_lo, s24
	s_cbranch_execnz .LBB6_11330
.LBB6_10051:                            ;   in Loop: Header=BB6_9656 Depth=2
	s_or_b32 exec_lo, exec_lo, s24
	s_and_saveexec_b32 s23, s10
	s_cbranch_execz .LBB6_10053
.LBB6_10052:                            ;   in Loop: Header=BB6_9656 Depth=2
	v_and_b32_e32 v66, 7, v10
	v_bfe_u32 v84, v10, 3, 4
	v_lshlrev_b32_e32 v86, 24, v10
	s_delay_alu instid0(VALU_DEP_3) | instskip(NEXT) | instid1(VALU_DEP_3)
	v_clz_i32_u32_e32 v82, v66
	v_cmp_eq_u32_e32 vcc_lo, 0, v84
	s_delay_alu instid0(VALU_DEP_2) | instskip(NEXT) | instid1(VALU_DEP_1)
	v_min_u32_e32 v82, 32, v82
	v_subrev_nc_u32_e32 v83, 28, v82
	v_sub_nc_u32_e32 v82, 29, v82
	s_delay_alu instid0(VALU_DEP_2) | instskip(NEXT) | instid1(VALU_DEP_1)
	v_lshlrev_b32_e32 v83, v83, v10
	v_dual_cndmask_b32 v82, v84, v82 :: v_dual_and_b32 v83, 7, v83
	s_delay_alu instid0(VALU_DEP_1) | instskip(NEXT) | instid1(VALU_DEP_2)
	v_lshl_add_u32 v82, v82, 23, 0x3b800000
	v_dual_cndmask_b32 v66, v66, v83 :: v_dual_and_b32 v83, 0x80000000, v86
	s_delay_alu instid0(VALU_DEP_1) | instskip(NEXT) | instid1(VALU_DEP_1)
	v_lshlrev_b32_e32 v66, 20, v66
	v_or3_b32 v66, v83, v82, v66
.LBB6_10053:                            ;   in Loop: Header=BB6_9656 Depth=2
	s_or_b32 exec_lo, exec_lo, s23
	s_delay_alu instid0(VALU_DEP_1) | instskip(SKIP_1) | instid1(VALU_DEP_1)
	v_dual_mul_f32 v66, s22, v66 :: v_dual_mov_b32 v151, 0x80
	s_mov_b32 s23, exec_lo
	v_and_b32_e32 v82, 0x7f800000, v66
	s_delay_alu instid0(VALU_DEP_1)
	v_cmpx_ne_u32_e32 0x7f800000, v82
	s_cbranch_execz .LBB6_10061
; %bb.10054:                            ;   in Loop: Header=BB6_9656 Depth=2
	v_mov_b32_e32 v151, 0
	s_mov_b32 s24, exec_lo
	v_cmpx_ne_u32_e32 0, v66
	s_cbranch_execz .LBB6_10060
; %bb.10055:                            ;   in Loop: Header=BB6_9656 Depth=2
	v_bfe_u32 v82, v66, 23, 8
	s_delay_alu instid0(VALU_DEP_1) | instskip(SKIP_1) | instid1(VALU_DEP_2)
	v_sub_nc_u32_e32 v84, 0x78, v82
	v_cmp_gt_u32_e32 vcc_lo, 0x79, v82
	v_dual_cndmask_b32 v84, 0, v84 :: v_dual_and_b32 v83, 0x7fffff, v66
	s_delay_alu instid0(VALU_DEP_1) | instskip(SKIP_2) | instid1(VALU_DEP_4)
	v_or_b32_e32 v86, 0x800000, v83
	v_cmp_eq_u32_e32 vcc_lo, 0, v82
	v_add_nc_u32_e32 v82, 0xffffff89, v82
	v_cndmask_b32_e64 v84, v84, 0x77, vcc_lo
	s_delay_alu instid0(VALU_DEP_4) | instskip(NEXT) | instid1(VALU_DEP_3)
	v_cndmask_b32_e32 v83, v86, v83, vcc_lo
	v_cndmask_b32_e64 v82, v82, 0xffffff8a, vcc_lo
	s_delay_alu instid0(VALU_DEP_3) | instskip(NEXT) | instid1(VALU_DEP_3)
	v_lshl_add_u32 v86, 0x100000, v84, -1
	v_lshrrev_b32_e32 v87, v84, v83
	v_lshlrev_b32_e64 v97, v84, 0x80000
	s_delay_alu instid0(VALU_DEP_4) | instskip(NEXT) | instid1(VALU_DEP_4)
	v_add_nc_u32_e32 v84, v84, v82
	v_and_b32_e32 v83, v86, v83
	s_delay_alu instid0(VALU_DEP_4) | instskip(NEXT) | instid1(VALU_DEP_2)
	v_bfe_u32 v96, v87, 20, 1
	v_cmp_eq_u32_e64 s10, v83, v97
	s_delay_alu instid0(VALU_DEP_2) | instskip(NEXT) | instid1(VALU_DEP_1)
	v_add_nc_u32_e32 v86, -1, v96
	v_cndmask_b32_e64 v83, 0, v86, s10
	v_lshrrev_b32_e32 v86, 23, v87
	s_mov_b32 s10, exec_lo
	s_delay_alu instid0(VALU_DEP_2) | instskip(NEXT) | instid1(VALU_DEP_2)
	v_add_nc_u32_e32 v83, v83, v87
	v_xor_b32_e32 v86, 1, v86
	s_delay_alu instid0(VALU_DEP_2) | instskip(NEXT) | instid1(VALU_DEP_1)
	v_and_b32_e32 v82, 0xfffff, v83
	v_add_nc_u32_e32 v83, v82, v87
                                        ; implicit-def: $vgpr82
	s_delay_alu instid0(VALU_DEP_3)
	v_cmpx_ne_u32_e64 v84, v86
	s_xor_b32 s10, exec_lo, s10
; %bb.10056:                            ;   in Loop: Header=BB6_9656 Depth=2
	s_delay_alu instid0(VALU_DEP_2) | instskip(SKIP_2) | instid1(VALU_DEP_2)
	v_cmp_lt_u32_e32 vcc_lo, 0xffffff, v83
	v_sub_nc_u32_e32 v82, v84, v86
	v_cndmask_b32_e64 v84, 0, 1, vcc_lo
	v_add_co_ci_u32_e32 v82, vcc_lo, 0, v82, vcc_lo
	s_delay_alu instid0(VALU_DEP_2)
	v_lshrrev_b32_e32 v83, v84, v83
; %bb.10057:                            ;   in Loop: Header=BB6_9656 Depth=2
	s_and_not1_saveexec_b32 s10, s10
; %bb.10058:                            ;   in Loop: Header=BB6_9656 Depth=2
	s_delay_alu instid0(VALU_DEP_1)
	v_bfe_u32 v82, v83, 23, 1
; %bb.10059:                            ;   in Loop: Header=BB6_9656 Depth=2
	s_or_b32 exec_lo, exec_lo, s10
	v_lshrrev_b32_e32 v83, 20, v83
	s_delay_alu instid0(VALU_DEP_2) | instskip(SKIP_2) | instid1(VALU_DEP_2)
	v_cmp_gt_i32_e32 vcc_lo, 16, v82
	v_lshrrev_b32_e32 v66, 24, v66
	v_min_i32_e32 v84, 15, v82
	v_dual_cndmask_b32 v83, 7, v83 :: v_dual_and_b32 v66, 0x80, v66
	s_delay_alu instid0(VALU_DEP_2) | instskip(NEXT) | instid1(VALU_DEP_2)
	v_lshlrev_b32_e32 v84, 3, v84
	v_or_b32_e32 v82, v82, v83
	s_delay_alu instid0(VALU_DEP_1) | instskip(SKIP_1) | instid1(VALU_DEP_1)
	v_cmp_ne_u32_e32 vcc_lo, 0, v82
	v_and_b32_e32 v86, 7, v83
	v_or3_b32 v66, v84, v66, v86
	s_delay_alu instid0(VALU_DEP_1)
	v_cndmask_b32_e32 v151, 0, v66, vcc_lo
.LBB6_10060:                            ;   in Loop: Header=BB6_9656 Depth=2
	s_or_b32 exec_lo, exec_lo, s24
.LBB6_10061:                            ;   in Loop: Header=BB6_9656 Depth=2
	s_delay_alu instid0(SALU_CYCLE_1) | instskip(SKIP_3) | instid1(VALU_DEP_1)
	s_or_b32 exec_lo, exec_lo, s23
	v_lshrrev_b16 v66, 8, v10
	s_mov_b32 s10, 0
	s_mov_b32 s24, exec_lo
                                        ; implicit-def: $sgpr23
	v_cmpx_lt_i16_e32 0x7f, v66
	s_xor_b32 s24, exec_lo, s24
	s_cbranch_execnz .LBB6_11331
; %bb.10062:                            ;   in Loop: Header=BB6_9656 Depth=2
	s_or_saveexec_b32 s24, s24
	v_mov_b32_e32 v82, s23
	s_xor_b32 exec_lo, exec_lo, s24
	s_cbranch_execnz .LBB6_11334
.LBB6_10063:                            ;   in Loop: Header=BB6_9656 Depth=2
	s_or_b32 exec_lo, exec_lo, s24
	s_and_saveexec_b32 s23, s10
	s_cbranch_execz .LBB6_10065
.LBB6_10064:                            ;   in Loop: Header=BB6_9656 Depth=2
	v_and_b32_e32 v82, 0xffff, v66
	v_lshlrev_b32_e32 v66, 24, v66
	s_delay_alu instid0(VALU_DEP_2) | instskip(NEXT) | instid1(VALU_DEP_2)
	v_and_b32_e32 v83, 7, v82
	v_and_b32_e32 v66, 0x80000000, v66
	s_delay_alu instid0(VALU_DEP_2) | instskip(NEXT) | instid1(VALU_DEP_1)
	v_clz_i32_u32_e32 v84, v83
	v_min_u32_e32 v84, 32, v84
	s_delay_alu instid0(VALU_DEP_1) | instskip(SKIP_1) | instid1(VALU_DEP_2)
	v_subrev_nc_u32_e32 v86, 28, v84
	v_sub_nc_u32_e32 v84, 29, v84
	v_lshlrev_b32_e32 v86, v86, v82
	v_bfe_u32 v82, v82, 3, 4
	s_delay_alu instid0(VALU_DEP_2) | instskip(NEXT) | instid1(VALU_DEP_2)
	v_and_b32_e32 v86, 7, v86
	v_cmp_eq_u32_e32 vcc_lo, 0, v82
	s_delay_alu instid0(VALU_DEP_2) | instskip(NEXT) | instid1(VALU_DEP_1)
	v_dual_cndmask_b32 v82, v82, v84 :: v_dual_cndmask_b32 v83, v83, v86
	v_lshl_add_u32 v82, v82, 23, 0x3b800000
	s_delay_alu instid0(VALU_DEP_2) | instskip(NEXT) | instid1(VALU_DEP_1)
	v_lshlrev_b32_e32 v83, 20, v83
	v_or3_b32 v82, v66, v82, v83
.LBB6_10065:                            ;   in Loop: Header=BB6_9656 Depth=2
	s_or_b32 exec_lo, exec_lo, s23
	s_delay_alu instid0(VALU_DEP_1) | instskip(SKIP_2) | instid1(VALU_DEP_2)
	v_mul_f32_e32 v66, s22, v82
	v_mov_b32_e32 v160, 0x80
	s_mov_b32 s23, exec_lo
	v_and_b32_e32 v82, 0x7f800000, v66
	s_delay_alu instid0(VALU_DEP_1)
	v_cmpx_ne_u32_e32 0x7f800000, v82
	s_cbranch_execz .LBB6_10073
; %bb.10066:                            ;   in Loop: Header=BB6_9656 Depth=2
	v_mov_b32_e32 v160, 0
	s_mov_b32 s24, exec_lo
	v_cmpx_ne_u32_e32 0, v66
	s_cbranch_execz .LBB6_10072
; %bb.10067:                            ;   in Loop: Header=BB6_9656 Depth=2
	v_bfe_u32 v82, v66, 23, 8
	s_delay_alu instid0(VALU_DEP_1) | instskip(SKIP_1) | instid1(VALU_DEP_2)
	v_sub_nc_u32_e32 v84, 0x78, v82
	v_cmp_gt_u32_e32 vcc_lo, 0x79, v82
	v_dual_cndmask_b32 v84, 0, v84 :: v_dual_and_b32 v83, 0x7fffff, v66
	s_delay_alu instid0(VALU_DEP_1) | instskip(SKIP_2) | instid1(VALU_DEP_4)
	v_or_b32_e32 v86, 0x800000, v83
	v_cmp_eq_u32_e32 vcc_lo, 0, v82
	v_add_nc_u32_e32 v82, 0xffffff89, v82
	v_cndmask_b32_e64 v84, v84, 0x77, vcc_lo
	s_delay_alu instid0(VALU_DEP_4) | instskip(NEXT) | instid1(VALU_DEP_3)
	v_cndmask_b32_e32 v83, v86, v83, vcc_lo
	v_cndmask_b32_e64 v82, v82, 0xffffff8a, vcc_lo
	s_delay_alu instid0(VALU_DEP_3) | instskip(NEXT) | instid1(VALU_DEP_3)
	v_lshl_add_u32 v86, 0x100000, v84, -1
	v_lshrrev_b32_e32 v87, v84, v83
	v_lshlrev_b32_e64 v97, v84, 0x80000
	s_delay_alu instid0(VALU_DEP_4) | instskip(NEXT) | instid1(VALU_DEP_4)
	v_add_nc_u32_e32 v84, v84, v82
	v_and_b32_e32 v83, v86, v83
	s_delay_alu instid0(VALU_DEP_4) | instskip(NEXT) | instid1(VALU_DEP_2)
	v_bfe_u32 v96, v87, 20, 1
	v_cmp_eq_u32_e64 s10, v83, v97
	s_delay_alu instid0(VALU_DEP_2) | instskip(NEXT) | instid1(VALU_DEP_1)
	v_add_nc_u32_e32 v86, -1, v96
	v_cndmask_b32_e64 v83, 0, v86, s10
	v_lshrrev_b32_e32 v86, 23, v87
	s_mov_b32 s10, exec_lo
	s_delay_alu instid0(VALU_DEP_2) | instskip(NEXT) | instid1(VALU_DEP_2)
	v_add_nc_u32_e32 v83, v83, v87
	v_xor_b32_e32 v86, 1, v86
	s_delay_alu instid0(VALU_DEP_2) | instskip(NEXT) | instid1(VALU_DEP_1)
	v_and_b32_e32 v82, 0xfffff, v83
	v_add_nc_u32_e32 v83, v82, v87
                                        ; implicit-def: $vgpr82
	s_delay_alu instid0(VALU_DEP_3)
	v_cmpx_ne_u32_e64 v84, v86
	s_xor_b32 s10, exec_lo, s10
; %bb.10068:                            ;   in Loop: Header=BB6_9656 Depth=2
	s_delay_alu instid0(VALU_DEP_2) | instskip(SKIP_2) | instid1(VALU_DEP_2)
	v_cmp_lt_u32_e32 vcc_lo, 0xffffff, v83
	v_sub_nc_u32_e32 v82, v84, v86
	v_cndmask_b32_e64 v84, 0, 1, vcc_lo
	v_add_co_ci_u32_e32 v82, vcc_lo, 0, v82, vcc_lo
	s_delay_alu instid0(VALU_DEP_2)
	v_lshrrev_b32_e32 v83, v84, v83
; %bb.10069:                            ;   in Loop: Header=BB6_9656 Depth=2
	s_and_not1_saveexec_b32 s10, s10
; %bb.10070:                            ;   in Loop: Header=BB6_9656 Depth=2
	s_delay_alu instid0(VALU_DEP_1)
	v_bfe_u32 v82, v83, 23, 1
; %bb.10071:                            ;   in Loop: Header=BB6_9656 Depth=2
	s_or_b32 exec_lo, exec_lo, s10
	v_lshrrev_b32_e32 v83, 20, v83
	s_delay_alu instid0(VALU_DEP_2) | instskip(SKIP_2) | instid1(VALU_DEP_2)
	v_cmp_gt_i32_e32 vcc_lo, 16, v82
	v_lshrrev_b32_e32 v66, 24, v66
	v_min_i32_e32 v84, 15, v82
	v_dual_cndmask_b32 v83, 7, v83 :: v_dual_and_b32 v66, 0x80, v66
	s_delay_alu instid0(VALU_DEP_2) | instskip(NEXT) | instid1(VALU_DEP_2)
	v_lshlrev_b32_e32 v84, 3, v84
	v_and_b32_e32 v86, 7, v83
	v_or_b32_e32 v82, v82, v83
	s_delay_alu instid0(VALU_DEP_2) | instskip(NEXT) | instid1(VALU_DEP_2)
	v_or3_b32 v66, v84, v66, v86
	v_cmp_ne_u32_e32 vcc_lo, 0, v82
	s_delay_alu instid0(VALU_DEP_2)
	v_cndmask_b32_e32 v160, 0, v66, vcc_lo
.LBB6_10072:                            ;   in Loop: Header=BB6_9656 Depth=2
	s_or_b32 exec_lo, exec_lo, s24
.LBB6_10073:                            ;   in Loop: Header=BB6_9656 Depth=2
	s_delay_alu instid0(SALU_CYCLE_1) | instskip(SKIP_3) | instid1(VALU_DEP_1)
	s_or_b32 exec_lo, exec_lo, s23
	v_lshrrev_b32_e32 v66, 16, v10
	s_mov_b32 s10, 0
	s_mov_b32 s24, exec_lo
                                        ; implicit-def: $sgpr23
	v_and_b32_e32 v83, 0xff, v66
	s_delay_alu instid0(VALU_DEP_1)
	v_cmpx_lt_i16_e32 0x7f, v83
	s_xor_b32 s24, exec_lo, s24
	s_cbranch_execnz .LBB6_11335
; %bb.10074:                            ;   in Loop: Header=BB6_9656 Depth=2
	s_or_saveexec_b32 s24, s24
	v_mov_b32_e32 v82, s23
	s_xor_b32 exec_lo, exec_lo, s24
	s_cbranch_execnz .LBB6_11338
.LBB6_10075:                            ;   in Loop: Header=BB6_9656 Depth=2
	s_or_b32 exec_lo, exec_lo, s24
	s_and_saveexec_b32 s23, s10
	s_cbranch_execz .LBB6_10077
.LBB6_10076:                            ;   in Loop: Header=BB6_9656 Depth=2
	v_bfe_u32 v82, v10, 16, 3
	v_lshlrev_b32_e32 v86, 8, v10
	s_delay_alu instid0(VALU_DEP_2) | instskip(NEXT) | instid1(VALU_DEP_1)
	v_clz_i32_u32_e32 v83, v82
	v_min_u32_e32 v83, 32, v83
	s_delay_alu instid0(VALU_DEP_1) | instskip(SKIP_1) | instid1(VALU_DEP_2)
	v_subrev_nc_u32_e32 v84, 28, v83
	v_sub_nc_u32_e32 v83, 29, v83
	v_lshlrev_b32_e32 v66, v84, v66
	v_bfe_u32 v84, v10, 19, 4
	s_delay_alu instid0(VALU_DEP_1) | instskip(NEXT) | instid1(VALU_DEP_3)
	v_cmp_eq_u32_e32 vcc_lo, 0, v84
	v_dual_cndmask_b32 v83, v84, v83 :: v_dual_and_b32 v66, 7, v66
	s_delay_alu instid0(VALU_DEP_1) | instskip(SKIP_1) | instid1(VALU_DEP_3)
	v_cndmask_b32_e32 v66, v82, v66, vcc_lo
	v_and_b32_e32 v82, 0x80000000, v86
	v_lshl_add_u32 v83, v83, 23, 0x3b800000
	s_delay_alu instid0(VALU_DEP_3) | instskip(NEXT) | instid1(VALU_DEP_1)
	v_lshlrev_b32_e32 v66, 20, v66
	v_or3_b32 v82, v82, v83, v66
.LBB6_10077:                            ;   in Loop: Header=BB6_9656 Depth=2
	s_or_b32 exec_lo, exec_lo, s23
	s_delay_alu instid0(VALU_DEP_1) | instskip(SKIP_1) | instid1(VALU_DEP_1)
	v_dual_mul_f32 v66, s22, v82 :: v_dual_mov_b32 v161, 0x80
	s_mov_b32 s23, exec_lo
	v_and_b32_e32 v82, 0x7f800000, v66
	s_delay_alu instid0(VALU_DEP_1)
	v_cmpx_ne_u32_e32 0x7f800000, v82
	s_cbranch_execz .LBB6_10085
; %bb.10078:                            ;   in Loop: Header=BB6_9656 Depth=2
	v_mov_b32_e32 v161, 0
	s_mov_b32 s24, exec_lo
	v_cmpx_ne_u32_e32 0, v66
	s_cbranch_execz .LBB6_10084
; %bb.10079:                            ;   in Loop: Header=BB6_9656 Depth=2
	v_bfe_u32 v82, v66, 23, 8
	s_delay_alu instid0(VALU_DEP_1) | instskip(SKIP_1) | instid1(VALU_DEP_2)
	v_sub_nc_u32_e32 v84, 0x78, v82
	v_cmp_gt_u32_e32 vcc_lo, 0x79, v82
	v_dual_cndmask_b32 v84, 0, v84 :: v_dual_and_b32 v83, 0x7fffff, v66
	s_delay_alu instid0(VALU_DEP_1) | instskip(SKIP_2) | instid1(VALU_DEP_4)
	v_or_b32_e32 v86, 0x800000, v83
	v_cmp_eq_u32_e32 vcc_lo, 0, v82
	v_add_nc_u32_e32 v82, 0xffffff89, v82
	v_cndmask_b32_e64 v84, v84, 0x77, vcc_lo
	s_delay_alu instid0(VALU_DEP_4) | instskip(NEXT) | instid1(VALU_DEP_3)
	v_cndmask_b32_e32 v83, v86, v83, vcc_lo
	v_cndmask_b32_e64 v82, v82, 0xffffff8a, vcc_lo
	s_delay_alu instid0(VALU_DEP_3) | instskip(NEXT) | instid1(VALU_DEP_3)
	v_lshl_add_u32 v86, 0x100000, v84, -1
	v_lshrrev_b32_e32 v87, v84, v83
	v_lshlrev_b32_e64 v97, v84, 0x80000
	s_delay_alu instid0(VALU_DEP_4) | instskip(NEXT) | instid1(VALU_DEP_4)
	v_add_nc_u32_e32 v84, v84, v82
	v_and_b32_e32 v83, v86, v83
	s_delay_alu instid0(VALU_DEP_4) | instskip(NEXT) | instid1(VALU_DEP_2)
	v_bfe_u32 v96, v87, 20, 1
	v_cmp_eq_u32_e64 s10, v83, v97
	s_delay_alu instid0(VALU_DEP_2) | instskip(NEXT) | instid1(VALU_DEP_1)
	v_add_nc_u32_e32 v86, -1, v96
	v_cndmask_b32_e64 v83, 0, v86, s10
	v_lshrrev_b32_e32 v86, 23, v87
	s_mov_b32 s10, exec_lo
	s_delay_alu instid0(VALU_DEP_2) | instskip(NEXT) | instid1(VALU_DEP_2)
	v_add_nc_u32_e32 v83, v83, v87
	v_xor_b32_e32 v86, 1, v86
	s_delay_alu instid0(VALU_DEP_2) | instskip(NEXT) | instid1(VALU_DEP_1)
	v_and_b32_e32 v82, 0xfffff, v83
	v_add_nc_u32_e32 v83, v82, v87
                                        ; implicit-def: $vgpr82
	s_delay_alu instid0(VALU_DEP_3)
	v_cmpx_ne_u32_e64 v84, v86
	s_xor_b32 s10, exec_lo, s10
; %bb.10080:                            ;   in Loop: Header=BB6_9656 Depth=2
	s_delay_alu instid0(VALU_DEP_2) | instskip(SKIP_2) | instid1(VALU_DEP_2)
	v_cmp_lt_u32_e32 vcc_lo, 0xffffff, v83
	v_sub_nc_u32_e32 v82, v84, v86
	v_cndmask_b32_e64 v84, 0, 1, vcc_lo
	v_add_co_ci_u32_e32 v82, vcc_lo, 0, v82, vcc_lo
	s_delay_alu instid0(VALU_DEP_2)
	v_lshrrev_b32_e32 v83, v84, v83
; %bb.10081:                            ;   in Loop: Header=BB6_9656 Depth=2
	s_and_not1_saveexec_b32 s10, s10
; %bb.10082:                            ;   in Loop: Header=BB6_9656 Depth=2
	s_delay_alu instid0(VALU_DEP_1)
	v_bfe_u32 v82, v83, 23, 1
; %bb.10083:                            ;   in Loop: Header=BB6_9656 Depth=2
	s_or_b32 exec_lo, exec_lo, s10
	v_lshrrev_b32_e32 v83, 20, v83
	s_delay_alu instid0(VALU_DEP_2) | instskip(SKIP_2) | instid1(VALU_DEP_2)
	v_cmp_gt_i32_e32 vcc_lo, 16, v82
	v_lshrrev_b32_e32 v66, 24, v66
	v_min_i32_e32 v84, 15, v82
	v_dual_cndmask_b32 v83, 7, v83 :: v_dual_and_b32 v66, 0x80, v66
	s_delay_alu instid0(VALU_DEP_2) | instskip(NEXT) | instid1(VALU_DEP_2)
	v_lshlrev_b32_e32 v84, 3, v84
	v_or_b32_e32 v82, v82, v83
	s_delay_alu instid0(VALU_DEP_1) | instskip(SKIP_1) | instid1(VALU_DEP_1)
	v_cmp_ne_u32_e32 vcc_lo, 0, v82
	v_and_b32_e32 v86, 7, v83
	v_or3_b32 v66, v84, v66, v86
	s_delay_alu instid0(VALU_DEP_1)
	v_cndmask_b32_e32 v161, 0, v66, vcc_lo
.LBB6_10084:                            ;   in Loop: Header=BB6_9656 Depth=2
	s_or_b32 exec_lo, exec_lo, s24
.LBB6_10085:                            ;   in Loop: Header=BB6_9656 Depth=2
	s_delay_alu instid0(SALU_CYCLE_1) | instskip(SKIP_3) | instid1(VALU_DEP_1)
	s_or_b32 exec_lo, exec_lo, s23
	v_lshrrev_b32_e32 v66, 24, v10
	s_mov_b32 s10, 0
	s_mov_b32 s24, exec_lo
                                        ; implicit-def: $sgpr23
	v_cmpx_lt_i16_e32 0x7f, v66
	s_xor_b32 s24, exec_lo, s24
	s_cbranch_execnz .LBB6_11339
; %bb.10086:                            ;   in Loop: Header=BB6_9656 Depth=2
	s_or_saveexec_b32 s24, s24
	v_mov_b32_e32 v82, s23
	s_xor_b32 exec_lo, exec_lo, s24
	s_cbranch_execnz .LBB6_11342
.LBB6_10087:                            ;   in Loop: Header=BB6_9656 Depth=2
	s_or_b32 exec_lo, exec_lo, s24
	s_and_saveexec_b32 s23, s10
	s_cbranch_execz .LBB6_10089
.LBB6_10088:                            ;   in Loop: Header=BB6_9656 Depth=2
	v_bfe_u32 v82, v10, 24, 3
	s_delay_alu instid0(VALU_DEP_1) | instskip(NEXT) | instid1(VALU_DEP_1)
	v_clz_i32_u32_e32 v83, v82
	v_min_u32_e32 v83, 32, v83
	s_delay_alu instid0(VALU_DEP_1) | instskip(SKIP_1) | instid1(VALU_DEP_2)
	v_subrev_nc_u32_e32 v84, 28, v83
	v_sub_nc_u32_e32 v83, 29, v83
	v_lshlrev_b32_e32 v66, v84, v66
	v_bfe_u32 v84, v10, 27, 4
	v_and_b32_e32 v10, 0x80000000, v10
	s_delay_alu instid0(VALU_DEP_2) | instskip(NEXT) | instid1(VALU_DEP_4)
	v_cmp_eq_u32_e32 vcc_lo, 0, v84
	v_dual_cndmask_b32 v83, v84, v83 :: v_dual_and_b32 v66, 7, v66
	s_delay_alu instid0(VALU_DEP_1) | instskip(NEXT) | instid1(VALU_DEP_2)
	v_cndmask_b32_e32 v66, v82, v66, vcc_lo
	v_lshl_add_u32 v82, v83, 23, 0x3b800000
	s_delay_alu instid0(VALU_DEP_2) | instskip(NEXT) | instid1(VALU_DEP_1)
	v_lshlrev_b32_e32 v66, 20, v66
	v_or3_b32 v82, v10, v82, v66
.LBB6_10089:                            ;   in Loop: Header=BB6_9656 Depth=2
	s_or_b32 exec_lo, exec_lo, s23
	s_delay_alu instid0(VALU_DEP_1) | instskip(SKIP_2) | instid1(VALU_DEP_2)
	v_mul_f32_e32 v10, s22, v82
	v_mov_b32_e32 v162, 0x80
	s_mov_b32 s23, exec_lo
	v_and_b32_e32 v66, 0x7f800000, v10
	s_delay_alu instid0(VALU_DEP_1)
	v_cmpx_ne_u32_e32 0x7f800000, v66
	s_cbranch_execz .LBB6_10097
; %bb.10090:                            ;   in Loop: Header=BB6_9656 Depth=2
	v_mov_b32_e32 v162, 0
	s_mov_b32 s24, exec_lo
	v_cmpx_ne_u32_e32 0, v10
	s_cbranch_execz .LBB6_10096
; %bb.10091:                            ;   in Loop: Header=BB6_9656 Depth=2
	v_bfe_u32 v66, v10, 23, 8
	s_delay_alu instid0(VALU_DEP_1) | instskip(SKIP_1) | instid1(VALU_DEP_2)
	v_sub_nc_u32_e32 v83, 0x78, v66
	v_cmp_gt_u32_e32 vcc_lo, 0x79, v66
	v_dual_cndmask_b32 v83, 0, v83 :: v_dual_and_b32 v82, 0x7fffff, v10
	s_delay_alu instid0(VALU_DEP_1) | instskip(SKIP_2) | instid1(VALU_DEP_4)
	v_or_b32_e32 v84, 0x800000, v82
	v_cmp_eq_u32_e32 vcc_lo, 0, v66
	v_add_nc_u32_e32 v66, 0xffffff89, v66
	v_cndmask_b32_e64 v83, v83, 0x77, vcc_lo
	s_delay_alu instid0(VALU_DEP_4) | instskip(NEXT) | instid1(VALU_DEP_3)
	v_cndmask_b32_e32 v82, v84, v82, vcc_lo
	v_cndmask_b32_e64 v66, v66, 0xffffff8a, vcc_lo
	s_delay_alu instid0(VALU_DEP_3) | instskip(NEXT) | instid1(VALU_DEP_3)
	v_lshl_add_u32 v84, 0x100000, v83, -1
	v_lshrrev_b32_e32 v86, v83, v82
	v_lshlrev_b32_e64 v96, v83, 0x80000
	s_delay_alu instid0(VALU_DEP_4) | instskip(NEXT) | instid1(VALU_DEP_4)
	v_add_nc_u32_e32 v83, v83, v66
	v_and_b32_e32 v82, v84, v82
	s_delay_alu instid0(VALU_DEP_4) | instskip(NEXT) | instid1(VALU_DEP_2)
	v_bfe_u32 v87, v86, 20, 1
	v_cmp_eq_u32_e64 s10, v82, v96
	s_delay_alu instid0(VALU_DEP_2) | instskip(NEXT) | instid1(VALU_DEP_1)
	v_add_nc_u32_e32 v84, -1, v87
	v_cndmask_b32_e64 v82, 0, v84, s10
	v_lshrrev_b32_e32 v84, 23, v86
	s_mov_b32 s10, exec_lo
	s_delay_alu instid0(VALU_DEP_2) | instskip(NEXT) | instid1(VALU_DEP_2)
	v_add_nc_u32_e32 v82, v82, v86
	v_xor_b32_e32 v84, 1, v84
	s_delay_alu instid0(VALU_DEP_2) | instskip(NEXT) | instid1(VALU_DEP_1)
	v_and_b32_e32 v66, 0xfffff, v82
	v_add_nc_u32_e32 v82, v66, v86
                                        ; implicit-def: $vgpr66
	s_delay_alu instid0(VALU_DEP_3)
	v_cmpx_ne_u32_e64 v83, v84
	s_xor_b32 s10, exec_lo, s10
; %bb.10092:                            ;   in Loop: Header=BB6_9656 Depth=2
	s_delay_alu instid0(VALU_DEP_2) | instskip(SKIP_2) | instid1(VALU_DEP_2)
	v_cmp_lt_u32_e32 vcc_lo, 0xffffff, v82
	v_sub_nc_u32_e32 v66, v83, v84
	v_cndmask_b32_e64 v83, 0, 1, vcc_lo
	v_add_co_ci_u32_e32 v66, vcc_lo, 0, v66, vcc_lo
	s_delay_alu instid0(VALU_DEP_2)
	v_lshrrev_b32_e32 v82, v83, v82
; %bb.10093:                            ;   in Loop: Header=BB6_9656 Depth=2
	s_and_not1_saveexec_b32 s10, s10
; %bb.10094:                            ;   in Loop: Header=BB6_9656 Depth=2
	s_delay_alu instid0(VALU_DEP_1)
	v_bfe_u32 v66, v82, 23, 1
; %bb.10095:                            ;   in Loop: Header=BB6_9656 Depth=2
	s_or_b32 exec_lo, exec_lo, s10
	v_lshrrev_b32_e32 v82, 20, v82
	s_delay_alu instid0(VALU_DEP_2) | instskip(SKIP_2) | instid1(VALU_DEP_4)
	v_cmp_gt_i32_e32 vcc_lo, 16, v66
	v_lshrrev_b32_e32 v10, 24, v10
	v_min_i32_e32 v83, 15, v66
	v_cndmask_b32_e32 v82, 7, v82, vcc_lo
	s_delay_alu instid0(VALU_DEP_3) | instskip(NEXT) | instid1(VALU_DEP_3)
	v_and_b32_e32 v10, 0x80, v10
	v_lshlrev_b32_e32 v83, 3, v83
	s_delay_alu instid0(VALU_DEP_3) | instskip(SKIP_1) | instid1(VALU_DEP_2)
	v_and_b32_e32 v84, 7, v82
	v_or_b32_e32 v66, v66, v82
	v_or3_b32 v10, v83, v10, v84
	s_delay_alu instid0(VALU_DEP_2) | instskip(NEXT) | instid1(VALU_DEP_2)
	v_cmp_ne_u32_e32 vcc_lo, 0, v66
	v_cndmask_b32_e32 v162, 0, v10, vcc_lo
.LBB6_10096:                            ;   in Loop: Header=BB6_9656 Depth=2
	s_or_b32 exec_lo, exec_lo, s24
.LBB6_10097:                            ;   in Loop: Header=BB6_9656 Depth=2
	s_delay_alu instid0(SALU_CYCLE_1) | instskip(SKIP_3) | instid1(VALU_DEP_1)
	s_or_b32 exec_lo, exec_lo, s23
	v_and_b32_e32 v66, 0xff, v11
	s_mov_b32 s10, 0
	s_mov_b32 s24, exec_lo
                                        ; implicit-def: $sgpr23
	v_cmpx_lt_i16_e32 0x7f, v66
	s_xor_b32 s24, exec_lo, s24
	s_cbranch_execnz .LBB6_11343
; %bb.10098:                            ;   in Loop: Header=BB6_9656 Depth=2
	s_or_saveexec_b32 s24, s24
	v_mov_b32_e32 v10, s23
	s_xor_b32 exec_lo, exec_lo, s24
	s_cbranch_execnz .LBB6_11346
.LBB6_10099:                            ;   in Loop: Header=BB6_9656 Depth=2
	s_or_b32 exec_lo, exec_lo, s24
	s_and_saveexec_b32 s23, s10
	s_cbranch_execz .LBB6_10101
.LBB6_10100:                            ;   in Loop: Header=BB6_9656 Depth=2
	v_and_b32_e32 v10, 7, v11
	v_bfe_u32 v83, v11, 3, 4
	v_lshlrev_b32_e32 v84, 24, v11
	s_delay_alu instid0(VALU_DEP_3) | instskip(NEXT) | instid1(VALU_DEP_3)
	v_clz_i32_u32_e32 v66, v10
	v_cmp_eq_u32_e32 vcc_lo, 0, v83
	s_delay_alu instid0(VALU_DEP_2) | instskip(NEXT) | instid1(VALU_DEP_1)
	v_min_u32_e32 v66, 32, v66
	v_subrev_nc_u32_e32 v82, 28, v66
	v_sub_nc_u32_e32 v66, 29, v66
	s_delay_alu instid0(VALU_DEP_2) | instskip(NEXT) | instid1(VALU_DEP_2)
	v_lshlrev_b32_e32 v82, v82, v11
	v_cndmask_b32_e32 v66, v83, v66, vcc_lo
	s_delay_alu instid0(VALU_DEP_2) | instskip(NEXT) | instid1(VALU_DEP_2)
	v_and_b32_e32 v82, 7, v82
	v_lshl_add_u32 v66, v66, 23, 0x3b800000
	s_delay_alu instid0(VALU_DEP_2) | instskip(SKIP_1) | instid1(VALU_DEP_2)
	v_cndmask_b32_e32 v10, v10, v82, vcc_lo
	v_and_b32_e32 v82, 0x80000000, v84
	v_lshlrev_b32_e32 v10, 20, v10
	s_delay_alu instid0(VALU_DEP_1)
	v_or3_b32 v10, v82, v66, v10
.LBB6_10101:                            ;   in Loop: Header=BB6_9656 Depth=2
	s_or_b32 exec_lo, exec_lo, s23
	s_delay_alu instid0(VALU_DEP_1) | instskip(SKIP_1) | instid1(VALU_DEP_1)
	v_dual_mul_f32 v10, s22, v10 :: v_dual_mov_b32 v163, 0x80
	s_mov_b32 s23, exec_lo
	v_and_b32_e32 v66, 0x7f800000, v10
	s_delay_alu instid0(VALU_DEP_1)
	v_cmpx_ne_u32_e32 0x7f800000, v66
	s_cbranch_execz .LBB6_10109
; %bb.10102:                            ;   in Loop: Header=BB6_9656 Depth=2
	v_mov_b32_e32 v163, 0
	s_mov_b32 s24, exec_lo
	v_cmpx_ne_u32_e32 0, v10
	s_cbranch_execz .LBB6_10108
; %bb.10103:                            ;   in Loop: Header=BB6_9656 Depth=2
	v_bfe_u32 v66, v10, 23, 8
	s_delay_alu instid0(VALU_DEP_1) | instskip(SKIP_1) | instid1(VALU_DEP_2)
	v_sub_nc_u32_e32 v83, 0x78, v66
	v_cmp_gt_u32_e32 vcc_lo, 0x79, v66
	v_dual_cndmask_b32 v83, 0, v83 :: v_dual_and_b32 v82, 0x7fffff, v10
	s_delay_alu instid0(VALU_DEP_1) | instskip(SKIP_2) | instid1(VALU_DEP_4)
	v_or_b32_e32 v84, 0x800000, v82
	v_cmp_eq_u32_e32 vcc_lo, 0, v66
	v_add_nc_u32_e32 v66, 0xffffff89, v66
	v_cndmask_b32_e64 v83, v83, 0x77, vcc_lo
	s_delay_alu instid0(VALU_DEP_4) | instskip(NEXT) | instid1(VALU_DEP_3)
	v_cndmask_b32_e32 v82, v84, v82, vcc_lo
	v_cndmask_b32_e64 v66, v66, 0xffffff8a, vcc_lo
	s_delay_alu instid0(VALU_DEP_3) | instskip(NEXT) | instid1(VALU_DEP_3)
	v_lshl_add_u32 v84, 0x100000, v83, -1
	v_lshrrev_b32_e32 v86, v83, v82
	v_lshlrev_b32_e64 v96, v83, 0x80000
	s_delay_alu instid0(VALU_DEP_4) | instskip(NEXT) | instid1(VALU_DEP_4)
	v_add_nc_u32_e32 v83, v83, v66
	v_and_b32_e32 v82, v84, v82
	s_delay_alu instid0(VALU_DEP_4) | instskip(NEXT) | instid1(VALU_DEP_2)
	v_bfe_u32 v87, v86, 20, 1
	v_cmp_eq_u32_e64 s10, v82, v96
	s_delay_alu instid0(VALU_DEP_2) | instskip(NEXT) | instid1(VALU_DEP_1)
	v_add_nc_u32_e32 v84, -1, v87
	v_cndmask_b32_e64 v82, 0, v84, s10
	v_lshrrev_b32_e32 v84, 23, v86
	s_mov_b32 s10, exec_lo
	s_delay_alu instid0(VALU_DEP_2) | instskip(NEXT) | instid1(VALU_DEP_2)
	v_add_nc_u32_e32 v82, v82, v86
	v_xor_b32_e32 v84, 1, v84
	s_delay_alu instid0(VALU_DEP_2) | instskip(NEXT) | instid1(VALU_DEP_1)
	v_and_b32_e32 v66, 0xfffff, v82
	v_add_nc_u32_e32 v82, v66, v86
                                        ; implicit-def: $vgpr66
	s_delay_alu instid0(VALU_DEP_3)
	v_cmpx_ne_u32_e64 v83, v84
	s_xor_b32 s10, exec_lo, s10
; %bb.10104:                            ;   in Loop: Header=BB6_9656 Depth=2
	s_delay_alu instid0(VALU_DEP_2) | instskip(SKIP_2) | instid1(VALU_DEP_2)
	v_cmp_lt_u32_e32 vcc_lo, 0xffffff, v82
	v_sub_nc_u32_e32 v66, v83, v84
	v_cndmask_b32_e64 v83, 0, 1, vcc_lo
	v_add_co_ci_u32_e32 v66, vcc_lo, 0, v66, vcc_lo
	s_delay_alu instid0(VALU_DEP_2)
	v_lshrrev_b32_e32 v82, v83, v82
; %bb.10105:                            ;   in Loop: Header=BB6_9656 Depth=2
	s_and_not1_saveexec_b32 s10, s10
; %bb.10106:                            ;   in Loop: Header=BB6_9656 Depth=2
	s_delay_alu instid0(VALU_DEP_1)
	v_bfe_u32 v66, v82, 23, 1
; %bb.10107:                            ;   in Loop: Header=BB6_9656 Depth=2
	s_or_b32 exec_lo, exec_lo, s10
	v_lshrrev_b32_e32 v82, 20, v82
	s_delay_alu instid0(VALU_DEP_2) | instskip(SKIP_2) | instid1(VALU_DEP_3)
	v_min_i32_e32 v83, 15, v66
	v_cmp_gt_i32_e32 vcc_lo, 16, v66
	v_lshrrev_b32_e32 v10, 24, v10
	v_dual_cndmask_b32 v82, 7, v82 :: v_dual_lshlrev_b32 v83, 3, v83
	s_delay_alu instid0(VALU_DEP_2) | instskip(NEXT) | instid1(VALU_DEP_2)
	v_and_b32_e32 v10, 0x80, v10
	v_and_b32_e32 v83, 0xf8, v83
	s_delay_alu instid0(VALU_DEP_3) | instskip(SKIP_1) | instid1(VALU_DEP_2)
	v_and_b32_e32 v84, 7, v82
	v_or_b32_e32 v66, v66, v82
	v_or3_b32 v10, v83, v10, v84
	s_delay_alu instid0(VALU_DEP_2) | instskip(NEXT) | instid1(VALU_DEP_2)
	v_cmp_ne_u32_e32 vcc_lo, 0, v66
	v_cndmask_b32_e32 v163, 0, v10, vcc_lo
.LBB6_10108:                            ;   in Loop: Header=BB6_9656 Depth=2
	s_or_b32 exec_lo, exec_lo, s24
.LBB6_10109:                            ;   in Loop: Header=BB6_9656 Depth=2
	s_delay_alu instid0(SALU_CYCLE_1) | instskip(SKIP_3) | instid1(VALU_DEP_1)
	s_or_b32 exec_lo, exec_lo, s23
	v_lshrrev_b16 v10, 8, v11
	s_mov_b32 s10, 0
	s_mov_b32 s24, exec_lo
                                        ; implicit-def: $sgpr23
	v_cmpx_lt_i16_e32 0x7f, v10
	s_xor_b32 s24, exec_lo, s24
	s_cbranch_execnz .LBB6_11347
; %bb.10110:                            ;   in Loop: Header=BB6_9656 Depth=2
	s_or_saveexec_b32 s24, s24
	v_mov_b32_e32 v66, s23
	s_xor_b32 exec_lo, exec_lo, s24
	s_cbranch_execnz .LBB6_11350
.LBB6_10111:                            ;   in Loop: Header=BB6_9656 Depth=2
	s_or_b32 exec_lo, exec_lo, s24
	s_and_saveexec_b32 s23, s10
	s_cbranch_execz .LBB6_10113
.LBB6_10112:                            ;   in Loop: Header=BB6_9656 Depth=2
	v_and_b32_e32 v66, 0xffff, v10
	v_lshlrev_b32_e32 v10, 24, v10
	s_delay_alu instid0(VALU_DEP_2) | instskip(NEXT) | instid1(VALU_DEP_2)
	v_and_b32_e32 v82, 7, v66
	v_and_b32_e32 v10, 0x80000000, v10
	s_delay_alu instid0(VALU_DEP_2) | instskip(NEXT) | instid1(VALU_DEP_1)
	v_clz_i32_u32_e32 v83, v82
	v_min_u32_e32 v83, 32, v83
	s_delay_alu instid0(VALU_DEP_1) | instskip(SKIP_1) | instid1(VALU_DEP_2)
	v_subrev_nc_u32_e32 v84, 28, v83
	v_sub_nc_u32_e32 v83, 29, v83
	v_lshlrev_b32_e32 v84, v84, v66
	v_bfe_u32 v66, v66, 3, 4
	s_delay_alu instid0(VALU_DEP_2) | instskip(NEXT) | instid1(VALU_DEP_2)
	v_and_b32_e32 v84, 7, v84
	v_cmp_eq_u32_e32 vcc_lo, 0, v66
	v_cndmask_b32_e32 v66, v66, v83, vcc_lo
	s_delay_alu instid0(VALU_DEP_3) | instskip(NEXT) | instid1(VALU_DEP_2)
	v_cndmask_b32_e32 v82, v82, v84, vcc_lo
	v_lshl_add_u32 v66, v66, 23, 0x3b800000
	s_delay_alu instid0(VALU_DEP_2) | instskip(NEXT) | instid1(VALU_DEP_1)
	v_lshlrev_b32_e32 v82, 20, v82
	v_or3_b32 v66, v10, v66, v82
.LBB6_10113:                            ;   in Loop: Header=BB6_9656 Depth=2
	s_or_b32 exec_lo, exec_lo, s23
	s_delay_alu instid0(VALU_DEP_1) | instskip(SKIP_2) | instid1(VALU_DEP_2)
	v_mul_f32_e32 v10, s22, v66
	v_mov_b32_e32 v164, 0x8000
	s_mov_b32 s23, exec_lo
	v_and_b32_e32 v66, 0x7f800000, v10
	s_delay_alu instid0(VALU_DEP_1)
	v_cmpx_ne_u32_e32 0x7f800000, v66
	s_cbranch_execz .LBB6_10121
; %bb.10114:                            ;   in Loop: Header=BB6_9656 Depth=2
	v_mov_b32_e32 v164, 0
	s_mov_b32 s24, exec_lo
	v_cmpx_ne_u32_e32 0, v10
	s_cbranch_execz .LBB6_10120
; %bb.10115:                            ;   in Loop: Header=BB6_9656 Depth=2
	v_bfe_u32 v66, v10, 23, 8
	s_delay_alu instid0(VALU_DEP_1) | instskip(SKIP_1) | instid1(VALU_DEP_2)
	v_sub_nc_u32_e32 v83, 0x78, v66
	v_cmp_gt_u32_e32 vcc_lo, 0x79, v66
	v_dual_cndmask_b32 v83, 0, v83 :: v_dual_and_b32 v82, 0x7fffff, v10
	s_delay_alu instid0(VALU_DEP_1) | instskip(SKIP_2) | instid1(VALU_DEP_4)
	v_or_b32_e32 v84, 0x800000, v82
	v_cmp_eq_u32_e32 vcc_lo, 0, v66
	v_add_nc_u32_e32 v66, 0xffffff89, v66
	v_cndmask_b32_e64 v83, v83, 0x77, vcc_lo
	s_delay_alu instid0(VALU_DEP_4) | instskip(NEXT) | instid1(VALU_DEP_3)
	v_cndmask_b32_e32 v82, v84, v82, vcc_lo
	v_cndmask_b32_e64 v66, v66, 0xffffff8a, vcc_lo
	s_delay_alu instid0(VALU_DEP_3) | instskip(NEXT) | instid1(VALU_DEP_3)
	v_lshl_add_u32 v84, 0x100000, v83, -1
	v_lshrrev_b32_e32 v86, v83, v82
	v_lshlrev_b32_e64 v96, v83, 0x80000
	s_delay_alu instid0(VALU_DEP_4) | instskip(NEXT) | instid1(VALU_DEP_4)
	v_add_nc_u32_e32 v83, v83, v66
	v_and_b32_e32 v82, v84, v82
	s_delay_alu instid0(VALU_DEP_4) | instskip(NEXT) | instid1(VALU_DEP_2)
	v_bfe_u32 v87, v86, 20, 1
	v_cmp_eq_u32_e64 s10, v82, v96
	s_delay_alu instid0(VALU_DEP_2) | instskip(NEXT) | instid1(VALU_DEP_1)
	v_add_nc_u32_e32 v84, -1, v87
	v_cndmask_b32_e64 v82, 0, v84, s10
	v_lshrrev_b32_e32 v84, 23, v86
	s_mov_b32 s10, exec_lo
	s_delay_alu instid0(VALU_DEP_2) | instskip(NEXT) | instid1(VALU_DEP_2)
	v_add_nc_u32_e32 v82, v82, v86
	v_xor_b32_e32 v84, 1, v84
	s_delay_alu instid0(VALU_DEP_2) | instskip(NEXT) | instid1(VALU_DEP_1)
	v_and_b32_e32 v66, 0xfffff, v82
	v_add_nc_u32_e32 v82, v66, v86
                                        ; implicit-def: $vgpr66
	s_delay_alu instid0(VALU_DEP_3)
	v_cmpx_ne_u32_e64 v83, v84
	s_xor_b32 s10, exec_lo, s10
; %bb.10116:                            ;   in Loop: Header=BB6_9656 Depth=2
	s_delay_alu instid0(VALU_DEP_2) | instskip(SKIP_2) | instid1(VALU_DEP_2)
	v_cmp_lt_u32_e32 vcc_lo, 0xffffff, v82
	v_sub_nc_u32_e32 v66, v83, v84
	v_cndmask_b32_e64 v83, 0, 1, vcc_lo
	v_add_co_ci_u32_e32 v66, vcc_lo, 0, v66, vcc_lo
	s_delay_alu instid0(VALU_DEP_2)
	v_lshrrev_b32_e32 v82, v83, v82
; %bb.10117:                            ;   in Loop: Header=BB6_9656 Depth=2
	s_and_not1_saveexec_b32 s10, s10
; %bb.10118:                            ;   in Loop: Header=BB6_9656 Depth=2
	s_delay_alu instid0(VALU_DEP_1)
	v_bfe_u32 v66, v82, 23, 1
; %bb.10119:                            ;   in Loop: Header=BB6_9656 Depth=2
	s_or_b32 exec_lo, exec_lo, s10
	v_lshrrev_b32_e32 v82, 20, v82
	s_delay_alu instid0(VALU_DEP_2) | instskip(SKIP_2) | instid1(VALU_DEP_2)
	v_cmp_gt_i32_e32 vcc_lo, 16, v66
	v_min_i32_e32 v83, 15, v66
	v_lshrrev_b32_e32 v10, 24, v10
	v_dual_cndmask_b32 v82, 7, v82 :: v_dual_lshlrev_b32 v83, 3, v83
	s_delay_alu instid0(VALU_DEP_2) | instskip(NEXT) | instid1(VALU_DEP_2)
	v_and_b32_e32 v10, 0x80, v10
	v_or_b32_e32 v66, v66, v82
	v_and_b32_e32 v84, 7, v82
	s_delay_alu instid0(VALU_DEP_2) | instskip(SKIP_1) | instid1(VALU_DEP_1)
	v_cmp_ne_u32_e32 vcc_lo, 0, v66
	v_and_b32_e32 v83, 0xf8, v83
	v_or3_b32 v10, v10, v83, v84
	s_delay_alu instid0(VALU_DEP_1) | instskip(NEXT) | instid1(VALU_DEP_1)
	v_lshlrev_b32_e32 v10, 8, v10
	v_cndmask_b32_e32 v164, 0, v10, vcc_lo
.LBB6_10120:                            ;   in Loop: Header=BB6_9656 Depth=2
	s_or_b32 exec_lo, exec_lo, s24
.LBB6_10121:                            ;   in Loop: Header=BB6_9656 Depth=2
	s_delay_alu instid0(SALU_CYCLE_1) | instskip(SKIP_3) | instid1(VALU_DEP_1)
	s_or_b32 exec_lo, exec_lo, s23
	v_lshrrev_b32_e32 v10, 16, v11
	s_mov_b32 s10, 0
	s_mov_b32 s24, exec_lo
                                        ; implicit-def: $sgpr23
	v_and_b32_e32 v82, 0xff, v10
	s_delay_alu instid0(VALU_DEP_1)
	v_cmpx_lt_i16_e32 0x7f, v82
	s_xor_b32 s24, exec_lo, s24
	s_cbranch_execnz .LBB6_11351
; %bb.10122:                            ;   in Loop: Header=BB6_9656 Depth=2
	s_or_saveexec_b32 s24, s24
	v_mov_b32_e32 v66, s23
	s_xor_b32 exec_lo, exec_lo, s24
	s_cbranch_execnz .LBB6_11354
.LBB6_10123:                            ;   in Loop: Header=BB6_9656 Depth=2
	s_or_b32 exec_lo, exec_lo, s24
	s_and_saveexec_b32 s23, s10
	s_cbranch_execz .LBB6_10125
.LBB6_10124:                            ;   in Loop: Header=BB6_9656 Depth=2
	v_bfe_u32 v66, v11, 16, 3
	v_lshlrev_b32_e32 v84, 8, v11
	s_delay_alu instid0(VALU_DEP_2) | instskip(NEXT) | instid1(VALU_DEP_1)
	v_clz_i32_u32_e32 v82, v66
	v_min_u32_e32 v82, 32, v82
	s_delay_alu instid0(VALU_DEP_1) | instskip(SKIP_1) | instid1(VALU_DEP_2)
	v_subrev_nc_u32_e32 v83, 28, v82
	v_sub_nc_u32_e32 v82, 29, v82
	v_lshlrev_b32_e32 v10, v83, v10
	v_bfe_u32 v83, v11, 19, 4
	s_delay_alu instid0(VALU_DEP_2) | instskip(NEXT) | instid1(VALU_DEP_2)
	v_and_b32_e32 v10, 7, v10
	v_cmp_eq_u32_e32 vcc_lo, 0, v83
	v_cndmask_b32_e32 v82, v83, v82, vcc_lo
	s_delay_alu instid0(VALU_DEP_3) | instskip(SKIP_1) | instid1(VALU_DEP_3)
	v_cndmask_b32_e32 v10, v66, v10, vcc_lo
	v_and_b32_e32 v66, 0x80000000, v84
	v_lshl_add_u32 v82, v82, 23, 0x3b800000
	s_delay_alu instid0(VALU_DEP_3) | instskip(NEXT) | instid1(VALU_DEP_1)
	v_lshlrev_b32_e32 v10, 20, v10
	v_or3_b32 v66, v66, v82, v10
.LBB6_10125:                            ;   in Loop: Header=BB6_9656 Depth=2
	s_or_b32 exec_lo, exec_lo, s23
	s_delay_alu instid0(VALU_DEP_1) | instskip(SKIP_1) | instid1(VALU_DEP_1)
	v_dual_mul_f32 v10, s22, v66 :: v_dual_mov_b32 v165, 0x80
	s_mov_b32 s23, exec_lo
	v_and_b32_e32 v66, 0x7f800000, v10
	s_delay_alu instid0(VALU_DEP_1)
	v_cmpx_ne_u32_e32 0x7f800000, v66
	s_cbranch_execz .LBB6_10133
; %bb.10126:                            ;   in Loop: Header=BB6_9656 Depth=2
	v_mov_b32_e32 v165, 0
	s_mov_b32 s24, exec_lo
	v_cmpx_ne_u32_e32 0, v10
	s_cbranch_execz .LBB6_10132
; %bb.10127:                            ;   in Loop: Header=BB6_9656 Depth=2
	v_bfe_u32 v66, v10, 23, 8
	s_delay_alu instid0(VALU_DEP_1) | instskip(SKIP_1) | instid1(VALU_DEP_2)
	v_sub_nc_u32_e32 v83, 0x78, v66
	v_cmp_gt_u32_e32 vcc_lo, 0x79, v66
	v_dual_cndmask_b32 v83, 0, v83 :: v_dual_and_b32 v82, 0x7fffff, v10
	s_delay_alu instid0(VALU_DEP_1) | instskip(SKIP_2) | instid1(VALU_DEP_4)
	v_or_b32_e32 v84, 0x800000, v82
	v_cmp_eq_u32_e32 vcc_lo, 0, v66
	v_add_nc_u32_e32 v66, 0xffffff89, v66
	v_cndmask_b32_e64 v83, v83, 0x77, vcc_lo
	s_delay_alu instid0(VALU_DEP_4) | instskip(NEXT) | instid1(VALU_DEP_3)
	v_cndmask_b32_e32 v82, v84, v82, vcc_lo
	v_cndmask_b32_e64 v66, v66, 0xffffff8a, vcc_lo
	s_delay_alu instid0(VALU_DEP_3) | instskip(NEXT) | instid1(VALU_DEP_3)
	v_lshl_add_u32 v84, 0x100000, v83, -1
	v_lshrrev_b32_e32 v86, v83, v82
	v_lshlrev_b32_e64 v96, v83, 0x80000
	s_delay_alu instid0(VALU_DEP_4) | instskip(NEXT) | instid1(VALU_DEP_4)
	v_add_nc_u32_e32 v83, v83, v66
	v_and_b32_e32 v82, v84, v82
	s_delay_alu instid0(VALU_DEP_4) | instskip(NEXT) | instid1(VALU_DEP_2)
	v_bfe_u32 v87, v86, 20, 1
	v_cmp_eq_u32_e64 s10, v82, v96
	s_delay_alu instid0(VALU_DEP_2) | instskip(NEXT) | instid1(VALU_DEP_1)
	v_add_nc_u32_e32 v84, -1, v87
	v_cndmask_b32_e64 v82, 0, v84, s10
	v_lshrrev_b32_e32 v84, 23, v86
	s_mov_b32 s10, exec_lo
	s_delay_alu instid0(VALU_DEP_2) | instskip(NEXT) | instid1(VALU_DEP_2)
	v_add_nc_u32_e32 v82, v82, v86
	v_xor_b32_e32 v84, 1, v84
	s_delay_alu instid0(VALU_DEP_2) | instskip(NEXT) | instid1(VALU_DEP_1)
	v_and_b32_e32 v66, 0xfffff, v82
	v_add_nc_u32_e32 v82, v66, v86
                                        ; implicit-def: $vgpr66
	s_delay_alu instid0(VALU_DEP_3)
	v_cmpx_ne_u32_e64 v83, v84
	s_xor_b32 s10, exec_lo, s10
; %bb.10128:                            ;   in Loop: Header=BB6_9656 Depth=2
	s_delay_alu instid0(VALU_DEP_2) | instskip(SKIP_2) | instid1(VALU_DEP_2)
	v_cmp_lt_u32_e32 vcc_lo, 0xffffff, v82
	v_sub_nc_u32_e32 v66, v83, v84
	v_cndmask_b32_e64 v83, 0, 1, vcc_lo
	v_add_co_ci_u32_e32 v66, vcc_lo, 0, v66, vcc_lo
	s_delay_alu instid0(VALU_DEP_2)
	v_lshrrev_b32_e32 v82, v83, v82
; %bb.10129:                            ;   in Loop: Header=BB6_9656 Depth=2
	s_and_not1_saveexec_b32 s10, s10
; %bb.10130:                            ;   in Loop: Header=BB6_9656 Depth=2
	s_delay_alu instid0(VALU_DEP_1)
	v_bfe_u32 v66, v82, 23, 1
; %bb.10131:                            ;   in Loop: Header=BB6_9656 Depth=2
	s_or_b32 exec_lo, exec_lo, s10
	v_lshrrev_b32_e32 v82, 20, v82
	s_delay_alu instid0(VALU_DEP_2) | instskip(SKIP_2) | instid1(VALU_DEP_3)
	v_min_i32_e32 v83, 15, v66
	v_cmp_gt_i32_e32 vcc_lo, 16, v66
	v_lshrrev_b32_e32 v10, 24, v10
	v_dual_cndmask_b32 v82, 7, v82 :: v_dual_lshlrev_b32 v83, 3, v83
	s_delay_alu instid0(VALU_DEP_2) | instskip(NEXT) | instid1(VALU_DEP_2)
	v_and_b32_e32 v10, 0x80, v10
	v_and_b32_e32 v83, 0xf8, v83
	s_delay_alu instid0(VALU_DEP_3) | instskip(SKIP_1) | instid1(VALU_DEP_2)
	v_and_b32_e32 v84, 7, v82
	v_or_b32_e32 v66, v66, v82
	v_or3_b32 v10, v83, v10, v84
	s_delay_alu instid0(VALU_DEP_2) | instskip(NEXT) | instid1(VALU_DEP_2)
	v_cmp_ne_u32_e32 vcc_lo, 0, v66
	v_cndmask_b32_e32 v165, 0, v10, vcc_lo
.LBB6_10132:                            ;   in Loop: Header=BB6_9656 Depth=2
	s_or_b32 exec_lo, exec_lo, s24
.LBB6_10133:                            ;   in Loop: Header=BB6_9656 Depth=2
	s_delay_alu instid0(SALU_CYCLE_1) | instskip(SKIP_3) | instid1(VALU_DEP_1)
	s_or_b32 exec_lo, exec_lo, s23
	v_lshrrev_b32_e32 v10, 24, v11
	s_mov_b32 s10, 0
	s_mov_b32 s24, exec_lo
                                        ; implicit-def: $sgpr23
	v_cmpx_lt_i16_e32 0x7f, v10
	s_xor_b32 s24, exec_lo, s24
	s_cbranch_execnz .LBB6_11355
; %bb.10134:                            ;   in Loop: Header=BB6_9656 Depth=2
	s_or_saveexec_b32 s24, s24
	v_mov_b32_e32 v66, s23
	s_xor_b32 exec_lo, exec_lo, s24
	s_cbranch_execnz .LBB6_11358
.LBB6_10135:                            ;   in Loop: Header=BB6_9656 Depth=2
	s_or_b32 exec_lo, exec_lo, s24
	s_and_saveexec_b32 s23, s10
	s_cbranch_execz .LBB6_10137
.LBB6_10136:                            ;   in Loop: Header=BB6_9656 Depth=2
	v_bfe_u32 v66, v11, 24, 3
	s_delay_alu instid0(VALU_DEP_1) | instskip(NEXT) | instid1(VALU_DEP_1)
	v_clz_i32_u32_e32 v82, v66
	v_min_u32_e32 v82, 32, v82
	s_delay_alu instid0(VALU_DEP_1) | instskip(SKIP_1) | instid1(VALU_DEP_2)
	v_subrev_nc_u32_e32 v83, 28, v82
	v_sub_nc_u32_e32 v82, 29, v82
	v_lshlrev_b32_e32 v10, v83, v10
	v_bfe_u32 v83, v11, 27, 4
	v_and_b32_e32 v11, 0x80000000, v11
	s_delay_alu instid0(VALU_DEP_3) | instskip(NEXT) | instid1(VALU_DEP_3)
	v_and_b32_e32 v10, 7, v10
	v_cmp_eq_u32_e32 vcc_lo, 0, v83
	v_cndmask_b32_e32 v82, v83, v82, vcc_lo
	s_delay_alu instid0(VALU_DEP_3) | instskip(NEXT) | instid1(VALU_DEP_2)
	v_cndmask_b32_e32 v10, v66, v10, vcc_lo
	v_lshl_add_u32 v66, v82, 23, 0x3b800000
	s_delay_alu instid0(VALU_DEP_2) | instskip(NEXT) | instid1(VALU_DEP_1)
	v_lshlrev_b32_e32 v10, 20, v10
	v_or3_b32 v66, v11, v66, v10
.LBB6_10137:                            ;   in Loop: Header=BB6_9656 Depth=2
	s_or_b32 exec_lo, exec_lo, s23
	s_delay_alu instid0(VALU_DEP_1) | instskip(SKIP_2) | instid1(VALU_DEP_2)
	v_mul_f32_e32 v10, s22, v66
	v_mov_b32_e32 v166, 0x8000
	s_mov_b32 s23, exec_lo
	v_and_b32_e32 v11, 0x7f800000, v10
	s_delay_alu instid0(VALU_DEP_1)
	v_cmpx_ne_u32_e32 0x7f800000, v11
	s_cbranch_execz .LBB6_10145
; %bb.10138:                            ;   in Loop: Header=BB6_9656 Depth=2
	v_mov_b32_e32 v166, 0
	s_mov_b32 s24, exec_lo
	v_cmpx_ne_u32_e32 0, v10
	s_cbranch_execz .LBB6_10144
; %bb.10139:                            ;   in Loop: Header=BB6_9656 Depth=2
	v_bfe_u32 v11, v10, 23, 8
	v_and_b32_e32 v66, 0x7fffff, v10
	s_delay_alu instid0(VALU_DEP_2) | instskip(SKIP_1) | instid1(VALU_DEP_3)
	v_sub_nc_u32_e32 v82, 0x78, v11
	v_cmp_gt_u32_e32 vcc_lo, 0x79, v11
	v_or_b32_e32 v83, 0x800000, v66
	s_delay_alu instid0(VALU_DEP_3) | instskip(SKIP_2) | instid1(VALU_DEP_3)
	v_cndmask_b32_e32 v82, 0, v82, vcc_lo
	v_cmp_eq_u32_e32 vcc_lo, 0, v11
	v_add_nc_u32_e32 v11, 0xffffff89, v11
	v_cndmask_b32_e64 v82, v82, 0x77, vcc_lo
	v_cndmask_b32_e32 v66, v83, v66, vcc_lo
	s_delay_alu instid0(VALU_DEP_3) | instskip(NEXT) | instid1(VALU_DEP_3)
	v_cndmask_b32_e64 v11, v11, 0xffffff8a, vcc_lo
	v_lshl_add_u32 v83, 0x100000, v82, -1
	s_delay_alu instid0(VALU_DEP_3) | instskip(SKIP_1) | instid1(VALU_DEP_4)
	v_lshrrev_b32_e32 v84, v82, v66
	v_lshlrev_b32_e64 v87, v82, 0x80000
	v_add_nc_u32_e32 v82, v82, v11
	s_delay_alu instid0(VALU_DEP_4) | instskip(NEXT) | instid1(VALU_DEP_4)
	v_and_b32_e32 v66, v83, v66
	v_bfe_u32 v86, v84, 20, 1
	s_delay_alu instid0(VALU_DEP_2) | instskip(NEXT) | instid1(VALU_DEP_2)
	v_cmp_eq_u32_e64 s10, v66, v87
	v_add_nc_u32_e32 v83, -1, v86
	s_delay_alu instid0(VALU_DEP_1) | instskip(SKIP_2) | instid1(VALU_DEP_2)
	v_cndmask_b32_e64 v66, 0, v83, s10
	v_lshrrev_b32_e32 v83, 23, v84
	s_mov_b32 s10, exec_lo
	v_add_nc_u32_e32 v66, v66, v84
	s_delay_alu instid0(VALU_DEP_2) | instskip(NEXT) | instid1(VALU_DEP_2)
	v_xor_b32_e32 v83, 1, v83
	v_and_b32_e32 v11, 0xfffff, v66
	s_delay_alu instid0(VALU_DEP_1) | instskip(NEXT) | instid1(VALU_DEP_3)
	v_add_nc_u32_e32 v66, v11, v84
                                        ; implicit-def: $vgpr11
	v_cmpx_ne_u32_e64 v82, v83
	s_xor_b32 s10, exec_lo, s10
; %bb.10140:                            ;   in Loop: Header=BB6_9656 Depth=2
	s_delay_alu instid0(VALU_DEP_2) | instskip(SKIP_2) | instid1(VALU_DEP_2)
	v_cmp_lt_u32_e32 vcc_lo, 0xffffff, v66
	v_sub_nc_u32_e32 v11, v82, v83
	v_cndmask_b32_e64 v82, 0, 1, vcc_lo
	v_add_co_ci_u32_e32 v11, vcc_lo, 0, v11, vcc_lo
	s_delay_alu instid0(VALU_DEP_2)
	v_lshrrev_b32_e32 v66, v82, v66
; %bb.10141:                            ;   in Loop: Header=BB6_9656 Depth=2
	s_and_not1_saveexec_b32 s10, s10
; %bb.10142:                            ;   in Loop: Header=BB6_9656 Depth=2
	s_delay_alu instid0(VALU_DEP_1)
	v_bfe_u32 v11, v66, 23, 1
; %bb.10143:                            ;   in Loop: Header=BB6_9656 Depth=2
	s_or_b32 exec_lo, exec_lo, s10
	v_lshrrev_b32_e32 v66, 20, v66
	s_delay_alu instid0(VALU_DEP_2) | instskip(SKIP_2) | instid1(VALU_DEP_3)
	v_min_i32_e32 v82, 15, v11
	v_cmp_gt_i32_e32 vcc_lo, 16, v11
	v_lshrrev_b32_e32 v10, 24, v10
	v_lshlrev_b32_e32 v82, 3, v82
	v_cndmask_b32_e32 v66, 7, v66, vcc_lo
	s_delay_alu instid0(VALU_DEP_3) | instskip(NEXT) | instid1(VALU_DEP_3)
	v_and_b32_e32 v10, 0x80, v10
	v_and_b32_e32 v82, 0xf8, v82
	s_delay_alu instid0(VALU_DEP_3) | instskip(SKIP_1) | instid1(VALU_DEP_2)
	v_and_b32_e32 v83, 7, v66
	v_or_b32_e32 v11, v11, v66
	v_or3_b32 v10, v10, v82, v83
	s_delay_alu instid0(VALU_DEP_2) | instskip(NEXT) | instid1(VALU_DEP_2)
	v_cmp_ne_u32_e32 vcc_lo, 0, v11
	v_lshlrev_b32_e32 v10, 8, v10
	s_delay_alu instid0(VALU_DEP_1)
	v_cndmask_b32_e32 v166, 0, v10, vcc_lo
.LBB6_10144:                            ;   in Loop: Header=BB6_9656 Depth=2
	s_or_b32 exec_lo, exec_lo, s24
.LBB6_10145:                            ;   in Loop: Header=BB6_9656 Depth=2
	s_delay_alu instid0(SALU_CYCLE_1) | instskip(SKIP_3) | instid1(VALU_DEP_1)
	s_or_b32 exec_lo, exec_lo, s23
	v_and_b32_e32 v11, 0xff, v12
	s_mov_b32 s10, 0
	s_mov_b32 s24, exec_lo
                                        ; implicit-def: $sgpr23
	v_cmpx_lt_i16_e32 0x7f, v11
	s_xor_b32 s24, exec_lo, s24
	s_cbranch_execnz .LBB6_11359
; %bb.10146:                            ;   in Loop: Header=BB6_9656 Depth=2
	s_or_saveexec_b32 s24, s24
	v_mov_b32_e32 v10, s23
	s_xor_b32 exec_lo, exec_lo, s24
	s_cbranch_execnz .LBB6_11362
.LBB6_10147:                            ;   in Loop: Header=BB6_9656 Depth=2
	s_or_b32 exec_lo, exec_lo, s24
	s_and_saveexec_b32 s23, s10
	s_cbranch_execz .LBB6_10149
.LBB6_10148:                            ;   in Loop: Header=BB6_9656 Depth=2
	v_bfe_u32 v82, v12, 3, 4
	s_delay_alu instid0(VALU_DEP_1) | instskip(SKIP_1) | instid1(VALU_DEP_1)
	v_cmp_eq_u32_e32 vcc_lo, 0, v82
	v_and_b32_e32 v10, 7, v12
	v_clz_i32_u32_e32 v11, v10
	s_delay_alu instid0(VALU_DEP_1) | instskip(NEXT) | instid1(VALU_DEP_1)
	v_min_u32_e32 v11, 32, v11
	v_subrev_nc_u32_e32 v66, 28, v11
	v_sub_nc_u32_e32 v11, 29, v11
	s_delay_alu instid0(VALU_DEP_2) | instskip(NEXT) | instid1(VALU_DEP_1)
	v_lshlrev_b32_e32 v66, v66, v12
	v_dual_cndmask_b32 v11, v82, v11 :: v_dual_and_b32 v66, 7, v66
	v_lshlrev_b32_e32 v83, 24, v12
	s_delay_alu instid0(VALU_DEP_2) | instskip(NEXT) | instid1(VALU_DEP_3)
	v_lshl_add_u32 v11, v11, 23, 0x3b800000
	v_cndmask_b32_e32 v10, v10, v66, vcc_lo
	s_delay_alu instid0(VALU_DEP_3) | instskip(NEXT) | instid1(VALU_DEP_2)
	v_and_b32_e32 v66, 0x80000000, v83
	v_lshlrev_b32_e32 v10, 20, v10
	s_delay_alu instid0(VALU_DEP_1)
	v_or3_b32 v10, v66, v11, v10
.LBB6_10149:                            ;   in Loop: Header=BB6_9656 Depth=2
	s_or_b32 exec_lo, exec_lo, s23
	s_delay_alu instid0(VALU_DEP_1) | instskip(SKIP_1) | instid1(VALU_DEP_1)
	v_dual_mul_f32 v10, s22, v10 :: v_dual_mov_b32 v167, 0x80
	s_mov_b32 s23, exec_lo
	v_and_b32_e32 v11, 0x7f800000, v10
	s_delay_alu instid0(VALU_DEP_1)
	v_cmpx_ne_u32_e32 0x7f800000, v11
	s_cbranch_execz .LBB6_10157
; %bb.10150:                            ;   in Loop: Header=BB6_9656 Depth=2
	v_mov_b32_e32 v167, 0
	s_mov_b32 s24, exec_lo
	v_cmpx_ne_u32_e32 0, v10
	s_cbranch_execz .LBB6_10156
; %bb.10151:                            ;   in Loop: Header=BB6_9656 Depth=2
	v_bfe_u32 v11, v10, 23, 8
	v_and_b32_e32 v66, 0x7fffff, v10
	s_delay_alu instid0(VALU_DEP_2) | instskip(SKIP_1) | instid1(VALU_DEP_3)
	v_sub_nc_u32_e32 v82, 0x78, v11
	v_cmp_gt_u32_e32 vcc_lo, 0x79, v11
	v_or_b32_e32 v83, 0x800000, v66
	s_delay_alu instid0(VALU_DEP_3) | instskip(SKIP_2) | instid1(VALU_DEP_3)
	v_cndmask_b32_e32 v82, 0, v82, vcc_lo
	v_cmp_eq_u32_e32 vcc_lo, 0, v11
	v_add_nc_u32_e32 v11, 0xffffff89, v11
	v_cndmask_b32_e64 v82, v82, 0x77, vcc_lo
	v_cndmask_b32_e32 v66, v83, v66, vcc_lo
	s_delay_alu instid0(VALU_DEP_3) | instskip(NEXT) | instid1(VALU_DEP_3)
	v_cndmask_b32_e64 v11, v11, 0xffffff8a, vcc_lo
	v_lshl_add_u32 v83, 0x100000, v82, -1
	s_delay_alu instid0(VALU_DEP_3) | instskip(SKIP_1) | instid1(VALU_DEP_4)
	v_lshrrev_b32_e32 v84, v82, v66
	v_lshlrev_b32_e64 v87, v82, 0x80000
	v_add_nc_u32_e32 v82, v82, v11
	s_delay_alu instid0(VALU_DEP_4) | instskip(NEXT) | instid1(VALU_DEP_4)
	v_and_b32_e32 v66, v83, v66
	v_bfe_u32 v86, v84, 20, 1
	s_delay_alu instid0(VALU_DEP_2) | instskip(NEXT) | instid1(VALU_DEP_2)
	v_cmp_eq_u32_e64 s10, v66, v87
	v_add_nc_u32_e32 v83, -1, v86
	s_delay_alu instid0(VALU_DEP_1) | instskip(SKIP_2) | instid1(VALU_DEP_2)
	v_cndmask_b32_e64 v66, 0, v83, s10
	v_lshrrev_b32_e32 v83, 23, v84
	s_mov_b32 s10, exec_lo
	v_add_nc_u32_e32 v66, v66, v84
	s_delay_alu instid0(VALU_DEP_2) | instskip(NEXT) | instid1(VALU_DEP_2)
	v_xor_b32_e32 v83, 1, v83
	v_and_b32_e32 v11, 0xfffff, v66
	s_delay_alu instid0(VALU_DEP_1) | instskip(NEXT) | instid1(VALU_DEP_3)
	v_add_nc_u32_e32 v66, v11, v84
                                        ; implicit-def: $vgpr11
	v_cmpx_ne_u32_e64 v82, v83
	s_xor_b32 s10, exec_lo, s10
; %bb.10152:                            ;   in Loop: Header=BB6_9656 Depth=2
	s_delay_alu instid0(VALU_DEP_2) | instskip(SKIP_2) | instid1(VALU_DEP_2)
	v_cmp_lt_u32_e32 vcc_lo, 0xffffff, v66
	v_sub_nc_u32_e32 v11, v82, v83
	v_cndmask_b32_e64 v82, 0, 1, vcc_lo
	v_add_co_ci_u32_e32 v11, vcc_lo, 0, v11, vcc_lo
	s_delay_alu instid0(VALU_DEP_2)
	v_lshrrev_b32_e32 v66, v82, v66
; %bb.10153:                            ;   in Loop: Header=BB6_9656 Depth=2
	s_and_not1_saveexec_b32 s10, s10
; %bb.10154:                            ;   in Loop: Header=BB6_9656 Depth=2
	s_delay_alu instid0(VALU_DEP_1)
	v_bfe_u32 v11, v66, 23, 1
; %bb.10155:                            ;   in Loop: Header=BB6_9656 Depth=2
	s_or_b32 exec_lo, exec_lo, s10
	v_lshrrev_b32_e32 v66, 20, v66
	s_delay_alu instid0(VALU_DEP_2) | instskip(SKIP_2) | instid1(VALU_DEP_4)
	v_cmp_gt_i32_e32 vcc_lo, 16, v11
	v_lshrrev_b32_e32 v10, 24, v10
	v_min_i32_e32 v82, 15, v11
	v_cndmask_b32_e32 v66, 7, v66, vcc_lo
	s_delay_alu instid0(VALU_DEP_3) | instskip(NEXT) | instid1(VALU_DEP_3)
	v_and_b32_e32 v10, 0x80, v10
	v_lshlrev_b32_e32 v82, 3, v82
	s_delay_alu instid0(VALU_DEP_3) | instskip(SKIP_1) | instid1(VALU_DEP_2)
	v_and_b32_e32 v83, 7, v66
	v_or_b32_e32 v11, v11, v66
	v_or3_b32 v10, v82, v10, v83
	s_delay_alu instid0(VALU_DEP_2) | instskip(NEXT) | instid1(VALU_DEP_2)
	v_cmp_ne_u32_e32 vcc_lo, 0, v11
	v_cndmask_b32_e32 v167, 0, v10, vcc_lo
.LBB6_10156:                            ;   in Loop: Header=BB6_9656 Depth=2
	s_or_b32 exec_lo, exec_lo, s24
.LBB6_10157:                            ;   in Loop: Header=BB6_9656 Depth=2
	s_delay_alu instid0(SALU_CYCLE_1) | instskip(SKIP_3) | instid1(VALU_DEP_1)
	s_or_b32 exec_lo, exec_lo, s23
	v_lshrrev_b16 v10, 8, v12
	s_mov_b32 s10, 0
	s_mov_b32 s24, exec_lo
                                        ; implicit-def: $sgpr23
	v_cmpx_lt_i16_e32 0x7f, v10
	s_xor_b32 s24, exec_lo, s24
	s_cbranch_execnz .LBB6_11363
; %bb.10158:                            ;   in Loop: Header=BB6_9656 Depth=2
	s_or_saveexec_b32 s24, s24
	v_mov_b32_e32 v11, s23
	s_xor_b32 exec_lo, exec_lo, s24
	s_cbranch_execnz .LBB6_11366
.LBB6_10159:                            ;   in Loop: Header=BB6_9656 Depth=2
	s_or_b32 exec_lo, exec_lo, s24
	s_and_saveexec_b32 s23, s10
	s_cbranch_execz .LBB6_10161
.LBB6_10160:                            ;   in Loop: Header=BB6_9656 Depth=2
	v_and_b32_e32 v11, 0xffff, v10
	v_lshlrev_b32_e32 v10, 24, v10
	s_delay_alu instid0(VALU_DEP_2) | instskip(NEXT) | instid1(VALU_DEP_2)
	v_and_b32_e32 v66, 7, v11
	v_and_b32_e32 v10, 0x80000000, v10
	s_delay_alu instid0(VALU_DEP_2) | instskip(NEXT) | instid1(VALU_DEP_1)
	v_clz_i32_u32_e32 v82, v66
	v_min_u32_e32 v82, 32, v82
	s_delay_alu instid0(VALU_DEP_1) | instskip(SKIP_1) | instid1(VALU_DEP_2)
	v_subrev_nc_u32_e32 v83, 28, v82
	v_sub_nc_u32_e32 v82, 29, v82
	v_lshlrev_b32_e32 v83, v83, v11
	v_bfe_u32 v11, v11, 3, 4
	s_delay_alu instid0(VALU_DEP_2) | instskip(NEXT) | instid1(VALU_DEP_2)
	v_and_b32_e32 v83, 7, v83
	v_cmp_eq_u32_e32 vcc_lo, 0, v11
	s_delay_alu instid0(VALU_DEP_2) | instskip(NEXT) | instid1(VALU_DEP_1)
	v_dual_cndmask_b32 v11, v11, v82 :: v_dual_cndmask_b32 v66, v66, v83
	v_lshl_add_u32 v11, v11, 23, 0x3b800000
	s_delay_alu instid0(VALU_DEP_2) | instskip(NEXT) | instid1(VALU_DEP_1)
	v_lshlrev_b32_e32 v66, 20, v66
	v_or3_b32 v11, v10, v11, v66
.LBB6_10161:                            ;   in Loop: Header=BB6_9656 Depth=2
	s_or_b32 exec_lo, exec_lo, s23
	s_delay_alu instid0(VALU_DEP_1) | instskip(SKIP_2) | instid1(VALU_DEP_2)
	v_mul_f32_e32 v10, s22, v11
	v_mov_b32_e32 v176, 0x80
	s_mov_b32 s23, exec_lo
	v_and_b32_e32 v11, 0x7f800000, v10
	s_delay_alu instid0(VALU_DEP_1)
	v_cmpx_ne_u32_e32 0x7f800000, v11
	s_cbranch_execz .LBB6_10169
; %bb.10162:                            ;   in Loop: Header=BB6_9656 Depth=2
	v_mov_b32_e32 v176, 0
	s_mov_b32 s24, exec_lo
	v_cmpx_ne_u32_e32 0, v10
	s_cbranch_execz .LBB6_10168
; %bb.10163:                            ;   in Loop: Header=BB6_9656 Depth=2
	v_bfe_u32 v11, v10, 23, 8
	v_and_b32_e32 v66, 0x7fffff, v10
	s_delay_alu instid0(VALU_DEP_2) | instskip(SKIP_1) | instid1(VALU_DEP_3)
	v_sub_nc_u32_e32 v82, 0x78, v11
	v_cmp_gt_u32_e32 vcc_lo, 0x79, v11
	v_or_b32_e32 v83, 0x800000, v66
	s_delay_alu instid0(VALU_DEP_3) | instskip(SKIP_2) | instid1(VALU_DEP_3)
	v_cndmask_b32_e32 v82, 0, v82, vcc_lo
	v_cmp_eq_u32_e32 vcc_lo, 0, v11
	v_add_nc_u32_e32 v11, 0xffffff89, v11
	v_cndmask_b32_e64 v82, v82, 0x77, vcc_lo
	v_cndmask_b32_e32 v66, v83, v66, vcc_lo
	s_delay_alu instid0(VALU_DEP_3) | instskip(NEXT) | instid1(VALU_DEP_3)
	v_cndmask_b32_e64 v11, v11, 0xffffff8a, vcc_lo
	v_lshl_add_u32 v83, 0x100000, v82, -1
	s_delay_alu instid0(VALU_DEP_3) | instskip(SKIP_1) | instid1(VALU_DEP_4)
	v_lshrrev_b32_e32 v84, v82, v66
	v_lshlrev_b32_e64 v87, v82, 0x80000
	v_add_nc_u32_e32 v82, v82, v11
	s_delay_alu instid0(VALU_DEP_4) | instskip(NEXT) | instid1(VALU_DEP_4)
	v_and_b32_e32 v66, v83, v66
	v_bfe_u32 v86, v84, 20, 1
	s_delay_alu instid0(VALU_DEP_2) | instskip(NEXT) | instid1(VALU_DEP_2)
	v_cmp_eq_u32_e64 s10, v66, v87
	v_add_nc_u32_e32 v83, -1, v86
	s_delay_alu instid0(VALU_DEP_1) | instskip(SKIP_2) | instid1(VALU_DEP_2)
	v_cndmask_b32_e64 v66, 0, v83, s10
	v_lshrrev_b32_e32 v83, 23, v84
	s_mov_b32 s10, exec_lo
	v_add_nc_u32_e32 v66, v66, v84
	s_delay_alu instid0(VALU_DEP_2) | instskip(NEXT) | instid1(VALU_DEP_2)
	v_xor_b32_e32 v83, 1, v83
	v_and_b32_e32 v11, 0xfffff, v66
	s_delay_alu instid0(VALU_DEP_1) | instskip(NEXT) | instid1(VALU_DEP_3)
	v_add_nc_u32_e32 v66, v11, v84
                                        ; implicit-def: $vgpr11
	v_cmpx_ne_u32_e64 v82, v83
	s_xor_b32 s10, exec_lo, s10
; %bb.10164:                            ;   in Loop: Header=BB6_9656 Depth=2
	s_delay_alu instid0(VALU_DEP_2) | instskip(SKIP_2) | instid1(VALU_DEP_2)
	v_cmp_lt_u32_e32 vcc_lo, 0xffffff, v66
	v_sub_nc_u32_e32 v11, v82, v83
	v_cndmask_b32_e64 v82, 0, 1, vcc_lo
	v_add_co_ci_u32_e32 v11, vcc_lo, 0, v11, vcc_lo
	s_delay_alu instid0(VALU_DEP_2)
	v_lshrrev_b32_e32 v66, v82, v66
; %bb.10165:                            ;   in Loop: Header=BB6_9656 Depth=2
	s_and_not1_saveexec_b32 s10, s10
; %bb.10166:                            ;   in Loop: Header=BB6_9656 Depth=2
	s_delay_alu instid0(VALU_DEP_1)
	v_bfe_u32 v11, v66, 23, 1
; %bb.10167:                            ;   in Loop: Header=BB6_9656 Depth=2
	s_or_b32 exec_lo, exec_lo, s10
	v_lshrrev_b32_e32 v66, 20, v66
	s_delay_alu instid0(VALU_DEP_2) | instskip(SKIP_2) | instid1(VALU_DEP_4)
	v_cmp_gt_i32_e32 vcc_lo, 16, v11
	v_lshrrev_b32_e32 v10, 24, v10
	v_min_i32_e32 v82, 15, v11
	v_cndmask_b32_e32 v66, 7, v66, vcc_lo
	s_delay_alu instid0(VALU_DEP_3) | instskip(NEXT) | instid1(VALU_DEP_3)
	v_and_b32_e32 v10, 0x80, v10
	v_lshlrev_b32_e32 v82, 3, v82
	s_delay_alu instid0(VALU_DEP_3) | instskip(SKIP_1) | instid1(VALU_DEP_2)
	v_and_b32_e32 v83, 7, v66
	v_or_b32_e32 v11, v11, v66
	v_or3_b32 v10, v82, v10, v83
	s_delay_alu instid0(VALU_DEP_2) | instskip(NEXT) | instid1(VALU_DEP_2)
	v_cmp_ne_u32_e32 vcc_lo, 0, v11
	v_cndmask_b32_e32 v176, 0, v10, vcc_lo
.LBB6_10168:                            ;   in Loop: Header=BB6_9656 Depth=2
	s_or_b32 exec_lo, exec_lo, s24
.LBB6_10169:                            ;   in Loop: Header=BB6_9656 Depth=2
	s_delay_alu instid0(SALU_CYCLE_1) | instskip(SKIP_3) | instid1(VALU_DEP_1)
	s_or_b32 exec_lo, exec_lo, s23
	v_lshrrev_b32_e32 v10, 16, v12
	s_mov_b32 s10, 0
	s_mov_b32 s24, exec_lo
                                        ; implicit-def: $sgpr23
	v_and_b32_e32 v66, 0xff, v10
	s_delay_alu instid0(VALU_DEP_1)
	v_cmpx_lt_i16_e32 0x7f, v66
	s_xor_b32 s24, exec_lo, s24
	s_cbranch_execnz .LBB6_11367
; %bb.10170:                            ;   in Loop: Header=BB6_9656 Depth=2
	s_or_saveexec_b32 s24, s24
	v_mov_b32_e32 v11, s23
	s_xor_b32 exec_lo, exec_lo, s24
	s_cbranch_execnz .LBB6_11370
.LBB6_10171:                            ;   in Loop: Header=BB6_9656 Depth=2
	s_or_b32 exec_lo, exec_lo, s24
	s_and_saveexec_b32 s23, s10
	s_cbranch_execz .LBB6_10173
.LBB6_10172:                            ;   in Loop: Header=BB6_9656 Depth=2
	v_bfe_u32 v11, v12, 16, 3
	s_delay_alu instid0(VALU_DEP_1) | instskip(NEXT) | instid1(VALU_DEP_1)
	v_clz_i32_u32_e32 v66, v11
	v_min_u32_e32 v66, 32, v66
	s_delay_alu instid0(VALU_DEP_1) | instskip(SKIP_1) | instid1(VALU_DEP_2)
	v_subrev_nc_u32_e32 v82, 28, v66
	v_sub_nc_u32_e32 v66, 29, v66
	v_lshlrev_b32_e32 v10, v82, v10
	v_bfe_u32 v82, v12, 19, 4
	s_delay_alu instid0(VALU_DEP_2) | instskip(NEXT) | instid1(VALU_DEP_2)
	v_and_b32_e32 v10, 7, v10
	v_cmp_eq_u32_e32 vcc_lo, 0, v82
	v_dual_cndmask_b32 v66, v82, v66 :: v_dual_lshlrev_b32 v83, 8, v12
	s_delay_alu instid0(VALU_DEP_1) | instskip(NEXT) | instid1(VALU_DEP_2)
	v_dual_cndmask_b32 v10, v11, v10 :: v_dual_and_b32 v11, 0x80000000, v83
	v_lshl_add_u32 v66, v66, 23, 0x3b800000
	s_delay_alu instid0(VALU_DEP_2) | instskip(NEXT) | instid1(VALU_DEP_1)
	v_lshlrev_b32_e32 v10, 20, v10
	v_or3_b32 v11, v11, v66, v10
.LBB6_10173:                            ;   in Loop: Header=BB6_9656 Depth=2
	s_or_b32 exec_lo, exec_lo, s23
	s_delay_alu instid0(VALU_DEP_1) | instskip(SKIP_1) | instid1(VALU_DEP_1)
	v_dual_mul_f32 v10, s22, v11 :: v_dual_mov_b32 v177, 0x80
	s_mov_b32 s23, exec_lo
	v_and_b32_e32 v11, 0x7f800000, v10
	s_delay_alu instid0(VALU_DEP_1)
	v_cmpx_ne_u32_e32 0x7f800000, v11
	s_cbranch_execz .LBB6_10181
; %bb.10174:                            ;   in Loop: Header=BB6_9656 Depth=2
	v_mov_b32_e32 v177, 0
	s_mov_b32 s24, exec_lo
	v_cmpx_ne_u32_e32 0, v10
	s_cbranch_execz .LBB6_10180
; %bb.10175:                            ;   in Loop: Header=BB6_9656 Depth=2
	v_bfe_u32 v11, v10, 23, 8
	v_and_b32_e32 v66, 0x7fffff, v10
	s_delay_alu instid0(VALU_DEP_2) | instskip(SKIP_1) | instid1(VALU_DEP_3)
	v_sub_nc_u32_e32 v82, 0x78, v11
	v_cmp_gt_u32_e32 vcc_lo, 0x79, v11
	v_or_b32_e32 v83, 0x800000, v66
	s_delay_alu instid0(VALU_DEP_3) | instskip(SKIP_2) | instid1(VALU_DEP_3)
	v_cndmask_b32_e32 v82, 0, v82, vcc_lo
	v_cmp_eq_u32_e32 vcc_lo, 0, v11
	v_add_nc_u32_e32 v11, 0xffffff89, v11
	v_cndmask_b32_e64 v82, v82, 0x77, vcc_lo
	v_cndmask_b32_e32 v66, v83, v66, vcc_lo
	s_delay_alu instid0(VALU_DEP_3) | instskip(NEXT) | instid1(VALU_DEP_3)
	v_cndmask_b32_e64 v11, v11, 0xffffff8a, vcc_lo
	v_lshl_add_u32 v83, 0x100000, v82, -1
	s_delay_alu instid0(VALU_DEP_3) | instskip(SKIP_1) | instid1(VALU_DEP_4)
	v_lshrrev_b32_e32 v84, v82, v66
	v_lshlrev_b32_e64 v87, v82, 0x80000
	v_add_nc_u32_e32 v82, v82, v11
	s_delay_alu instid0(VALU_DEP_4) | instskip(NEXT) | instid1(VALU_DEP_4)
	v_and_b32_e32 v66, v83, v66
	v_bfe_u32 v86, v84, 20, 1
	s_delay_alu instid0(VALU_DEP_2) | instskip(NEXT) | instid1(VALU_DEP_2)
	v_cmp_eq_u32_e64 s10, v66, v87
	v_add_nc_u32_e32 v83, -1, v86
	s_delay_alu instid0(VALU_DEP_1) | instskip(SKIP_2) | instid1(VALU_DEP_2)
	v_cndmask_b32_e64 v66, 0, v83, s10
	v_lshrrev_b32_e32 v83, 23, v84
	s_mov_b32 s10, exec_lo
	v_add_nc_u32_e32 v66, v66, v84
	s_delay_alu instid0(VALU_DEP_2) | instskip(NEXT) | instid1(VALU_DEP_2)
	v_xor_b32_e32 v83, 1, v83
	v_and_b32_e32 v11, 0xfffff, v66
	s_delay_alu instid0(VALU_DEP_1) | instskip(NEXT) | instid1(VALU_DEP_3)
	v_add_nc_u32_e32 v66, v11, v84
                                        ; implicit-def: $vgpr11
	v_cmpx_ne_u32_e64 v82, v83
	s_xor_b32 s10, exec_lo, s10
; %bb.10176:                            ;   in Loop: Header=BB6_9656 Depth=2
	s_delay_alu instid0(VALU_DEP_2) | instskip(SKIP_2) | instid1(VALU_DEP_2)
	v_cmp_lt_u32_e32 vcc_lo, 0xffffff, v66
	v_sub_nc_u32_e32 v11, v82, v83
	v_cndmask_b32_e64 v82, 0, 1, vcc_lo
	v_add_co_ci_u32_e32 v11, vcc_lo, 0, v11, vcc_lo
	s_delay_alu instid0(VALU_DEP_2)
	v_lshrrev_b32_e32 v66, v82, v66
; %bb.10177:                            ;   in Loop: Header=BB6_9656 Depth=2
	s_and_not1_saveexec_b32 s10, s10
; %bb.10178:                            ;   in Loop: Header=BB6_9656 Depth=2
	s_delay_alu instid0(VALU_DEP_1)
	v_bfe_u32 v11, v66, 23, 1
; %bb.10179:                            ;   in Loop: Header=BB6_9656 Depth=2
	s_or_b32 exec_lo, exec_lo, s10
	v_lshrrev_b32_e32 v66, 20, v66
	s_delay_alu instid0(VALU_DEP_2) | instskip(SKIP_2) | instid1(VALU_DEP_4)
	v_cmp_gt_i32_e32 vcc_lo, 16, v11
	v_lshrrev_b32_e32 v10, 24, v10
	v_min_i32_e32 v82, 15, v11
	v_cndmask_b32_e32 v66, 7, v66, vcc_lo
	s_delay_alu instid0(VALU_DEP_3) | instskip(NEXT) | instid1(VALU_DEP_3)
	v_and_b32_e32 v10, 0x80, v10
	v_lshlrev_b32_e32 v82, 3, v82
	s_delay_alu instid0(VALU_DEP_3) | instskip(SKIP_1) | instid1(VALU_DEP_2)
	v_and_b32_e32 v83, 7, v66
	v_or_b32_e32 v11, v11, v66
	v_or3_b32 v10, v82, v10, v83
	s_delay_alu instid0(VALU_DEP_2) | instskip(NEXT) | instid1(VALU_DEP_2)
	v_cmp_ne_u32_e32 vcc_lo, 0, v11
	v_cndmask_b32_e32 v177, 0, v10, vcc_lo
.LBB6_10180:                            ;   in Loop: Header=BB6_9656 Depth=2
	s_or_b32 exec_lo, exec_lo, s24
.LBB6_10181:                            ;   in Loop: Header=BB6_9656 Depth=2
	s_delay_alu instid0(SALU_CYCLE_1) | instskip(SKIP_3) | instid1(VALU_DEP_1)
	s_or_b32 exec_lo, exec_lo, s23
	v_lshrrev_b32_e32 v10, 24, v12
	s_mov_b32 s10, 0
	s_mov_b32 s24, exec_lo
                                        ; implicit-def: $sgpr23
	v_cmpx_lt_i16_e32 0x7f, v10
	s_xor_b32 s24, exec_lo, s24
	s_cbranch_execnz .LBB6_11371
; %bb.10182:                            ;   in Loop: Header=BB6_9656 Depth=2
	s_or_saveexec_b32 s24, s24
	v_mov_b32_e32 v11, s23
	s_xor_b32 exec_lo, exec_lo, s24
	s_cbranch_execnz .LBB6_11374
.LBB6_10183:                            ;   in Loop: Header=BB6_9656 Depth=2
	s_or_b32 exec_lo, exec_lo, s24
	s_and_saveexec_b32 s23, s10
	s_cbranch_execz .LBB6_10185
.LBB6_10184:                            ;   in Loop: Header=BB6_9656 Depth=2
	v_bfe_u32 v11, v12, 24, 3
	s_delay_alu instid0(VALU_DEP_1) | instskip(NEXT) | instid1(VALU_DEP_1)
	v_clz_i32_u32_e32 v66, v11
	v_min_u32_e32 v66, 32, v66
	s_delay_alu instid0(VALU_DEP_1) | instskip(SKIP_1) | instid1(VALU_DEP_2)
	v_subrev_nc_u32_e32 v82, 28, v66
	v_sub_nc_u32_e32 v66, 29, v66
	v_lshlrev_b32_e32 v10, v82, v10
	v_bfe_u32 v82, v12, 27, 4
	s_delay_alu instid0(VALU_DEP_2) | instskip(NEXT) | instid1(VALU_DEP_2)
	v_and_b32_e32 v10, 7, v10
	v_cmp_eq_u32_e32 vcc_lo, 0, v82
	v_cndmask_b32_e32 v66, v82, v66, vcc_lo
	s_delay_alu instid0(VALU_DEP_3) | instskip(NEXT) | instid1(VALU_DEP_2)
	v_dual_cndmask_b32 v10, v11, v10 :: v_dual_and_b32 v11, 0x80000000, v12
	v_lshl_add_u32 v12, v66, 23, 0x3b800000
	s_delay_alu instid0(VALU_DEP_2) | instskip(NEXT) | instid1(VALU_DEP_1)
	v_lshlrev_b32_e32 v10, 20, v10
	v_or3_b32 v11, v11, v12, v10
.LBB6_10185:                            ;   in Loop: Header=BB6_9656 Depth=2
	s_or_b32 exec_lo, exec_lo, s23
	s_delay_alu instid0(VALU_DEP_1) | instskip(SKIP_2) | instid1(VALU_DEP_2)
	v_mul_f32_e32 v10, s22, v11
	v_mov_b32_e32 v178, 0x80
	s_mov_b32 s23, exec_lo
	v_and_b32_e32 v11, 0x7f800000, v10
	s_delay_alu instid0(VALU_DEP_1)
	v_cmpx_ne_u32_e32 0x7f800000, v11
	s_cbranch_execz .LBB6_10193
; %bb.10186:                            ;   in Loop: Header=BB6_9656 Depth=2
	v_mov_b32_e32 v178, 0
	s_mov_b32 s24, exec_lo
	v_cmpx_ne_u32_e32 0, v10
	s_cbranch_execz .LBB6_10192
; %bb.10187:                            ;   in Loop: Header=BB6_9656 Depth=2
	v_bfe_u32 v11, v10, 23, 8
	v_and_b32_e32 v12, 0x7fffff, v10
	s_delay_alu instid0(VALU_DEP_2) | instskip(SKIP_1) | instid1(VALU_DEP_3)
	v_sub_nc_u32_e32 v66, 0x78, v11
	v_cmp_gt_u32_e32 vcc_lo, 0x79, v11
	v_or_b32_e32 v82, 0x800000, v12
	s_delay_alu instid0(VALU_DEP_3) | instskip(SKIP_2) | instid1(VALU_DEP_3)
	v_cndmask_b32_e32 v66, 0, v66, vcc_lo
	v_cmp_eq_u32_e32 vcc_lo, 0, v11
	v_add_nc_u32_e32 v11, 0xffffff89, v11
	v_cndmask_b32_e64 v66, v66, 0x77, vcc_lo
	v_cndmask_b32_e32 v12, v82, v12, vcc_lo
	s_delay_alu instid0(VALU_DEP_3) | instskip(NEXT) | instid1(VALU_DEP_3)
	v_cndmask_b32_e64 v11, v11, 0xffffff8a, vcc_lo
	v_lshl_add_u32 v82, 0x100000, v66, -1
	s_delay_alu instid0(VALU_DEP_3) | instskip(SKIP_1) | instid1(VALU_DEP_4)
	v_lshrrev_b32_e32 v83, v66, v12
	v_lshlrev_b32_e64 v86, v66, 0x80000
	v_add_nc_u32_e32 v66, v66, v11
	s_delay_alu instid0(VALU_DEP_4) | instskip(NEXT) | instid1(VALU_DEP_4)
	v_and_b32_e32 v12, v82, v12
	v_bfe_u32 v84, v83, 20, 1
	s_delay_alu instid0(VALU_DEP_2) | instskip(NEXT) | instid1(VALU_DEP_2)
	v_cmp_eq_u32_e64 s10, v12, v86
	v_add_nc_u32_e32 v82, -1, v84
	s_delay_alu instid0(VALU_DEP_1) | instskip(SKIP_2) | instid1(VALU_DEP_2)
	v_cndmask_b32_e64 v12, 0, v82, s10
	v_lshrrev_b32_e32 v82, 23, v83
	s_mov_b32 s10, exec_lo
	v_add_nc_u32_e32 v12, v12, v83
	s_delay_alu instid0(VALU_DEP_2) | instskip(NEXT) | instid1(VALU_DEP_2)
	v_xor_b32_e32 v82, 1, v82
	v_and_b32_e32 v11, 0xfffff, v12
	s_delay_alu instid0(VALU_DEP_1) | instskip(NEXT) | instid1(VALU_DEP_3)
	v_add_nc_u32_e32 v12, v11, v83
                                        ; implicit-def: $vgpr11
	v_cmpx_ne_u32_e64 v66, v82
	s_xor_b32 s10, exec_lo, s10
; %bb.10188:                            ;   in Loop: Header=BB6_9656 Depth=2
	s_delay_alu instid0(VALU_DEP_2) | instskip(SKIP_2) | instid1(VALU_DEP_2)
	v_cmp_lt_u32_e32 vcc_lo, 0xffffff, v12
	v_sub_nc_u32_e32 v11, v66, v82
	v_cndmask_b32_e64 v66, 0, 1, vcc_lo
	v_add_co_ci_u32_e32 v11, vcc_lo, 0, v11, vcc_lo
	s_delay_alu instid0(VALU_DEP_2)
	v_lshrrev_b32_e32 v12, v66, v12
; %bb.10189:                            ;   in Loop: Header=BB6_9656 Depth=2
	s_and_not1_saveexec_b32 s10, s10
; %bb.10190:                            ;   in Loop: Header=BB6_9656 Depth=2
	s_delay_alu instid0(VALU_DEP_1)
	v_bfe_u32 v11, v12, 23, 1
; %bb.10191:                            ;   in Loop: Header=BB6_9656 Depth=2
	s_or_b32 exec_lo, exec_lo, s10
	v_lshrrev_b32_e32 v12, 20, v12
	s_delay_alu instid0(VALU_DEP_2) | instskip(SKIP_2) | instid1(VALU_DEP_4)
	v_cmp_gt_i32_e32 vcc_lo, 16, v11
	v_lshrrev_b32_e32 v10, 24, v10
	v_min_i32_e32 v66, 15, v11
	v_cndmask_b32_e32 v12, 7, v12, vcc_lo
	s_delay_alu instid0(VALU_DEP_3) | instskip(NEXT) | instid1(VALU_DEP_3)
	v_and_b32_e32 v10, 0x80, v10
	v_lshlrev_b32_e32 v66, 3, v66
	s_delay_alu instid0(VALU_DEP_3) | instskip(SKIP_1) | instid1(VALU_DEP_2)
	v_and_b32_e32 v82, 7, v12
	v_or_b32_e32 v11, v11, v12
	v_or3_b32 v10, v66, v10, v82
	s_delay_alu instid0(VALU_DEP_2) | instskip(NEXT) | instid1(VALU_DEP_2)
	v_cmp_ne_u32_e32 vcc_lo, 0, v11
	v_cndmask_b32_e32 v178, 0, v10, vcc_lo
.LBB6_10192:                            ;   in Loop: Header=BB6_9656 Depth=2
	s_or_b32 exec_lo, exec_lo, s24
.LBB6_10193:                            ;   in Loop: Header=BB6_9656 Depth=2
	s_delay_alu instid0(SALU_CYCLE_1) | instskip(SKIP_3) | instid1(VALU_DEP_1)
	s_or_b32 exec_lo, exec_lo, s23
	v_and_b32_e32 v11, 0xff, v13
	s_mov_b32 s10, 0
	s_mov_b32 s24, exec_lo
                                        ; implicit-def: $sgpr23
	v_cmpx_lt_i16_e32 0x7f, v11
	s_xor_b32 s24, exec_lo, s24
	s_cbranch_execnz .LBB6_11375
; %bb.10194:                            ;   in Loop: Header=BB6_9656 Depth=2
	s_or_saveexec_b32 s24, s24
	v_mov_b32_e32 v10, s23
	s_xor_b32 exec_lo, exec_lo, s24
	s_cbranch_execnz .LBB6_11378
.LBB6_10195:                            ;   in Loop: Header=BB6_9656 Depth=2
	s_or_b32 exec_lo, exec_lo, s24
	s_and_saveexec_b32 s23, s10
	s_cbranch_execz .LBB6_10197
.LBB6_10196:                            ;   in Loop: Header=BB6_9656 Depth=2
	v_bfe_u32 v66, v13, 3, 4
	v_lshlrev_b32_e32 v82, 24, v13
	s_delay_alu instid0(VALU_DEP_2) | instskip(SKIP_1) | instid1(VALU_DEP_1)
	v_cmp_eq_u32_e32 vcc_lo, 0, v66
	v_and_b32_e32 v10, 7, v13
	v_clz_i32_u32_e32 v11, v10
	s_delay_alu instid0(VALU_DEP_1) | instskip(NEXT) | instid1(VALU_DEP_1)
	v_min_u32_e32 v11, 32, v11
	v_subrev_nc_u32_e32 v12, 28, v11
	v_sub_nc_u32_e32 v11, 29, v11
	s_delay_alu instid0(VALU_DEP_1) | instskip(NEXT) | instid1(VALU_DEP_1)
	v_dual_cndmask_b32 v11, v66, v11 :: v_dual_lshlrev_b32 v12, v12, v13
	v_and_b32_e32 v12, 7, v12
	s_delay_alu instid0(VALU_DEP_2) | instskip(NEXT) | instid1(VALU_DEP_2)
	v_lshl_add_u32 v11, v11, 23, 0x3b800000
	v_cndmask_b32_e32 v10, v10, v12, vcc_lo
	v_and_b32_e32 v12, 0x80000000, v82
	s_delay_alu instid0(VALU_DEP_2) | instskip(NEXT) | instid1(VALU_DEP_1)
	v_lshlrev_b32_e32 v10, 20, v10
	v_or3_b32 v10, v12, v11, v10
.LBB6_10197:                            ;   in Loop: Header=BB6_9656 Depth=2
	s_or_b32 exec_lo, exec_lo, s23
	s_delay_alu instid0(VALU_DEP_1) | instskip(SKIP_1) | instid1(VALU_DEP_1)
	v_dual_mul_f32 v10, s22, v10 :: v_dual_mov_b32 v179, 0x80
	s_mov_b32 s23, exec_lo
	v_and_b32_e32 v11, 0x7f800000, v10
	s_delay_alu instid0(VALU_DEP_1)
	v_cmpx_ne_u32_e32 0x7f800000, v11
	s_cbranch_execz .LBB6_10205
; %bb.10198:                            ;   in Loop: Header=BB6_9656 Depth=2
	v_mov_b32_e32 v179, 0
	s_mov_b32 s24, exec_lo
	v_cmpx_ne_u32_e32 0, v10
	s_cbranch_execz .LBB6_10204
; %bb.10199:                            ;   in Loop: Header=BB6_9656 Depth=2
	v_bfe_u32 v11, v10, 23, 8
	v_and_b32_e32 v12, 0x7fffff, v10
	s_delay_alu instid0(VALU_DEP_2) | instskip(SKIP_1) | instid1(VALU_DEP_3)
	v_sub_nc_u32_e32 v66, 0x78, v11
	v_cmp_gt_u32_e32 vcc_lo, 0x79, v11
	v_or_b32_e32 v82, 0x800000, v12
	s_delay_alu instid0(VALU_DEP_3) | instskip(SKIP_2) | instid1(VALU_DEP_3)
	v_cndmask_b32_e32 v66, 0, v66, vcc_lo
	v_cmp_eq_u32_e32 vcc_lo, 0, v11
	v_add_nc_u32_e32 v11, 0xffffff89, v11
	v_cndmask_b32_e64 v66, v66, 0x77, vcc_lo
	v_cndmask_b32_e32 v12, v82, v12, vcc_lo
	s_delay_alu instid0(VALU_DEP_3) | instskip(NEXT) | instid1(VALU_DEP_3)
	v_cndmask_b32_e64 v11, v11, 0xffffff8a, vcc_lo
	v_lshl_add_u32 v82, 0x100000, v66, -1
	s_delay_alu instid0(VALU_DEP_3) | instskip(SKIP_1) | instid1(VALU_DEP_4)
	v_lshrrev_b32_e32 v83, v66, v12
	v_lshlrev_b32_e64 v86, v66, 0x80000
	v_add_nc_u32_e32 v66, v66, v11
	s_delay_alu instid0(VALU_DEP_4) | instskip(NEXT) | instid1(VALU_DEP_4)
	v_and_b32_e32 v12, v82, v12
	v_bfe_u32 v84, v83, 20, 1
	s_delay_alu instid0(VALU_DEP_2) | instskip(NEXT) | instid1(VALU_DEP_2)
	v_cmp_eq_u32_e64 s10, v12, v86
	v_add_nc_u32_e32 v82, -1, v84
	s_delay_alu instid0(VALU_DEP_1) | instskip(SKIP_2) | instid1(VALU_DEP_2)
	v_cndmask_b32_e64 v12, 0, v82, s10
	v_lshrrev_b32_e32 v82, 23, v83
	s_mov_b32 s10, exec_lo
	v_add_nc_u32_e32 v12, v12, v83
	s_delay_alu instid0(VALU_DEP_2) | instskip(NEXT) | instid1(VALU_DEP_2)
	v_xor_b32_e32 v82, 1, v82
	v_and_b32_e32 v11, 0xfffff, v12
	s_delay_alu instid0(VALU_DEP_1) | instskip(NEXT) | instid1(VALU_DEP_3)
	v_add_nc_u32_e32 v12, v11, v83
                                        ; implicit-def: $vgpr11
	v_cmpx_ne_u32_e64 v66, v82
	s_xor_b32 s10, exec_lo, s10
; %bb.10200:                            ;   in Loop: Header=BB6_9656 Depth=2
	s_delay_alu instid0(VALU_DEP_2) | instskip(SKIP_2) | instid1(VALU_DEP_2)
	v_cmp_lt_u32_e32 vcc_lo, 0xffffff, v12
	v_sub_nc_u32_e32 v11, v66, v82
	v_cndmask_b32_e64 v66, 0, 1, vcc_lo
	v_add_co_ci_u32_e32 v11, vcc_lo, 0, v11, vcc_lo
	s_delay_alu instid0(VALU_DEP_2)
	v_lshrrev_b32_e32 v12, v66, v12
; %bb.10201:                            ;   in Loop: Header=BB6_9656 Depth=2
	s_and_not1_saveexec_b32 s10, s10
; %bb.10202:                            ;   in Loop: Header=BB6_9656 Depth=2
	s_delay_alu instid0(VALU_DEP_1)
	v_bfe_u32 v11, v12, 23, 1
; %bb.10203:                            ;   in Loop: Header=BB6_9656 Depth=2
	s_or_b32 exec_lo, exec_lo, s10
	v_lshrrev_b32_e32 v12, 20, v12
	s_delay_alu instid0(VALU_DEP_2) | instskip(SKIP_2) | instid1(VALU_DEP_3)
	v_min_i32_e32 v66, 15, v11
	v_cmp_gt_i32_e32 vcc_lo, 16, v11
	v_lshrrev_b32_e32 v10, 24, v10
	v_lshlrev_b32_e32 v66, 3, v66
	v_cndmask_b32_e32 v12, 7, v12, vcc_lo
	s_delay_alu instid0(VALU_DEP_3) | instskip(NEXT) | instid1(VALU_DEP_3)
	v_and_b32_e32 v10, 0x80, v10
	v_and_b32_e32 v66, 0xf8, v66
	s_delay_alu instid0(VALU_DEP_3) | instskip(SKIP_1) | instid1(VALU_DEP_2)
	v_and_b32_e32 v82, 7, v12
	v_or_b32_e32 v11, v11, v12
	v_or3_b32 v10, v66, v10, v82
	s_delay_alu instid0(VALU_DEP_2) | instskip(NEXT) | instid1(VALU_DEP_2)
	v_cmp_ne_u32_e32 vcc_lo, 0, v11
	v_cndmask_b32_e32 v179, 0, v10, vcc_lo
.LBB6_10204:                            ;   in Loop: Header=BB6_9656 Depth=2
	s_or_b32 exec_lo, exec_lo, s24
.LBB6_10205:                            ;   in Loop: Header=BB6_9656 Depth=2
	s_delay_alu instid0(SALU_CYCLE_1) | instskip(SKIP_3) | instid1(VALU_DEP_1)
	s_or_b32 exec_lo, exec_lo, s23
	v_lshrrev_b16 v10, 8, v13
	s_mov_b32 s10, 0
	s_mov_b32 s24, exec_lo
                                        ; implicit-def: $sgpr23
	v_cmpx_lt_i16_e32 0x7f, v10
	s_xor_b32 s24, exec_lo, s24
	s_cbranch_execnz .LBB6_11379
; %bb.10206:                            ;   in Loop: Header=BB6_9656 Depth=2
	s_or_saveexec_b32 s24, s24
	v_mov_b32_e32 v11, s23
	s_xor_b32 exec_lo, exec_lo, s24
	s_cbranch_execnz .LBB6_11382
.LBB6_10207:                            ;   in Loop: Header=BB6_9656 Depth=2
	s_or_b32 exec_lo, exec_lo, s24
	s_and_saveexec_b32 s23, s10
	s_cbranch_execz .LBB6_10209
.LBB6_10208:                            ;   in Loop: Header=BB6_9656 Depth=2
	v_and_b32_e32 v11, 0xffff, v10
	v_lshlrev_b32_e32 v10, 24, v10
	s_delay_alu instid0(VALU_DEP_2) | instskip(NEXT) | instid1(VALU_DEP_2)
	v_and_b32_e32 v12, 7, v11
	v_and_b32_e32 v10, 0x80000000, v10
	s_delay_alu instid0(VALU_DEP_2) | instskip(NEXT) | instid1(VALU_DEP_1)
	v_clz_i32_u32_e32 v66, v12
	v_min_u32_e32 v66, 32, v66
	s_delay_alu instid0(VALU_DEP_1) | instskip(SKIP_1) | instid1(VALU_DEP_2)
	v_subrev_nc_u32_e32 v82, 28, v66
	v_sub_nc_u32_e32 v66, 29, v66
	v_lshlrev_b32_e32 v82, v82, v11
	v_bfe_u32 v11, v11, 3, 4
	s_delay_alu instid0(VALU_DEP_2) | instskip(NEXT) | instid1(VALU_DEP_2)
	v_and_b32_e32 v82, 7, v82
	v_cmp_eq_u32_e32 vcc_lo, 0, v11
	v_cndmask_b32_e32 v11, v11, v66, vcc_lo
	s_delay_alu instid0(VALU_DEP_3) | instskip(NEXT) | instid1(VALU_DEP_2)
	v_cndmask_b32_e32 v12, v12, v82, vcc_lo
	v_lshl_add_u32 v11, v11, 23, 0x3b800000
	s_delay_alu instid0(VALU_DEP_2) | instskip(NEXT) | instid1(VALU_DEP_1)
	v_lshlrev_b32_e32 v12, 20, v12
	v_or3_b32 v11, v10, v11, v12
.LBB6_10209:                            ;   in Loop: Header=BB6_9656 Depth=2
	s_or_b32 exec_lo, exec_lo, s23
	s_delay_alu instid0(VALU_DEP_1) | instskip(SKIP_2) | instid1(VALU_DEP_2)
	v_mul_f32_e32 v10, s22, v11
	v_mov_b32_e32 v180, 0x8000
	s_mov_b32 s23, exec_lo
	v_and_b32_e32 v11, 0x7f800000, v10
	s_delay_alu instid0(VALU_DEP_1)
	v_cmpx_ne_u32_e32 0x7f800000, v11
	s_cbranch_execz .LBB6_10217
; %bb.10210:                            ;   in Loop: Header=BB6_9656 Depth=2
	v_mov_b32_e32 v180, 0
	s_mov_b32 s24, exec_lo
	v_cmpx_ne_u32_e32 0, v10
	s_cbranch_execz .LBB6_10216
; %bb.10211:                            ;   in Loop: Header=BB6_9656 Depth=2
	v_bfe_u32 v11, v10, 23, 8
	v_and_b32_e32 v12, 0x7fffff, v10
	s_delay_alu instid0(VALU_DEP_2) | instskip(SKIP_1) | instid1(VALU_DEP_3)
	v_sub_nc_u32_e32 v66, 0x78, v11
	v_cmp_gt_u32_e32 vcc_lo, 0x79, v11
	v_or_b32_e32 v82, 0x800000, v12
	s_delay_alu instid0(VALU_DEP_3) | instskip(SKIP_2) | instid1(VALU_DEP_3)
	v_cndmask_b32_e32 v66, 0, v66, vcc_lo
	v_cmp_eq_u32_e32 vcc_lo, 0, v11
	v_add_nc_u32_e32 v11, 0xffffff89, v11
	v_cndmask_b32_e64 v66, v66, 0x77, vcc_lo
	v_cndmask_b32_e32 v12, v82, v12, vcc_lo
	s_delay_alu instid0(VALU_DEP_3) | instskip(NEXT) | instid1(VALU_DEP_3)
	v_cndmask_b32_e64 v11, v11, 0xffffff8a, vcc_lo
	v_lshl_add_u32 v82, 0x100000, v66, -1
	s_delay_alu instid0(VALU_DEP_3) | instskip(SKIP_1) | instid1(VALU_DEP_4)
	v_lshrrev_b32_e32 v83, v66, v12
	v_lshlrev_b32_e64 v86, v66, 0x80000
	v_add_nc_u32_e32 v66, v66, v11
	s_delay_alu instid0(VALU_DEP_4) | instskip(NEXT) | instid1(VALU_DEP_4)
	v_and_b32_e32 v12, v82, v12
	v_bfe_u32 v84, v83, 20, 1
	s_delay_alu instid0(VALU_DEP_2) | instskip(NEXT) | instid1(VALU_DEP_2)
	v_cmp_eq_u32_e64 s10, v12, v86
	v_add_nc_u32_e32 v82, -1, v84
	s_delay_alu instid0(VALU_DEP_1) | instskip(SKIP_2) | instid1(VALU_DEP_2)
	v_cndmask_b32_e64 v12, 0, v82, s10
	v_lshrrev_b32_e32 v82, 23, v83
	s_mov_b32 s10, exec_lo
	v_add_nc_u32_e32 v12, v12, v83
	s_delay_alu instid0(VALU_DEP_2) | instskip(NEXT) | instid1(VALU_DEP_2)
	v_xor_b32_e32 v82, 1, v82
	v_and_b32_e32 v11, 0xfffff, v12
	s_delay_alu instid0(VALU_DEP_1) | instskip(NEXT) | instid1(VALU_DEP_3)
	v_add_nc_u32_e32 v12, v11, v83
                                        ; implicit-def: $vgpr11
	v_cmpx_ne_u32_e64 v66, v82
	s_xor_b32 s10, exec_lo, s10
; %bb.10212:                            ;   in Loop: Header=BB6_9656 Depth=2
	s_delay_alu instid0(VALU_DEP_2) | instskip(SKIP_2) | instid1(VALU_DEP_2)
	v_cmp_lt_u32_e32 vcc_lo, 0xffffff, v12
	v_sub_nc_u32_e32 v11, v66, v82
	v_cndmask_b32_e64 v66, 0, 1, vcc_lo
	v_add_co_ci_u32_e32 v11, vcc_lo, 0, v11, vcc_lo
	s_delay_alu instid0(VALU_DEP_2)
	v_lshrrev_b32_e32 v12, v66, v12
; %bb.10213:                            ;   in Loop: Header=BB6_9656 Depth=2
	s_and_not1_saveexec_b32 s10, s10
; %bb.10214:                            ;   in Loop: Header=BB6_9656 Depth=2
	s_delay_alu instid0(VALU_DEP_1)
	v_bfe_u32 v11, v12, 23, 1
; %bb.10215:                            ;   in Loop: Header=BB6_9656 Depth=2
	s_or_b32 exec_lo, exec_lo, s10
	v_lshrrev_b32_e32 v12, 20, v12
	s_delay_alu instid0(VALU_DEP_2) | instskip(SKIP_2) | instid1(VALU_DEP_3)
	v_min_i32_e32 v66, 15, v11
	v_cmp_gt_i32_e32 vcc_lo, 16, v11
	v_lshrrev_b32_e32 v10, 24, v10
	v_lshlrev_b32_e32 v66, 3, v66
	v_cndmask_b32_e32 v12, 7, v12, vcc_lo
	s_delay_alu instid0(VALU_DEP_3) | instskip(NEXT) | instid1(VALU_DEP_3)
	v_and_b32_e32 v10, 0x80, v10
	v_and_b32_e32 v66, 0xf8, v66
	s_delay_alu instid0(VALU_DEP_3) | instskip(SKIP_1) | instid1(VALU_DEP_2)
	v_and_b32_e32 v82, 7, v12
	v_or_b32_e32 v11, v11, v12
	v_or3_b32 v10, v10, v66, v82
	s_delay_alu instid0(VALU_DEP_2) | instskip(NEXT) | instid1(VALU_DEP_2)
	v_cmp_ne_u32_e32 vcc_lo, 0, v11
	v_lshlrev_b32_e32 v10, 8, v10
	s_delay_alu instid0(VALU_DEP_1)
	v_cndmask_b32_e32 v180, 0, v10, vcc_lo
.LBB6_10216:                            ;   in Loop: Header=BB6_9656 Depth=2
	s_or_b32 exec_lo, exec_lo, s24
.LBB6_10217:                            ;   in Loop: Header=BB6_9656 Depth=2
	s_delay_alu instid0(SALU_CYCLE_1) | instskip(SKIP_3) | instid1(VALU_DEP_1)
	s_or_b32 exec_lo, exec_lo, s23
	v_lshrrev_b32_e32 v10, 16, v13
	s_mov_b32 s10, 0
	s_mov_b32 s24, exec_lo
                                        ; implicit-def: $sgpr23
	v_and_b32_e32 v12, 0xff, v10
	s_delay_alu instid0(VALU_DEP_1)
	v_cmpx_lt_i16_e32 0x7f, v12
	s_xor_b32 s24, exec_lo, s24
	s_cbranch_execnz .LBB6_11383
; %bb.10218:                            ;   in Loop: Header=BB6_9656 Depth=2
	s_or_saveexec_b32 s24, s24
	v_mov_b32_e32 v11, s23
	s_xor_b32 exec_lo, exec_lo, s24
	s_cbranch_execnz .LBB6_11386
.LBB6_10219:                            ;   in Loop: Header=BB6_9656 Depth=2
	s_or_b32 exec_lo, exec_lo, s24
	s_and_saveexec_b32 s23, s10
	s_cbranch_execz .LBB6_10221
.LBB6_10220:                            ;   in Loop: Header=BB6_9656 Depth=2
	v_bfe_u32 v11, v13, 16, 3
	v_lshlrev_b32_e32 v82, 8, v13
	s_delay_alu instid0(VALU_DEP_2) | instskip(NEXT) | instid1(VALU_DEP_1)
	v_clz_i32_u32_e32 v12, v11
	v_min_u32_e32 v12, 32, v12
	s_delay_alu instid0(VALU_DEP_1) | instskip(SKIP_1) | instid1(VALU_DEP_2)
	v_subrev_nc_u32_e32 v66, 28, v12
	v_sub_nc_u32_e32 v12, 29, v12
	v_lshlrev_b32_e32 v10, v66, v10
	v_bfe_u32 v66, v13, 19, 4
	s_delay_alu instid0(VALU_DEP_2) | instskip(NEXT) | instid1(VALU_DEP_2)
	v_and_b32_e32 v10, 7, v10
	v_cmp_eq_u32_e32 vcc_lo, 0, v66
	v_cndmask_b32_e32 v12, v66, v12, vcc_lo
	s_delay_alu instid0(VALU_DEP_3) | instskip(SKIP_1) | instid1(VALU_DEP_3)
	v_cndmask_b32_e32 v10, v11, v10, vcc_lo
	v_and_b32_e32 v11, 0x80000000, v82
	v_lshl_add_u32 v12, v12, 23, 0x3b800000
	s_delay_alu instid0(VALU_DEP_3) | instskip(NEXT) | instid1(VALU_DEP_1)
	v_lshlrev_b32_e32 v10, 20, v10
	v_or3_b32 v11, v11, v12, v10
.LBB6_10221:                            ;   in Loop: Header=BB6_9656 Depth=2
	s_or_b32 exec_lo, exec_lo, s23
	s_delay_alu instid0(VALU_DEP_1) | instskip(SKIP_1) | instid1(VALU_DEP_1)
	v_dual_mul_f32 v10, s22, v11 :: v_dual_mov_b32 v181, 0x80
	s_mov_b32 s23, exec_lo
	v_and_b32_e32 v11, 0x7f800000, v10
	s_delay_alu instid0(VALU_DEP_1)
	v_cmpx_ne_u32_e32 0x7f800000, v11
	s_cbranch_execz .LBB6_10229
; %bb.10222:                            ;   in Loop: Header=BB6_9656 Depth=2
	v_mov_b32_e32 v181, 0
	s_mov_b32 s24, exec_lo
	v_cmpx_ne_u32_e32 0, v10
	s_cbranch_execz .LBB6_10228
; %bb.10223:                            ;   in Loop: Header=BB6_9656 Depth=2
	v_bfe_u32 v11, v10, 23, 8
	v_and_b32_e32 v12, 0x7fffff, v10
	s_delay_alu instid0(VALU_DEP_2) | instskip(SKIP_1) | instid1(VALU_DEP_3)
	v_sub_nc_u32_e32 v66, 0x78, v11
	v_cmp_gt_u32_e32 vcc_lo, 0x79, v11
	v_or_b32_e32 v82, 0x800000, v12
	s_delay_alu instid0(VALU_DEP_3) | instskip(SKIP_2) | instid1(VALU_DEP_3)
	v_cndmask_b32_e32 v66, 0, v66, vcc_lo
	v_cmp_eq_u32_e32 vcc_lo, 0, v11
	v_add_nc_u32_e32 v11, 0xffffff89, v11
	v_cndmask_b32_e64 v66, v66, 0x77, vcc_lo
	v_cndmask_b32_e32 v12, v82, v12, vcc_lo
	s_delay_alu instid0(VALU_DEP_3) | instskip(NEXT) | instid1(VALU_DEP_3)
	v_cndmask_b32_e64 v11, v11, 0xffffff8a, vcc_lo
	v_lshl_add_u32 v82, 0x100000, v66, -1
	s_delay_alu instid0(VALU_DEP_3) | instskip(SKIP_1) | instid1(VALU_DEP_4)
	v_lshrrev_b32_e32 v83, v66, v12
	v_lshlrev_b32_e64 v86, v66, 0x80000
	v_add_nc_u32_e32 v66, v66, v11
	s_delay_alu instid0(VALU_DEP_4) | instskip(NEXT) | instid1(VALU_DEP_4)
	v_and_b32_e32 v12, v82, v12
	v_bfe_u32 v84, v83, 20, 1
	s_delay_alu instid0(VALU_DEP_2) | instskip(NEXT) | instid1(VALU_DEP_2)
	v_cmp_eq_u32_e64 s10, v12, v86
	v_add_nc_u32_e32 v82, -1, v84
	s_delay_alu instid0(VALU_DEP_1) | instskip(SKIP_2) | instid1(VALU_DEP_2)
	v_cndmask_b32_e64 v12, 0, v82, s10
	v_lshrrev_b32_e32 v82, 23, v83
	s_mov_b32 s10, exec_lo
	v_add_nc_u32_e32 v12, v12, v83
	s_delay_alu instid0(VALU_DEP_2) | instskip(NEXT) | instid1(VALU_DEP_2)
	v_xor_b32_e32 v82, 1, v82
	v_and_b32_e32 v11, 0xfffff, v12
	s_delay_alu instid0(VALU_DEP_1) | instskip(NEXT) | instid1(VALU_DEP_3)
	v_add_nc_u32_e32 v12, v11, v83
                                        ; implicit-def: $vgpr11
	v_cmpx_ne_u32_e64 v66, v82
	s_xor_b32 s10, exec_lo, s10
; %bb.10224:                            ;   in Loop: Header=BB6_9656 Depth=2
	s_delay_alu instid0(VALU_DEP_2) | instskip(SKIP_2) | instid1(VALU_DEP_2)
	v_cmp_lt_u32_e32 vcc_lo, 0xffffff, v12
	v_sub_nc_u32_e32 v11, v66, v82
	v_cndmask_b32_e64 v66, 0, 1, vcc_lo
	v_add_co_ci_u32_e32 v11, vcc_lo, 0, v11, vcc_lo
	s_delay_alu instid0(VALU_DEP_2)
	v_lshrrev_b32_e32 v12, v66, v12
; %bb.10225:                            ;   in Loop: Header=BB6_9656 Depth=2
	s_and_not1_saveexec_b32 s10, s10
; %bb.10226:                            ;   in Loop: Header=BB6_9656 Depth=2
	s_delay_alu instid0(VALU_DEP_1)
	v_bfe_u32 v11, v12, 23, 1
; %bb.10227:                            ;   in Loop: Header=BB6_9656 Depth=2
	s_or_b32 exec_lo, exec_lo, s10
	v_lshrrev_b32_e32 v12, 20, v12
	s_delay_alu instid0(VALU_DEP_2) | instskip(SKIP_2) | instid1(VALU_DEP_3)
	v_min_i32_e32 v66, 15, v11
	v_cmp_gt_i32_e32 vcc_lo, 16, v11
	v_lshrrev_b32_e32 v10, 24, v10
	v_lshlrev_b32_e32 v66, 3, v66
	v_cndmask_b32_e32 v12, 7, v12, vcc_lo
	s_delay_alu instid0(VALU_DEP_3) | instskip(NEXT) | instid1(VALU_DEP_3)
	v_and_b32_e32 v10, 0x80, v10
	v_and_b32_e32 v66, 0xf8, v66
	s_delay_alu instid0(VALU_DEP_3) | instskip(SKIP_1) | instid1(VALU_DEP_2)
	v_and_b32_e32 v82, 7, v12
	v_or_b32_e32 v11, v11, v12
	v_or3_b32 v10, v66, v10, v82
	s_delay_alu instid0(VALU_DEP_2) | instskip(NEXT) | instid1(VALU_DEP_2)
	v_cmp_ne_u32_e32 vcc_lo, 0, v11
	v_cndmask_b32_e32 v181, 0, v10, vcc_lo
.LBB6_10228:                            ;   in Loop: Header=BB6_9656 Depth=2
	s_or_b32 exec_lo, exec_lo, s24
.LBB6_10229:                            ;   in Loop: Header=BB6_9656 Depth=2
	s_delay_alu instid0(SALU_CYCLE_1) | instskip(SKIP_3) | instid1(VALU_DEP_1)
	s_or_b32 exec_lo, exec_lo, s23
	v_lshrrev_b32_e32 v10, 24, v13
	s_mov_b32 s10, 0
	s_mov_b32 s24, exec_lo
                                        ; implicit-def: $sgpr23
	v_cmpx_lt_i16_e32 0x7f, v10
	s_xor_b32 s24, exec_lo, s24
	s_cbranch_execnz .LBB6_11387
; %bb.10230:                            ;   in Loop: Header=BB6_9656 Depth=2
	s_or_saveexec_b32 s24, s24
	v_mov_b32_e32 v11, s23
	s_xor_b32 exec_lo, exec_lo, s24
	s_cbranch_execnz .LBB6_11390
.LBB6_10231:                            ;   in Loop: Header=BB6_9656 Depth=2
	s_or_b32 exec_lo, exec_lo, s24
	s_and_saveexec_b32 s23, s10
	s_cbranch_execz .LBB6_10233
.LBB6_10232:                            ;   in Loop: Header=BB6_9656 Depth=2
	v_bfe_u32 v11, v13, 24, 3
	s_delay_alu instid0(VALU_DEP_1) | instskip(NEXT) | instid1(VALU_DEP_1)
	v_clz_i32_u32_e32 v12, v11
	v_min_u32_e32 v12, 32, v12
	s_delay_alu instid0(VALU_DEP_1) | instskip(SKIP_1) | instid1(VALU_DEP_2)
	v_subrev_nc_u32_e32 v66, 28, v12
	v_sub_nc_u32_e32 v12, 29, v12
	v_lshlrev_b32_e32 v10, v66, v10
	v_bfe_u32 v66, v13, 27, 4
	s_delay_alu instid0(VALU_DEP_2) | instskip(NEXT) | instid1(VALU_DEP_2)
	v_and_b32_e32 v10, 7, v10
	v_cmp_eq_u32_e32 vcc_lo, 0, v66
	v_cndmask_b32_e32 v12, v66, v12, vcc_lo
	s_delay_alu instid0(VALU_DEP_3) | instskip(NEXT) | instid1(VALU_DEP_2)
	v_dual_cndmask_b32 v10, v11, v10 :: v_dual_and_b32 v11, 0x80000000, v13
	v_lshl_add_u32 v12, v12, 23, 0x3b800000
	s_delay_alu instid0(VALU_DEP_2) | instskip(NEXT) | instid1(VALU_DEP_1)
	v_lshlrev_b32_e32 v10, 20, v10
	v_or3_b32 v11, v11, v12, v10
.LBB6_10233:                            ;   in Loop: Header=BB6_9656 Depth=2
	s_or_b32 exec_lo, exec_lo, s23
	s_delay_alu instid0(VALU_DEP_1) | instskip(SKIP_2) | instid1(VALU_DEP_2)
	v_mul_f32_e32 v10, s22, v11
	v_mov_b32_e32 v182, 0x8000
	s_mov_b32 s23, exec_lo
	v_and_b32_e32 v11, 0x7f800000, v10
	s_delay_alu instid0(VALU_DEP_1)
	v_cmpx_ne_u32_e32 0x7f800000, v11
	s_cbranch_execz .LBB6_10241
; %bb.10234:                            ;   in Loop: Header=BB6_9656 Depth=2
	v_mov_b32_e32 v182, 0
	s_mov_b32 s24, exec_lo
	v_cmpx_ne_u32_e32 0, v10
	s_cbranch_execz .LBB6_10240
; %bb.10235:                            ;   in Loop: Header=BB6_9656 Depth=2
	v_bfe_u32 v11, v10, 23, 8
	s_delay_alu instid0(VALU_DEP_1) | instskip(SKIP_1) | instid1(VALU_DEP_2)
	v_sub_nc_u32_e32 v13, 0x78, v11
	v_cmp_gt_u32_e32 vcc_lo, 0x79, v11
	v_dual_cndmask_b32 v13, 0, v13 :: v_dual_and_b32 v12, 0x7fffff, v10
	s_delay_alu instid0(VALU_DEP_1) | instskip(SKIP_2) | instid1(VALU_DEP_4)
	v_or_b32_e32 v66, 0x800000, v12
	v_cmp_eq_u32_e32 vcc_lo, 0, v11
	v_add_nc_u32_e32 v11, 0xffffff89, v11
	v_cndmask_b32_e64 v13, v13, 0x77, vcc_lo
	s_delay_alu instid0(VALU_DEP_4) | instskip(NEXT) | instid1(VALU_DEP_3)
	v_cndmask_b32_e32 v12, v66, v12, vcc_lo
	v_cndmask_b32_e64 v11, v11, 0xffffff8a, vcc_lo
	s_delay_alu instid0(VALU_DEP_3) | instskip(NEXT) | instid1(VALU_DEP_3)
	v_lshl_add_u32 v66, 0x100000, v13, -1
	v_lshrrev_b32_e32 v82, v13, v12
	v_lshlrev_b32_e64 v84, v13, 0x80000
	s_delay_alu instid0(VALU_DEP_4) | instskip(NEXT) | instid1(VALU_DEP_4)
	v_add_nc_u32_e32 v13, v13, v11
	v_and_b32_e32 v12, v66, v12
	s_delay_alu instid0(VALU_DEP_4) | instskip(NEXT) | instid1(VALU_DEP_2)
	v_bfe_u32 v83, v82, 20, 1
	v_cmp_eq_u32_e64 s10, v12, v84
	s_delay_alu instid0(VALU_DEP_2) | instskip(NEXT) | instid1(VALU_DEP_1)
	v_add_nc_u32_e32 v66, -1, v83
	v_cndmask_b32_e64 v12, 0, v66, s10
	v_lshrrev_b32_e32 v66, 23, v82
	s_mov_b32 s10, exec_lo
	s_delay_alu instid0(VALU_DEP_2) | instskip(NEXT) | instid1(VALU_DEP_2)
	v_add_nc_u32_e32 v12, v12, v82
	v_xor_b32_e32 v66, 1, v66
	s_delay_alu instid0(VALU_DEP_2) | instskip(NEXT) | instid1(VALU_DEP_1)
	v_and_b32_e32 v11, 0xfffff, v12
	v_add_nc_u32_e32 v12, v11, v82
                                        ; implicit-def: $vgpr11
	s_delay_alu instid0(VALU_DEP_3)
	v_cmpx_ne_u32_e64 v13, v66
	s_xor_b32 s10, exec_lo, s10
; %bb.10236:                            ;   in Loop: Header=BB6_9656 Depth=2
	s_delay_alu instid0(VALU_DEP_2) | instskip(SKIP_2) | instid1(VALU_DEP_2)
	v_cmp_lt_u32_e32 vcc_lo, 0xffffff, v12
	v_sub_nc_u32_e32 v11, v13, v66
	v_cndmask_b32_e64 v13, 0, 1, vcc_lo
	v_add_co_ci_u32_e32 v11, vcc_lo, 0, v11, vcc_lo
	s_delay_alu instid0(VALU_DEP_2)
	v_lshrrev_b32_e32 v12, v13, v12
; %bb.10237:                            ;   in Loop: Header=BB6_9656 Depth=2
	s_and_not1_saveexec_b32 s10, s10
; %bb.10238:                            ;   in Loop: Header=BB6_9656 Depth=2
	s_delay_alu instid0(VALU_DEP_1)
	v_bfe_u32 v11, v12, 23, 1
; %bb.10239:                            ;   in Loop: Header=BB6_9656 Depth=2
	s_or_b32 exec_lo, exec_lo, s10
	v_lshrrev_b32_e32 v12, 20, v12
	s_delay_alu instid0(VALU_DEP_2) | instskip(SKIP_2) | instid1(VALU_DEP_2)
	v_cmp_gt_i32_e32 vcc_lo, 16, v11
	v_min_i32_e32 v13, 15, v11
	v_lshrrev_b32_e32 v10, 24, v10
	v_dual_cndmask_b32 v12, 7, v12 :: v_dual_lshlrev_b32 v13, 3, v13
	s_delay_alu instid0(VALU_DEP_2) | instskip(NEXT) | instid1(VALU_DEP_2)
	v_and_b32_e32 v10, 0x80, v10
	v_or_b32_e32 v11, v11, v12
	v_and_b32_e32 v66, 7, v12
	s_delay_alu instid0(VALU_DEP_2) | instskip(SKIP_1) | instid1(VALU_DEP_1)
	v_cmp_ne_u32_e32 vcc_lo, 0, v11
	v_and_b32_e32 v13, 0xf8, v13
	v_or3_b32 v10, v10, v13, v66
	s_delay_alu instid0(VALU_DEP_1) | instskip(NEXT) | instid1(VALU_DEP_1)
	v_lshlrev_b32_e32 v10, 8, v10
	v_cndmask_b32_e32 v182, 0, v10, vcc_lo
.LBB6_10240:                            ;   in Loop: Header=BB6_9656 Depth=2
	s_or_b32 exec_lo, exec_lo, s24
.LBB6_10241:                            ;   in Loop: Header=BB6_9656 Depth=2
	s_delay_alu instid0(SALU_CYCLE_1)
	s_or_b32 exec_lo, exec_lo, s23
	global_load_b128 v[10:13], v[23:24], off offset:1536 slc dlc
	s_mov_b32 s10, 0
	s_mov_b32 s24, exec_lo
                                        ; implicit-def: $sgpr23
	s_waitcnt vmcnt(0)
	v_and_b32_e32 v82, 0xff, v10
	s_delay_alu instid0(VALU_DEP_1)
	v_cmpx_lt_i16_e32 0x7f, v82
	s_xor_b32 s24, exec_lo, s24
	s_cbranch_execnz .LBB6_11391
; %bb.10242:                            ;   in Loop: Header=BB6_9656 Depth=2
	s_or_saveexec_b32 s24, s24
	v_mov_b32_e32 v66, s23
	s_xor_b32 exec_lo, exec_lo, s24
	s_cbranch_execnz .LBB6_11394
.LBB6_10243:                            ;   in Loop: Header=BB6_9656 Depth=2
	s_or_b32 exec_lo, exec_lo, s24
	s_and_saveexec_b32 s23, s10
	s_cbranch_execz .LBB6_10245
.LBB6_10244:                            ;   in Loop: Header=BB6_9656 Depth=2
	v_and_b32_e32 v66, 7, v10
	v_bfe_u32 v84, v10, 3, 4
	v_lshlrev_b32_e32 v86, 24, v10
	s_delay_alu instid0(VALU_DEP_3) | instskip(NEXT) | instid1(VALU_DEP_3)
	v_clz_i32_u32_e32 v82, v66
	v_cmp_eq_u32_e32 vcc_lo, 0, v84
	s_delay_alu instid0(VALU_DEP_2) | instskip(NEXT) | instid1(VALU_DEP_1)
	v_min_u32_e32 v82, 32, v82
	v_subrev_nc_u32_e32 v83, 28, v82
	v_sub_nc_u32_e32 v82, 29, v82
	s_delay_alu instid0(VALU_DEP_2) | instskip(NEXT) | instid1(VALU_DEP_1)
	v_lshlrev_b32_e32 v83, v83, v10
	v_dual_cndmask_b32 v82, v84, v82 :: v_dual_and_b32 v83, 7, v83
	s_delay_alu instid0(VALU_DEP_1) | instskip(NEXT) | instid1(VALU_DEP_2)
	v_lshl_add_u32 v82, v82, 23, 0x3b800000
	v_dual_cndmask_b32 v66, v66, v83 :: v_dual_and_b32 v83, 0x80000000, v86
	s_delay_alu instid0(VALU_DEP_1) | instskip(NEXT) | instid1(VALU_DEP_1)
	v_lshlrev_b32_e32 v66, 20, v66
	v_or3_b32 v66, v83, v82, v66
.LBB6_10245:                            ;   in Loop: Header=BB6_9656 Depth=2
	s_or_b32 exec_lo, exec_lo, s23
	s_delay_alu instid0(VALU_DEP_1) | instskip(SKIP_1) | instid1(VALU_DEP_1)
	v_dual_mul_f32 v66, s22, v66 :: v_dual_mov_b32 v183, 0x80
	s_mov_b32 s23, exec_lo
	v_and_b32_e32 v82, 0x7f800000, v66
	s_delay_alu instid0(VALU_DEP_1)
	v_cmpx_ne_u32_e32 0x7f800000, v82
	s_cbranch_execz .LBB6_10253
; %bb.10246:                            ;   in Loop: Header=BB6_9656 Depth=2
	v_mov_b32_e32 v183, 0
	s_mov_b32 s24, exec_lo
	v_cmpx_ne_u32_e32 0, v66
	s_cbranch_execz .LBB6_10252
; %bb.10247:                            ;   in Loop: Header=BB6_9656 Depth=2
	v_bfe_u32 v82, v66, 23, 8
	s_delay_alu instid0(VALU_DEP_1) | instskip(SKIP_1) | instid1(VALU_DEP_2)
	v_sub_nc_u32_e32 v84, 0x78, v82
	v_cmp_gt_u32_e32 vcc_lo, 0x79, v82
	v_dual_cndmask_b32 v84, 0, v84 :: v_dual_and_b32 v83, 0x7fffff, v66
	s_delay_alu instid0(VALU_DEP_1) | instskip(SKIP_2) | instid1(VALU_DEP_4)
	v_or_b32_e32 v86, 0x800000, v83
	v_cmp_eq_u32_e32 vcc_lo, 0, v82
	v_add_nc_u32_e32 v82, 0xffffff89, v82
	v_cndmask_b32_e64 v84, v84, 0x77, vcc_lo
	s_delay_alu instid0(VALU_DEP_4) | instskip(NEXT) | instid1(VALU_DEP_3)
	v_cndmask_b32_e32 v83, v86, v83, vcc_lo
	v_cndmask_b32_e64 v82, v82, 0xffffff8a, vcc_lo
	s_delay_alu instid0(VALU_DEP_3) | instskip(NEXT) | instid1(VALU_DEP_3)
	v_lshl_add_u32 v86, 0x100000, v84, -1
	v_lshrrev_b32_e32 v87, v84, v83
	v_lshlrev_b32_e64 v97, v84, 0x80000
	s_delay_alu instid0(VALU_DEP_4) | instskip(NEXT) | instid1(VALU_DEP_4)
	v_add_nc_u32_e32 v84, v84, v82
	v_and_b32_e32 v83, v86, v83
	s_delay_alu instid0(VALU_DEP_4) | instskip(NEXT) | instid1(VALU_DEP_2)
	v_bfe_u32 v96, v87, 20, 1
	v_cmp_eq_u32_e64 s10, v83, v97
	s_delay_alu instid0(VALU_DEP_2) | instskip(NEXT) | instid1(VALU_DEP_1)
	v_add_nc_u32_e32 v86, -1, v96
	v_cndmask_b32_e64 v83, 0, v86, s10
	v_lshrrev_b32_e32 v86, 23, v87
	s_mov_b32 s10, exec_lo
	s_delay_alu instid0(VALU_DEP_2) | instskip(NEXT) | instid1(VALU_DEP_2)
	v_add_nc_u32_e32 v83, v83, v87
	v_xor_b32_e32 v86, 1, v86
	s_delay_alu instid0(VALU_DEP_2) | instskip(NEXT) | instid1(VALU_DEP_1)
	v_and_b32_e32 v82, 0xfffff, v83
	v_add_nc_u32_e32 v83, v82, v87
                                        ; implicit-def: $vgpr82
	s_delay_alu instid0(VALU_DEP_3)
	v_cmpx_ne_u32_e64 v84, v86
	s_xor_b32 s10, exec_lo, s10
; %bb.10248:                            ;   in Loop: Header=BB6_9656 Depth=2
	s_delay_alu instid0(VALU_DEP_2) | instskip(SKIP_2) | instid1(VALU_DEP_2)
	v_cmp_lt_u32_e32 vcc_lo, 0xffffff, v83
	v_sub_nc_u32_e32 v82, v84, v86
	v_cndmask_b32_e64 v84, 0, 1, vcc_lo
	v_add_co_ci_u32_e32 v82, vcc_lo, 0, v82, vcc_lo
	s_delay_alu instid0(VALU_DEP_2)
	v_lshrrev_b32_e32 v83, v84, v83
; %bb.10249:                            ;   in Loop: Header=BB6_9656 Depth=2
	s_and_not1_saveexec_b32 s10, s10
; %bb.10250:                            ;   in Loop: Header=BB6_9656 Depth=2
	s_delay_alu instid0(VALU_DEP_1)
	v_bfe_u32 v82, v83, 23, 1
; %bb.10251:                            ;   in Loop: Header=BB6_9656 Depth=2
	s_or_b32 exec_lo, exec_lo, s10
	v_lshrrev_b32_e32 v83, 20, v83
	s_delay_alu instid0(VALU_DEP_2) | instskip(SKIP_2) | instid1(VALU_DEP_2)
	v_cmp_gt_i32_e32 vcc_lo, 16, v82
	v_lshrrev_b32_e32 v66, 24, v66
	v_min_i32_e32 v84, 15, v82
	v_dual_cndmask_b32 v83, 7, v83 :: v_dual_and_b32 v66, 0x80, v66
	s_delay_alu instid0(VALU_DEP_2) | instskip(NEXT) | instid1(VALU_DEP_2)
	v_lshlrev_b32_e32 v84, 3, v84
	v_or_b32_e32 v82, v82, v83
	s_delay_alu instid0(VALU_DEP_1) | instskip(SKIP_1) | instid1(VALU_DEP_1)
	v_cmp_ne_u32_e32 vcc_lo, 0, v82
	v_and_b32_e32 v86, 7, v83
	v_or3_b32 v66, v84, v66, v86
	s_delay_alu instid0(VALU_DEP_1)
	v_cndmask_b32_e32 v183, 0, v66, vcc_lo
.LBB6_10252:                            ;   in Loop: Header=BB6_9656 Depth=2
	s_or_b32 exec_lo, exec_lo, s24
.LBB6_10253:                            ;   in Loop: Header=BB6_9656 Depth=2
	s_delay_alu instid0(SALU_CYCLE_1) | instskip(SKIP_3) | instid1(VALU_DEP_1)
	s_or_b32 exec_lo, exec_lo, s23
	v_lshrrev_b16 v66, 8, v10
	s_mov_b32 s10, 0
	s_mov_b32 s24, exec_lo
                                        ; implicit-def: $sgpr23
	v_cmpx_lt_i16_e32 0x7f, v66
	s_xor_b32 s24, exec_lo, s24
	s_cbranch_execnz .LBB6_11395
; %bb.10254:                            ;   in Loop: Header=BB6_9656 Depth=2
	s_or_saveexec_b32 s24, s24
	v_mov_b32_e32 v82, s23
	s_xor_b32 exec_lo, exec_lo, s24
	s_cbranch_execnz .LBB6_11398
.LBB6_10255:                            ;   in Loop: Header=BB6_9656 Depth=2
	s_or_b32 exec_lo, exec_lo, s24
	s_and_saveexec_b32 s23, s10
	s_cbranch_execz .LBB6_10257
.LBB6_10256:                            ;   in Loop: Header=BB6_9656 Depth=2
	v_and_b32_e32 v82, 0xffff, v66
	v_lshlrev_b32_e32 v66, 24, v66
	s_delay_alu instid0(VALU_DEP_2) | instskip(NEXT) | instid1(VALU_DEP_2)
	v_and_b32_e32 v83, 7, v82
	v_and_b32_e32 v66, 0x80000000, v66
	s_delay_alu instid0(VALU_DEP_2) | instskip(NEXT) | instid1(VALU_DEP_1)
	v_clz_i32_u32_e32 v84, v83
	v_min_u32_e32 v84, 32, v84
	s_delay_alu instid0(VALU_DEP_1) | instskip(SKIP_1) | instid1(VALU_DEP_2)
	v_subrev_nc_u32_e32 v86, 28, v84
	v_sub_nc_u32_e32 v84, 29, v84
	v_lshlrev_b32_e32 v86, v86, v82
	v_bfe_u32 v82, v82, 3, 4
	s_delay_alu instid0(VALU_DEP_2) | instskip(NEXT) | instid1(VALU_DEP_2)
	v_and_b32_e32 v86, 7, v86
	v_cmp_eq_u32_e32 vcc_lo, 0, v82
	s_delay_alu instid0(VALU_DEP_2) | instskip(NEXT) | instid1(VALU_DEP_1)
	v_dual_cndmask_b32 v82, v82, v84 :: v_dual_cndmask_b32 v83, v83, v86
	v_lshl_add_u32 v82, v82, 23, 0x3b800000
	s_delay_alu instid0(VALU_DEP_2) | instskip(NEXT) | instid1(VALU_DEP_1)
	v_lshlrev_b32_e32 v83, 20, v83
	v_or3_b32 v82, v66, v82, v83
.LBB6_10257:                            ;   in Loop: Header=BB6_9656 Depth=2
	s_or_b32 exec_lo, exec_lo, s23
	s_delay_alu instid0(VALU_DEP_1) | instskip(SKIP_2) | instid1(VALU_DEP_2)
	v_mul_f32_e32 v66, s22, v82
	v_mov_b32_e32 v84, 0x80
	s_mov_b32 s23, exec_lo
	v_and_b32_e32 v82, 0x7f800000, v66
	s_delay_alu instid0(VALU_DEP_1)
	v_cmpx_ne_u32_e32 0x7f800000, v82
	s_cbranch_execz .LBB6_10265
; %bb.10258:                            ;   in Loop: Header=BB6_9656 Depth=2
	v_mov_b32_e32 v84, 0
	s_mov_b32 s24, exec_lo
	v_cmpx_ne_u32_e32 0, v66
	s_cbranch_execz .LBB6_10264
; %bb.10259:                            ;   in Loop: Header=BB6_9656 Depth=2
	v_bfe_u32 v82, v66, 23, 8
	s_delay_alu instid0(VALU_DEP_1) | instskip(SKIP_1) | instid1(VALU_DEP_2)
	v_sub_nc_u32_e32 v84, 0x78, v82
	v_cmp_gt_u32_e32 vcc_lo, 0x79, v82
	v_dual_cndmask_b32 v84, 0, v84 :: v_dual_and_b32 v83, 0x7fffff, v66
	s_delay_alu instid0(VALU_DEP_1) | instskip(SKIP_2) | instid1(VALU_DEP_4)
	v_or_b32_e32 v86, 0x800000, v83
	v_cmp_eq_u32_e32 vcc_lo, 0, v82
	v_add_nc_u32_e32 v82, 0xffffff89, v82
	v_cndmask_b32_e64 v84, v84, 0x77, vcc_lo
	s_delay_alu instid0(VALU_DEP_4) | instskip(NEXT) | instid1(VALU_DEP_3)
	v_cndmask_b32_e32 v83, v86, v83, vcc_lo
	v_cndmask_b32_e64 v82, v82, 0xffffff8a, vcc_lo
	s_delay_alu instid0(VALU_DEP_3) | instskip(NEXT) | instid1(VALU_DEP_3)
	v_lshl_add_u32 v86, 0x100000, v84, -1
	v_lshrrev_b32_e32 v87, v84, v83
	v_lshlrev_b32_e64 v97, v84, 0x80000
	s_delay_alu instid0(VALU_DEP_4) | instskip(NEXT) | instid1(VALU_DEP_4)
	v_add_nc_u32_e32 v84, v84, v82
	v_and_b32_e32 v83, v86, v83
	s_delay_alu instid0(VALU_DEP_4) | instskip(NEXT) | instid1(VALU_DEP_2)
	v_bfe_u32 v96, v87, 20, 1
	v_cmp_eq_u32_e64 s10, v83, v97
	s_delay_alu instid0(VALU_DEP_2) | instskip(NEXT) | instid1(VALU_DEP_1)
	v_add_nc_u32_e32 v86, -1, v96
	v_cndmask_b32_e64 v83, 0, v86, s10
	v_lshrrev_b32_e32 v86, 23, v87
	s_mov_b32 s10, exec_lo
	s_delay_alu instid0(VALU_DEP_2) | instskip(NEXT) | instid1(VALU_DEP_2)
	v_add_nc_u32_e32 v83, v83, v87
	v_xor_b32_e32 v86, 1, v86
	s_delay_alu instid0(VALU_DEP_2) | instskip(NEXT) | instid1(VALU_DEP_1)
	v_and_b32_e32 v82, 0xfffff, v83
	v_add_nc_u32_e32 v83, v82, v87
                                        ; implicit-def: $vgpr82
	s_delay_alu instid0(VALU_DEP_3)
	v_cmpx_ne_u32_e64 v84, v86
	s_xor_b32 s10, exec_lo, s10
; %bb.10260:                            ;   in Loop: Header=BB6_9656 Depth=2
	s_delay_alu instid0(VALU_DEP_2) | instskip(SKIP_2) | instid1(VALU_DEP_2)
	v_cmp_lt_u32_e32 vcc_lo, 0xffffff, v83
	v_sub_nc_u32_e32 v82, v84, v86
	v_cndmask_b32_e64 v84, 0, 1, vcc_lo
	v_add_co_ci_u32_e32 v82, vcc_lo, 0, v82, vcc_lo
	s_delay_alu instid0(VALU_DEP_2)
	v_lshrrev_b32_e32 v83, v84, v83
; %bb.10261:                            ;   in Loop: Header=BB6_9656 Depth=2
	s_and_not1_saveexec_b32 s10, s10
; %bb.10262:                            ;   in Loop: Header=BB6_9656 Depth=2
	s_delay_alu instid0(VALU_DEP_1)
	v_bfe_u32 v82, v83, 23, 1
; %bb.10263:                            ;   in Loop: Header=BB6_9656 Depth=2
	s_or_b32 exec_lo, exec_lo, s10
	v_lshrrev_b32_e32 v83, 20, v83
	s_delay_alu instid0(VALU_DEP_2) | instskip(SKIP_2) | instid1(VALU_DEP_2)
	v_cmp_gt_i32_e32 vcc_lo, 16, v82
	v_lshrrev_b32_e32 v66, 24, v66
	v_min_i32_e32 v84, 15, v82
	v_dual_cndmask_b32 v83, 7, v83 :: v_dual_and_b32 v66, 0x80, v66
	s_delay_alu instid0(VALU_DEP_2) | instskip(NEXT) | instid1(VALU_DEP_2)
	v_lshlrev_b32_e32 v84, 3, v84
	v_and_b32_e32 v86, 7, v83
	v_or_b32_e32 v82, v82, v83
	s_delay_alu instid0(VALU_DEP_2) | instskip(NEXT) | instid1(VALU_DEP_2)
	v_or3_b32 v66, v84, v66, v86
	v_cmp_ne_u32_e32 vcc_lo, 0, v82
	s_delay_alu instid0(VALU_DEP_2)
	v_cndmask_b32_e32 v84, 0, v66, vcc_lo
.LBB6_10264:                            ;   in Loop: Header=BB6_9656 Depth=2
	s_or_b32 exec_lo, exec_lo, s24
.LBB6_10265:                            ;   in Loop: Header=BB6_9656 Depth=2
	s_delay_alu instid0(SALU_CYCLE_1) | instskip(SKIP_3) | instid1(VALU_DEP_1)
	s_or_b32 exec_lo, exec_lo, s23
	v_lshrrev_b32_e32 v66, 16, v10
	s_mov_b32 s10, 0
	s_mov_b32 s24, exec_lo
                                        ; implicit-def: $sgpr23
	v_and_b32_e32 v83, 0xff, v66
	s_delay_alu instid0(VALU_DEP_1)
	v_cmpx_lt_i16_e32 0x7f, v83
	s_xor_b32 s24, exec_lo, s24
	s_cbranch_execnz .LBB6_11399
; %bb.10266:                            ;   in Loop: Header=BB6_9656 Depth=2
	s_or_saveexec_b32 s24, s24
	v_mov_b32_e32 v82, s23
	s_xor_b32 exec_lo, exec_lo, s24
	s_cbranch_execnz .LBB6_11402
.LBB6_10267:                            ;   in Loop: Header=BB6_9656 Depth=2
	s_or_b32 exec_lo, exec_lo, s24
	s_and_saveexec_b32 s23, s10
	s_cbranch_execz .LBB6_10269
.LBB6_10268:                            ;   in Loop: Header=BB6_9656 Depth=2
	v_bfe_u32 v82, v10, 16, 3
	v_lshlrev_b32_e32 v87, 8, v10
	s_delay_alu instid0(VALU_DEP_2) | instskip(NEXT) | instid1(VALU_DEP_1)
	v_clz_i32_u32_e32 v83, v82
	v_min_u32_e32 v83, 32, v83
	s_delay_alu instid0(VALU_DEP_1) | instskip(SKIP_1) | instid1(VALU_DEP_2)
	v_subrev_nc_u32_e32 v86, 28, v83
	v_sub_nc_u32_e32 v83, 29, v83
	v_lshlrev_b32_e32 v66, v86, v66
	v_bfe_u32 v86, v10, 19, 4
	s_delay_alu instid0(VALU_DEP_1) | instskip(NEXT) | instid1(VALU_DEP_3)
	v_cmp_eq_u32_e32 vcc_lo, 0, v86
	v_dual_cndmask_b32 v83, v86, v83 :: v_dual_and_b32 v66, 7, v66
	s_delay_alu instid0(VALU_DEP_1) | instskip(SKIP_1) | instid1(VALU_DEP_3)
	v_cndmask_b32_e32 v66, v82, v66, vcc_lo
	v_and_b32_e32 v82, 0x80000000, v87
	v_lshl_add_u32 v83, v83, 23, 0x3b800000
	s_delay_alu instid0(VALU_DEP_3) | instskip(NEXT) | instid1(VALU_DEP_1)
	v_lshlrev_b32_e32 v66, 20, v66
	v_or3_b32 v82, v82, v83, v66
.LBB6_10269:                            ;   in Loop: Header=BB6_9656 Depth=2
	s_or_b32 exec_lo, exec_lo, s23
	s_delay_alu instid0(VALU_DEP_1) | instskip(SKIP_1) | instid1(VALU_DEP_1)
	v_dual_mul_f32 v66, s22, v82 :: v_dual_mov_b32 v41, 0x80
	s_mov_b32 s23, exec_lo
	v_and_b32_e32 v82, 0x7f800000, v66
	s_delay_alu instid0(VALU_DEP_1)
	v_cmpx_ne_u32_e32 0x7f800000, v82
	s_cbranch_execz .LBB6_10277
; %bb.10270:                            ;   in Loop: Header=BB6_9656 Depth=2
	v_mov_b32_e32 v41, 0
	s_mov_b32 s24, exec_lo
	v_cmpx_ne_u32_e32 0, v66
	s_cbranch_execz .LBB6_10276
; %bb.10271:                            ;   in Loop: Header=BB6_9656 Depth=2
	v_bfe_u32 v82, v66, 23, 8
	v_and_b32_e32 v83, 0x7fffff, v66
	s_delay_alu instid0(VALU_DEP_2) | instskip(SKIP_1) | instid1(VALU_DEP_3)
	v_sub_nc_u32_e32 v86, 0x78, v82
	v_cmp_gt_u32_e32 vcc_lo, 0x79, v82
	v_or_b32_e32 v87, 0x800000, v83
	s_delay_alu instid0(VALU_DEP_3) | instskip(SKIP_1) | instid1(VALU_DEP_3)
	v_cndmask_b32_e32 v86, 0, v86, vcc_lo
	v_cmp_eq_u32_e32 vcc_lo, 0, v82
	v_dual_cndmask_b32 v83, v87, v83 :: v_dual_add_nc_u32 v82, 0xffffff89, v82
	s_delay_alu instid0(VALU_DEP_3) | instskip(NEXT) | instid1(VALU_DEP_2)
	v_cndmask_b32_e64 v86, v86, 0x77, vcc_lo
	v_cndmask_b32_e64 v82, v82, 0xffffff8a, vcc_lo
	s_delay_alu instid0(VALU_DEP_2) | instskip(SKIP_2) | instid1(VALU_DEP_4)
	v_lshrrev_b32_e32 v96, v86, v83
	v_lshl_add_u32 v87, 0x100000, v86, -1
	v_lshlrev_b32_e64 v98, v86, 0x80000
	v_add_nc_u32_e32 v86, v86, v82
	s_delay_alu instid0(VALU_DEP_4) | instskip(NEXT) | instid1(VALU_DEP_4)
	v_bfe_u32 v97, v96, 20, 1
	v_and_b32_e32 v83, v87, v83
	s_delay_alu instid0(VALU_DEP_2) | instskip(NEXT) | instid1(VALU_DEP_2)
	v_add_nc_u32_e32 v87, -1, v97
	v_cmp_eq_u32_e64 s10, v83, v98
	s_delay_alu instid0(VALU_DEP_1) | instskip(SKIP_2) | instid1(VALU_DEP_2)
	v_cndmask_b32_e64 v83, 0, v87, s10
	v_lshrrev_b32_e32 v87, 23, v96
	s_mov_b32 s10, exec_lo
	v_add_nc_u32_e32 v83, v83, v96
	s_delay_alu instid0(VALU_DEP_2) | instskip(NEXT) | instid1(VALU_DEP_2)
	v_xor_b32_e32 v87, 1, v87
	v_and_b32_e32 v82, 0xfffff, v83
	s_delay_alu instid0(VALU_DEP_1) | instskip(NEXT) | instid1(VALU_DEP_3)
	v_add_nc_u32_e32 v83, v82, v96
                                        ; implicit-def: $vgpr82
	v_cmpx_ne_u32_e64 v86, v87
	s_xor_b32 s10, exec_lo, s10
; %bb.10272:                            ;   in Loop: Header=BB6_9656 Depth=2
	s_delay_alu instid0(VALU_DEP_2) | instskip(SKIP_2) | instid1(VALU_DEP_2)
	v_cmp_lt_u32_e32 vcc_lo, 0xffffff, v83
	v_sub_nc_u32_e32 v82, v86, v87
	v_cndmask_b32_e64 v86, 0, 1, vcc_lo
	v_add_co_ci_u32_e32 v82, vcc_lo, 0, v82, vcc_lo
	s_delay_alu instid0(VALU_DEP_2)
	v_lshrrev_b32_e32 v83, v86, v83
; %bb.10273:                            ;   in Loop: Header=BB6_9656 Depth=2
	s_and_not1_saveexec_b32 s10, s10
; %bb.10274:                            ;   in Loop: Header=BB6_9656 Depth=2
	s_delay_alu instid0(VALU_DEP_1)
	v_bfe_u32 v82, v83, 23, 1
; %bb.10275:                            ;   in Loop: Header=BB6_9656 Depth=2
	s_or_b32 exec_lo, exec_lo, s10
	v_lshrrev_b32_e32 v83, 20, v83
	s_delay_alu instid0(VALU_DEP_2) | instskip(SKIP_2) | instid1(VALU_DEP_2)
	v_cmp_gt_i32_e32 vcc_lo, 16, v82
	v_lshrrev_b32_e32 v66, 24, v66
	v_min_i32_e32 v86, 15, v82
	v_dual_cndmask_b32 v83, 7, v83 :: v_dual_and_b32 v66, 0x80, v66
	s_delay_alu instid0(VALU_DEP_2) | instskip(NEXT) | instid1(VALU_DEP_2)
	v_lshlrev_b32_e32 v86, 3, v86
	v_and_b32_e32 v87, 7, v83
	v_or_b32_e32 v82, v82, v83
	s_delay_alu instid0(VALU_DEP_2) | instskip(NEXT) | instid1(VALU_DEP_2)
	v_or3_b32 v66, v86, v66, v87
	v_cmp_ne_u32_e32 vcc_lo, 0, v82
	s_delay_alu instid0(VALU_DEP_2)
	v_cndmask_b32_e32 v41, 0, v66, vcc_lo
.LBB6_10276:                            ;   in Loop: Header=BB6_9656 Depth=2
	s_or_b32 exec_lo, exec_lo, s24
.LBB6_10277:                            ;   in Loop: Header=BB6_9656 Depth=2
	s_delay_alu instid0(SALU_CYCLE_1) | instskip(SKIP_3) | instid1(VALU_DEP_1)
	s_or_b32 exec_lo, exec_lo, s23
	v_lshrrev_b32_e32 v66, 24, v10
	s_mov_b32 s10, 0
	s_mov_b32 s24, exec_lo
                                        ; implicit-def: $sgpr23
	v_cmpx_lt_i16_e32 0x7f, v66
	s_xor_b32 s24, exec_lo, s24
	s_cbranch_execnz .LBB6_11403
; %bb.10278:                            ;   in Loop: Header=BB6_9656 Depth=2
	s_or_saveexec_b32 s24, s24
	v_mov_b32_e32 v82, s23
	s_xor_b32 exec_lo, exec_lo, s24
	s_cbranch_execnz .LBB6_11406
.LBB6_10279:                            ;   in Loop: Header=BB6_9656 Depth=2
	s_or_b32 exec_lo, exec_lo, s24
	s_and_saveexec_b32 s23, s10
	s_cbranch_execz .LBB6_10281
.LBB6_10280:                            ;   in Loop: Header=BB6_9656 Depth=2
	v_bfe_u32 v82, v10, 24, 3
	s_delay_alu instid0(VALU_DEP_1) | instskip(NEXT) | instid1(VALU_DEP_1)
	v_clz_i32_u32_e32 v83, v82
	v_min_u32_e32 v83, 32, v83
	s_delay_alu instid0(VALU_DEP_1) | instskip(SKIP_1) | instid1(VALU_DEP_2)
	v_subrev_nc_u32_e32 v86, 28, v83
	v_sub_nc_u32_e32 v83, 29, v83
	v_lshlrev_b32_e32 v66, v86, v66
	v_bfe_u32 v86, v10, 27, 4
	v_and_b32_e32 v10, 0x80000000, v10
	s_delay_alu instid0(VALU_DEP_2) | instskip(NEXT) | instid1(VALU_DEP_4)
	v_cmp_eq_u32_e32 vcc_lo, 0, v86
	v_dual_cndmask_b32 v83, v86, v83 :: v_dual_and_b32 v66, 7, v66
	s_delay_alu instid0(VALU_DEP_1) | instskip(NEXT) | instid1(VALU_DEP_2)
	v_cndmask_b32_e32 v66, v82, v66, vcc_lo
	v_lshl_add_u32 v82, v83, 23, 0x3b800000
	s_delay_alu instid0(VALU_DEP_2) | instskip(NEXT) | instid1(VALU_DEP_1)
	v_lshlrev_b32_e32 v66, 20, v66
	v_or3_b32 v82, v10, v82, v66
.LBB6_10281:                            ;   in Loop: Header=BB6_9656 Depth=2
	s_or_b32 exec_lo, exec_lo, s23
	s_delay_alu instid0(VALU_DEP_1) | instskip(SKIP_2) | instid1(VALU_DEP_2)
	v_mul_f32_e32 v10, s22, v82
	v_mov_b32_e32 v42, 0x80
	s_mov_b32 s23, exec_lo
	v_and_b32_e32 v66, 0x7f800000, v10
	s_delay_alu instid0(VALU_DEP_1)
	v_cmpx_ne_u32_e32 0x7f800000, v66
	s_cbranch_execz .LBB6_10289
; %bb.10282:                            ;   in Loop: Header=BB6_9656 Depth=2
	v_mov_b32_e32 v42, 0
	s_mov_b32 s24, exec_lo
	v_cmpx_ne_u32_e32 0, v10
	s_cbranch_execz .LBB6_10288
; %bb.10283:                            ;   in Loop: Header=BB6_9656 Depth=2
	v_bfe_u32 v66, v10, 23, 8
	s_delay_alu instid0(VALU_DEP_1) | instskip(SKIP_1) | instid1(VALU_DEP_2)
	v_sub_nc_u32_e32 v83, 0x78, v66
	v_cmp_gt_u32_e32 vcc_lo, 0x79, v66
	v_dual_cndmask_b32 v83, 0, v83 :: v_dual_and_b32 v82, 0x7fffff, v10
	s_delay_alu instid0(VALU_DEP_1) | instskip(SKIP_2) | instid1(VALU_DEP_4)
	v_or_b32_e32 v86, 0x800000, v82
	v_cmp_eq_u32_e32 vcc_lo, 0, v66
	v_add_nc_u32_e32 v66, 0xffffff89, v66
	v_cndmask_b32_e64 v83, v83, 0x77, vcc_lo
	s_delay_alu instid0(VALU_DEP_4) | instskip(NEXT) | instid1(VALU_DEP_3)
	v_cndmask_b32_e32 v82, v86, v82, vcc_lo
	v_cndmask_b32_e64 v66, v66, 0xffffff8a, vcc_lo
	s_delay_alu instid0(VALU_DEP_3) | instskip(NEXT) | instid1(VALU_DEP_3)
	v_lshl_add_u32 v86, 0x100000, v83, -1
	v_lshrrev_b32_e32 v87, v83, v82
	v_lshlrev_b32_e64 v97, v83, 0x80000
	s_delay_alu instid0(VALU_DEP_4) | instskip(NEXT) | instid1(VALU_DEP_4)
	v_add_nc_u32_e32 v83, v83, v66
	v_and_b32_e32 v82, v86, v82
	s_delay_alu instid0(VALU_DEP_4) | instskip(NEXT) | instid1(VALU_DEP_2)
	v_bfe_u32 v96, v87, 20, 1
	v_cmp_eq_u32_e64 s10, v82, v97
	s_delay_alu instid0(VALU_DEP_2) | instskip(NEXT) | instid1(VALU_DEP_1)
	v_add_nc_u32_e32 v86, -1, v96
	v_cndmask_b32_e64 v82, 0, v86, s10
	v_lshrrev_b32_e32 v86, 23, v87
	s_mov_b32 s10, exec_lo
	s_delay_alu instid0(VALU_DEP_2) | instskip(NEXT) | instid1(VALU_DEP_2)
	v_add_nc_u32_e32 v82, v82, v87
	v_xor_b32_e32 v86, 1, v86
	s_delay_alu instid0(VALU_DEP_2) | instskip(NEXT) | instid1(VALU_DEP_1)
	v_and_b32_e32 v66, 0xfffff, v82
	v_add_nc_u32_e32 v82, v66, v87
                                        ; implicit-def: $vgpr66
	s_delay_alu instid0(VALU_DEP_3)
	v_cmpx_ne_u32_e64 v83, v86
	s_xor_b32 s10, exec_lo, s10
; %bb.10284:                            ;   in Loop: Header=BB6_9656 Depth=2
	s_delay_alu instid0(VALU_DEP_2) | instskip(SKIP_2) | instid1(VALU_DEP_2)
	v_cmp_lt_u32_e32 vcc_lo, 0xffffff, v82
	v_sub_nc_u32_e32 v66, v83, v86
	v_cndmask_b32_e64 v83, 0, 1, vcc_lo
	v_add_co_ci_u32_e32 v66, vcc_lo, 0, v66, vcc_lo
	s_delay_alu instid0(VALU_DEP_2)
	v_lshrrev_b32_e32 v82, v83, v82
; %bb.10285:                            ;   in Loop: Header=BB6_9656 Depth=2
	s_and_not1_saveexec_b32 s10, s10
; %bb.10286:                            ;   in Loop: Header=BB6_9656 Depth=2
	s_delay_alu instid0(VALU_DEP_1)
	v_bfe_u32 v66, v82, 23, 1
; %bb.10287:                            ;   in Loop: Header=BB6_9656 Depth=2
	s_or_b32 exec_lo, exec_lo, s10
	v_lshrrev_b32_e32 v82, 20, v82
	s_delay_alu instid0(VALU_DEP_2) | instskip(SKIP_2) | instid1(VALU_DEP_4)
	v_cmp_gt_i32_e32 vcc_lo, 16, v66
	v_lshrrev_b32_e32 v10, 24, v10
	v_min_i32_e32 v83, 15, v66
	v_cndmask_b32_e32 v82, 7, v82, vcc_lo
	s_delay_alu instid0(VALU_DEP_3) | instskip(NEXT) | instid1(VALU_DEP_3)
	v_and_b32_e32 v10, 0x80, v10
	v_lshlrev_b32_e32 v83, 3, v83
	s_delay_alu instid0(VALU_DEP_3) | instskip(SKIP_1) | instid1(VALU_DEP_2)
	v_and_b32_e32 v86, 7, v82
	v_or_b32_e32 v66, v66, v82
	v_or3_b32 v10, v83, v10, v86
	s_delay_alu instid0(VALU_DEP_2) | instskip(NEXT) | instid1(VALU_DEP_2)
	v_cmp_ne_u32_e32 vcc_lo, 0, v66
	v_cndmask_b32_e32 v42, 0, v10, vcc_lo
.LBB6_10288:                            ;   in Loop: Header=BB6_9656 Depth=2
	s_or_b32 exec_lo, exec_lo, s24
.LBB6_10289:                            ;   in Loop: Header=BB6_9656 Depth=2
	s_delay_alu instid0(SALU_CYCLE_1) | instskip(SKIP_3) | instid1(VALU_DEP_1)
	s_or_b32 exec_lo, exec_lo, s23
	v_and_b32_e32 v66, 0xff, v11
	s_mov_b32 s10, 0
	s_mov_b32 s24, exec_lo
                                        ; implicit-def: $sgpr23
	v_cmpx_lt_i16_e32 0x7f, v66
	s_xor_b32 s24, exec_lo, s24
	s_cbranch_execnz .LBB6_11407
; %bb.10290:                            ;   in Loop: Header=BB6_9656 Depth=2
	s_or_saveexec_b32 s24, s24
	v_mov_b32_e32 v10, s23
	s_xor_b32 exec_lo, exec_lo, s24
	s_cbranch_execnz .LBB6_11410
.LBB6_10291:                            ;   in Loop: Header=BB6_9656 Depth=2
	s_or_b32 exec_lo, exec_lo, s24
	s_and_saveexec_b32 s23, s10
	s_cbranch_execz .LBB6_10293
.LBB6_10292:                            ;   in Loop: Header=BB6_9656 Depth=2
	v_and_b32_e32 v10, 7, v11
	v_bfe_u32 v83, v11, 3, 4
	v_lshlrev_b32_e32 v86, 24, v11
	s_delay_alu instid0(VALU_DEP_3) | instskip(NEXT) | instid1(VALU_DEP_3)
	v_clz_i32_u32_e32 v66, v10
	v_cmp_eq_u32_e32 vcc_lo, 0, v83
	s_delay_alu instid0(VALU_DEP_2) | instskip(NEXT) | instid1(VALU_DEP_1)
	v_min_u32_e32 v66, 32, v66
	v_subrev_nc_u32_e32 v82, 28, v66
	v_sub_nc_u32_e32 v66, 29, v66
	s_delay_alu instid0(VALU_DEP_2) | instskip(NEXT) | instid1(VALU_DEP_2)
	v_lshlrev_b32_e32 v82, v82, v11
	v_cndmask_b32_e32 v66, v83, v66, vcc_lo
	s_delay_alu instid0(VALU_DEP_2) | instskip(NEXT) | instid1(VALU_DEP_2)
	v_and_b32_e32 v82, 7, v82
	v_lshl_add_u32 v66, v66, 23, 0x3b800000
	s_delay_alu instid0(VALU_DEP_2) | instskip(SKIP_1) | instid1(VALU_DEP_2)
	v_cndmask_b32_e32 v10, v10, v82, vcc_lo
	v_and_b32_e32 v82, 0x80000000, v86
	v_lshlrev_b32_e32 v10, 20, v10
	s_delay_alu instid0(VALU_DEP_1)
	v_or3_b32 v10, v82, v66, v10
.LBB6_10293:                            ;   in Loop: Header=BB6_9656 Depth=2
	s_or_b32 exec_lo, exec_lo, s23
	s_delay_alu instid0(VALU_DEP_1) | instskip(SKIP_1) | instid1(VALU_DEP_1)
	v_dual_mul_f32 v10, s22, v10 :: v_dual_mov_b32 v43, 0x80
	s_mov_b32 s23, exec_lo
	v_and_b32_e32 v66, 0x7f800000, v10
	s_delay_alu instid0(VALU_DEP_1)
	v_cmpx_ne_u32_e32 0x7f800000, v66
	s_cbranch_execz .LBB6_10301
; %bb.10294:                            ;   in Loop: Header=BB6_9656 Depth=2
	v_mov_b32_e32 v43, 0
	s_mov_b32 s24, exec_lo
	v_cmpx_ne_u32_e32 0, v10
	s_cbranch_execz .LBB6_10300
; %bb.10295:                            ;   in Loop: Header=BB6_9656 Depth=2
	v_bfe_u32 v66, v10, 23, 8
	s_delay_alu instid0(VALU_DEP_1) | instskip(SKIP_1) | instid1(VALU_DEP_2)
	v_sub_nc_u32_e32 v83, 0x78, v66
	v_cmp_gt_u32_e32 vcc_lo, 0x79, v66
	v_dual_cndmask_b32 v83, 0, v83 :: v_dual_and_b32 v82, 0x7fffff, v10
	s_delay_alu instid0(VALU_DEP_1) | instskip(SKIP_2) | instid1(VALU_DEP_4)
	v_or_b32_e32 v86, 0x800000, v82
	v_cmp_eq_u32_e32 vcc_lo, 0, v66
	v_add_nc_u32_e32 v66, 0xffffff89, v66
	v_cndmask_b32_e64 v83, v83, 0x77, vcc_lo
	s_delay_alu instid0(VALU_DEP_4) | instskip(NEXT) | instid1(VALU_DEP_3)
	v_cndmask_b32_e32 v82, v86, v82, vcc_lo
	v_cndmask_b32_e64 v66, v66, 0xffffff8a, vcc_lo
	s_delay_alu instid0(VALU_DEP_3) | instskip(NEXT) | instid1(VALU_DEP_3)
	v_lshl_add_u32 v86, 0x100000, v83, -1
	v_lshrrev_b32_e32 v87, v83, v82
	v_lshlrev_b32_e64 v97, v83, 0x80000
	s_delay_alu instid0(VALU_DEP_4) | instskip(NEXT) | instid1(VALU_DEP_4)
	v_add_nc_u32_e32 v83, v83, v66
	v_and_b32_e32 v82, v86, v82
	s_delay_alu instid0(VALU_DEP_4) | instskip(NEXT) | instid1(VALU_DEP_2)
	v_bfe_u32 v96, v87, 20, 1
	v_cmp_eq_u32_e64 s10, v82, v97
	s_delay_alu instid0(VALU_DEP_2) | instskip(NEXT) | instid1(VALU_DEP_1)
	v_add_nc_u32_e32 v86, -1, v96
	v_cndmask_b32_e64 v82, 0, v86, s10
	v_lshrrev_b32_e32 v86, 23, v87
	s_mov_b32 s10, exec_lo
	s_delay_alu instid0(VALU_DEP_2) | instskip(NEXT) | instid1(VALU_DEP_2)
	v_add_nc_u32_e32 v82, v82, v87
	v_xor_b32_e32 v86, 1, v86
	s_delay_alu instid0(VALU_DEP_2) | instskip(NEXT) | instid1(VALU_DEP_1)
	v_and_b32_e32 v66, 0xfffff, v82
	v_add_nc_u32_e32 v82, v66, v87
                                        ; implicit-def: $vgpr66
	s_delay_alu instid0(VALU_DEP_3)
	v_cmpx_ne_u32_e64 v83, v86
	s_xor_b32 s10, exec_lo, s10
; %bb.10296:                            ;   in Loop: Header=BB6_9656 Depth=2
	s_delay_alu instid0(VALU_DEP_2) | instskip(SKIP_2) | instid1(VALU_DEP_2)
	v_cmp_lt_u32_e32 vcc_lo, 0xffffff, v82
	v_sub_nc_u32_e32 v66, v83, v86
	v_cndmask_b32_e64 v83, 0, 1, vcc_lo
	v_add_co_ci_u32_e32 v66, vcc_lo, 0, v66, vcc_lo
	s_delay_alu instid0(VALU_DEP_2)
	v_lshrrev_b32_e32 v82, v83, v82
; %bb.10297:                            ;   in Loop: Header=BB6_9656 Depth=2
	s_and_not1_saveexec_b32 s10, s10
; %bb.10298:                            ;   in Loop: Header=BB6_9656 Depth=2
	s_delay_alu instid0(VALU_DEP_1)
	v_bfe_u32 v66, v82, 23, 1
; %bb.10299:                            ;   in Loop: Header=BB6_9656 Depth=2
	s_or_b32 exec_lo, exec_lo, s10
	v_lshrrev_b32_e32 v82, 20, v82
	s_delay_alu instid0(VALU_DEP_2) | instskip(SKIP_2) | instid1(VALU_DEP_3)
	v_min_i32_e32 v83, 15, v66
	v_cmp_gt_i32_e32 vcc_lo, 16, v66
	v_lshrrev_b32_e32 v10, 24, v10
	v_dual_cndmask_b32 v82, 7, v82 :: v_dual_lshlrev_b32 v83, 3, v83
	s_delay_alu instid0(VALU_DEP_2) | instskip(NEXT) | instid1(VALU_DEP_2)
	v_and_b32_e32 v10, 0x80, v10
	v_and_b32_e32 v83, 0xf8, v83
	s_delay_alu instid0(VALU_DEP_3) | instskip(SKIP_1) | instid1(VALU_DEP_2)
	v_and_b32_e32 v86, 7, v82
	v_or_b32_e32 v66, v66, v82
	v_or3_b32 v10, v83, v10, v86
	s_delay_alu instid0(VALU_DEP_2) | instskip(NEXT) | instid1(VALU_DEP_2)
	v_cmp_ne_u32_e32 vcc_lo, 0, v66
	v_cndmask_b32_e32 v43, 0, v10, vcc_lo
.LBB6_10300:                            ;   in Loop: Header=BB6_9656 Depth=2
	s_or_b32 exec_lo, exec_lo, s24
.LBB6_10301:                            ;   in Loop: Header=BB6_9656 Depth=2
	s_delay_alu instid0(SALU_CYCLE_1) | instskip(SKIP_3) | instid1(VALU_DEP_1)
	s_or_b32 exec_lo, exec_lo, s23
	v_lshrrev_b16 v10, 8, v11
	s_mov_b32 s10, 0
	s_mov_b32 s24, exec_lo
                                        ; implicit-def: $sgpr23
	v_cmpx_lt_i16_e32 0x7f, v10
	s_xor_b32 s24, exec_lo, s24
	s_cbranch_execnz .LBB6_11411
; %bb.10302:                            ;   in Loop: Header=BB6_9656 Depth=2
	s_or_saveexec_b32 s24, s24
	v_mov_b32_e32 v66, s23
	s_xor_b32 exec_lo, exec_lo, s24
	s_cbranch_execnz .LBB6_11414
.LBB6_10303:                            ;   in Loop: Header=BB6_9656 Depth=2
	s_or_b32 exec_lo, exec_lo, s24
	s_and_saveexec_b32 s23, s10
	s_cbranch_execz .LBB6_10305
.LBB6_10304:                            ;   in Loop: Header=BB6_9656 Depth=2
	v_and_b32_e32 v66, 0xffff, v10
	v_lshlrev_b32_e32 v10, 24, v10
	s_delay_alu instid0(VALU_DEP_2) | instskip(NEXT) | instid1(VALU_DEP_2)
	v_and_b32_e32 v82, 7, v66
	v_and_b32_e32 v10, 0x80000000, v10
	s_delay_alu instid0(VALU_DEP_2) | instskip(NEXT) | instid1(VALU_DEP_1)
	v_clz_i32_u32_e32 v83, v82
	v_min_u32_e32 v83, 32, v83
	s_delay_alu instid0(VALU_DEP_1) | instskip(SKIP_1) | instid1(VALU_DEP_2)
	v_subrev_nc_u32_e32 v86, 28, v83
	v_sub_nc_u32_e32 v83, 29, v83
	v_lshlrev_b32_e32 v86, v86, v66
	v_bfe_u32 v66, v66, 3, 4
	s_delay_alu instid0(VALU_DEP_2) | instskip(NEXT) | instid1(VALU_DEP_2)
	v_and_b32_e32 v86, 7, v86
	v_cmp_eq_u32_e32 vcc_lo, 0, v66
	v_cndmask_b32_e32 v66, v66, v83, vcc_lo
	s_delay_alu instid0(VALU_DEP_3) | instskip(NEXT) | instid1(VALU_DEP_2)
	v_cndmask_b32_e32 v82, v82, v86, vcc_lo
	v_lshl_add_u32 v66, v66, 23, 0x3b800000
	s_delay_alu instid0(VALU_DEP_2) | instskip(NEXT) | instid1(VALU_DEP_1)
	v_lshlrev_b32_e32 v82, 20, v82
	v_or3_b32 v66, v10, v66, v82
.LBB6_10305:                            ;   in Loop: Header=BB6_9656 Depth=2
	s_or_b32 exec_lo, exec_lo, s23
	s_delay_alu instid0(VALU_DEP_1) | instskip(SKIP_2) | instid1(VALU_DEP_2)
	v_mul_f32_e32 v10, s22, v66
	v_mov_b32_e32 v44, 0x8000
	s_mov_b32 s23, exec_lo
	v_and_b32_e32 v66, 0x7f800000, v10
	s_delay_alu instid0(VALU_DEP_1)
	v_cmpx_ne_u32_e32 0x7f800000, v66
	s_cbranch_execz .LBB6_10313
; %bb.10306:                            ;   in Loop: Header=BB6_9656 Depth=2
	v_mov_b32_e32 v44, 0
	s_mov_b32 s24, exec_lo
	v_cmpx_ne_u32_e32 0, v10
	s_cbranch_execz .LBB6_10312
; %bb.10307:                            ;   in Loop: Header=BB6_9656 Depth=2
	v_bfe_u32 v66, v10, 23, 8
	s_delay_alu instid0(VALU_DEP_1) | instskip(SKIP_1) | instid1(VALU_DEP_2)
	v_sub_nc_u32_e32 v83, 0x78, v66
	v_cmp_gt_u32_e32 vcc_lo, 0x79, v66
	v_dual_cndmask_b32 v83, 0, v83 :: v_dual_and_b32 v82, 0x7fffff, v10
	s_delay_alu instid0(VALU_DEP_1) | instskip(SKIP_2) | instid1(VALU_DEP_4)
	v_or_b32_e32 v86, 0x800000, v82
	v_cmp_eq_u32_e32 vcc_lo, 0, v66
	v_add_nc_u32_e32 v66, 0xffffff89, v66
	v_cndmask_b32_e64 v83, v83, 0x77, vcc_lo
	s_delay_alu instid0(VALU_DEP_4) | instskip(NEXT) | instid1(VALU_DEP_3)
	v_cndmask_b32_e32 v82, v86, v82, vcc_lo
	v_cndmask_b32_e64 v66, v66, 0xffffff8a, vcc_lo
	s_delay_alu instid0(VALU_DEP_3) | instskip(NEXT) | instid1(VALU_DEP_3)
	v_lshl_add_u32 v86, 0x100000, v83, -1
	v_lshrrev_b32_e32 v87, v83, v82
	v_lshlrev_b32_e64 v97, v83, 0x80000
	s_delay_alu instid0(VALU_DEP_4) | instskip(NEXT) | instid1(VALU_DEP_4)
	v_add_nc_u32_e32 v83, v83, v66
	v_and_b32_e32 v82, v86, v82
	s_delay_alu instid0(VALU_DEP_4) | instskip(NEXT) | instid1(VALU_DEP_2)
	v_bfe_u32 v96, v87, 20, 1
	v_cmp_eq_u32_e64 s10, v82, v97
	s_delay_alu instid0(VALU_DEP_2) | instskip(NEXT) | instid1(VALU_DEP_1)
	v_add_nc_u32_e32 v86, -1, v96
	v_cndmask_b32_e64 v82, 0, v86, s10
	v_lshrrev_b32_e32 v86, 23, v87
	s_mov_b32 s10, exec_lo
	s_delay_alu instid0(VALU_DEP_2) | instskip(NEXT) | instid1(VALU_DEP_2)
	v_add_nc_u32_e32 v82, v82, v87
	v_xor_b32_e32 v86, 1, v86
	s_delay_alu instid0(VALU_DEP_2) | instskip(NEXT) | instid1(VALU_DEP_1)
	v_and_b32_e32 v66, 0xfffff, v82
	v_add_nc_u32_e32 v82, v66, v87
                                        ; implicit-def: $vgpr66
	s_delay_alu instid0(VALU_DEP_3)
	v_cmpx_ne_u32_e64 v83, v86
	s_xor_b32 s10, exec_lo, s10
; %bb.10308:                            ;   in Loop: Header=BB6_9656 Depth=2
	s_delay_alu instid0(VALU_DEP_2) | instskip(SKIP_2) | instid1(VALU_DEP_2)
	v_cmp_lt_u32_e32 vcc_lo, 0xffffff, v82
	v_sub_nc_u32_e32 v66, v83, v86
	v_cndmask_b32_e64 v83, 0, 1, vcc_lo
	v_add_co_ci_u32_e32 v66, vcc_lo, 0, v66, vcc_lo
	s_delay_alu instid0(VALU_DEP_2)
	v_lshrrev_b32_e32 v82, v83, v82
; %bb.10309:                            ;   in Loop: Header=BB6_9656 Depth=2
	s_and_not1_saveexec_b32 s10, s10
; %bb.10310:                            ;   in Loop: Header=BB6_9656 Depth=2
	s_delay_alu instid0(VALU_DEP_1)
	v_bfe_u32 v66, v82, 23, 1
; %bb.10311:                            ;   in Loop: Header=BB6_9656 Depth=2
	s_or_b32 exec_lo, exec_lo, s10
	v_lshrrev_b32_e32 v82, 20, v82
	s_delay_alu instid0(VALU_DEP_2) | instskip(SKIP_2) | instid1(VALU_DEP_2)
	v_cmp_gt_i32_e32 vcc_lo, 16, v66
	v_min_i32_e32 v83, 15, v66
	v_lshrrev_b32_e32 v10, 24, v10
	v_dual_cndmask_b32 v82, 7, v82 :: v_dual_lshlrev_b32 v83, 3, v83
	s_delay_alu instid0(VALU_DEP_2) | instskip(NEXT) | instid1(VALU_DEP_2)
	v_and_b32_e32 v10, 0x80, v10
	v_or_b32_e32 v66, v66, v82
	v_and_b32_e32 v86, 7, v82
	s_delay_alu instid0(VALU_DEP_2) | instskip(SKIP_1) | instid1(VALU_DEP_1)
	v_cmp_ne_u32_e32 vcc_lo, 0, v66
	v_and_b32_e32 v83, 0xf8, v83
	v_or3_b32 v10, v10, v83, v86
	s_delay_alu instid0(VALU_DEP_1) | instskip(NEXT) | instid1(VALU_DEP_1)
	v_lshlrev_b32_e32 v10, 8, v10
	v_cndmask_b32_e32 v44, 0, v10, vcc_lo
.LBB6_10312:                            ;   in Loop: Header=BB6_9656 Depth=2
	s_or_b32 exec_lo, exec_lo, s24
.LBB6_10313:                            ;   in Loop: Header=BB6_9656 Depth=2
	s_delay_alu instid0(SALU_CYCLE_1) | instskip(SKIP_3) | instid1(VALU_DEP_1)
	s_or_b32 exec_lo, exec_lo, s23
	v_lshrrev_b32_e32 v10, 16, v11
	s_mov_b32 s10, 0
	s_mov_b32 s24, exec_lo
                                        ; implicit-def: $sgpr23
	v_and_b32_e32 v82, 0xff, v10
	s_delay_alu instid0(VALU_DEP_1)
	v_cmpx_lt_i16_e32 0x7f, v82
	s_xor_b32 s24, exec_lo, s24
	s_cbranch_execnz .LBB6_11415
; %bb.10314:                            ;   in Loop: Header=BB6_9656 Depth=2
	s_or_saveexec_b32 s24, s24
	v_mov_b32_e32 v66, s23
	s_xor_b32 exec_lo, exec_lo, s24
	s_cbranch_execnz .LBB6_11418
.LBB6_10315:                            ;   in Loop: Header=BB6_9656 Depth=2
	s_or_b32 exec_lo, exec_lo, s24
	s_and_saveexec_b32 s23, s10
	s_cbranch_execz .LBB6_10317
.LBB6_10316:                            ;   in Loop: Header=BB6_9656 Depth=2
	v_bfe_u32 v66, v11, 16, 3
	v_lshlrev_b32_e32 v86, 8, v11
	s_delay_alu instid0(VALU_DEP_2) | instskip(NEXT) | instid1(VALU_DEP_1)
	v_clz_i32_u32_e32 v82, v66
	v_min_u32_e32 v82, 32, v82
	s_delay_alu instid0(VALU_DEP_1) | instskip(SKIP_1) | instid1(VALU_DEP_2)
	v_subrev_nc_u32_e32 v83, 28, v82
	v_sub_nc_u32_e32 v82, 29, v82
	v_lshlrev_b32_e32 v10, v83, v10
	v_bfe_u32 v83, v11, 19, 4
	s_delay_alu instid0(VALU_DEP_2) | instskip(NEXT) | instid1(VALU_DEP_2)
	v_and_b32_e32 v10, 7, v10
	v_cmp_eq_u32_e32 vcc_lo, 0, v83
	v_cndmask_b32_e32 v82, v83, v82, vcc_lo
	s_delay_alu instid0(VALU_DEP_3) | instskip(SKIP_1) | instid1(VALU_DEP_3)
	v_cndmask_b32_e32 v10, v66, v10, vcc_lo
	v_and_b32_e32 v66, 0x80000000, v86
	v_lshl_add_u32 v82, v82, 23, 0x3b800000
	s_delay_alu instid0(VALU_DEP_3) | instskip(NEXT) | instid1(VALU_DEP_1)
	v_lshlrev_b32_e32 v10, 20, v10
	v_or3_b32 v66, v66, v82, v10
.LBB6_10317:                            ;   in Loop: Header=BB6_9656 Depth=2
	s_or_b32 exec_lo, exec_lo, s23
	s_delay_alu instid0(VALU_DEP_1) | instskip(SKIP_1) | instid1(VALU_DEP_1)
	v_dual_mul_f32 v10, s22, v66 :: v_dual_mov_b32 v45, 0x80
	s_mov_b32 s23, exec_lo
	v_and_b32_e32 v66, 0x7f800000, v10
	s_delay_alu instid0(VALU_DEP_1)
	v_cmpx_ne_u32_e32 0x7f800000, v66
	s_cbranch_execz .LBB6_10325
; %bb.10318:                            ;   in Loop: Header=BB6_9656 Depth=2
	v_mov_b32_e32 v45, 0
	s_mov_b32 s24, exec_lo
	v_cmpx_ne_u32_e32 0, v10
	s_cbranch_execz .LBB6_10324
; %bb.10319:                            ;   in Loop: Header=BB6_9656 Depth=2
	v_bfe_u32 v66, v10, 23, 8
	s_delay_alu instid0(VALU_DEP_1) | instskip(SKIP_1) | instid1(VALU_DEP_2)
	v_sub_nc_u32_e32 v83, 0x78, v66
	v_cmp_gt_u32_e32 vcc_lo, 0x79, v66
	v_dual_cndmask_b32 v83, 0, v83 :: v_dual_and_b32 v82, 0x7fffff, v10
	s_delay_alu instid0(VALU_DEP_1) | instskip(SKIP_2) | instid1(VALU_DEP_4)
	v_or_b32_e32 v86, 0x800000, v82
	v_cmp_eq_u32_e32 vcc_lo, 0, v66
	v_add_nc_u32_e32 v66, 0xffffff89, v66
	v_cndmask_b32_e64 v83, v83, 0x77, vcc_lo
	s_delay_alu instid0(VALU_DEP_4) | instskip(NEXT) | instid1(VALU_DEP_3)
	v_cndmask_b32_e32 v82, v86, v82, vcc_lo
	v_cndmask_b32_e64 v66, v66, 0xffffff8a, vcc_lo
	s_delay_alu instid0(VALU_DEP_3) | instskip(NEXT) | instid1(VALU_DEP_3)
	v_lshl_add_u32 v86, 0x100000, v83, -1
	v_lshrrev_b32_e32 v87, v83, v82
	v_lshlrev_b32_e64 v97, v83, 0x80000
	s_delay_alu instid0(VALU_DEP_4) | instskip(NEXT) | instid1(VALU_DEP_4)
	v_add_nc_u32_e32 v83, v83, v66
	v_and_b32_e32 v82, v86, v82
	s_delay_alu instid0(VALU_DEP_4) | instskip(NEXT) | instid1(VALU_DEP_2)
	v_bfe_u32 v96, v87, 20, 1
	v_cmp_eq_u32_e64 s10, v82, v97
	s_delay_alu instid0(VALU_DEP_2) | instskip(NEXT) | instid1(VALU_DEP_1)
	v_add_nc_u32_e32 v86, -1, v96
	v_cndmask_b32_e64 v82, 0, v86, s10
	v_lshrrev_b32_e32 v86, 23, v87
	s_mov_b32 s10, exec_lo
	s_delay_alu instid0(VALU_DEP_2) | instskip(NEXT) | instid1(VALU_DEP_2)
	v_add_nc_u32_e32 v82, v82, v87
	v_xor_b32_e32 v86, 1, v86
	s_delay_alu instid0(VALU_DEP_2) | instskip(NEXT) | instid1(VALU_DEP_1)
	v_and_b32_e32 v66, 0xfffff, v82
	v_add_nc_u32_e32 v82, v66, v87
                                        ; implicit-def: $vgpr66
	s_delay_alu instid0(VALU_DEP_3)
	v_cmpx_ne_u32_e64 v83, v86
	s_xor_b32 s10, exec_lo, s10
; %bb.10320:                            ;   in Loop: Header=BB6_9656 Depth=2
	s_delay_alu instid0(VALU_DEP_2) | instskip(SKIP_2) | instid1(VALU_DEP_2)
	v_cmp_lt_u32_e32 vcc_lo, 0xffffff, v82
	v_sub_nc_u32_e32 v66, v83, v86
	v_cndmask_b32_e64 v83, 0, 1, vcc_lo
	v_add_co_ci_u32_e32 v66, vcc_lo, 0, v66, vcc_lo
	s_delay_alu instid0(VALU_DEP_2)
	v_lshrrev_b32_e32 v82, v83, v82
; %bb.10321:                            ;   in Loop: Header=BB6_9656 Depth=2
	s_and_not1_saveexec_b32 s10, s10
; %bb.10322:                            ;   in Loop: Header=BB6_9656 Depth=2
	s_delay_alu instid0(VALU_DEP_1)
	v_bfe_u32 v66, v82, 23, 1
; %bb.10323:                            ;   in Loop: Header=BB6_9656 Depth=2
	s_or_b32 exec_lo, exec_lo, s10
	v_lshrrev_b32_e32 v82, 20, v82
	s_delay_alu instid0(VALU_DEP_2) | instskip(SKIP_2) | instid1(VALU_DEP_3)
	v_min_i32_e32 v83, 15, v66
	v_cmp_gt_i32_e32 vcc_lo, 16, v66
	v_lshrrev_b32_e32 v10, 24, v10
	v_dual_cndmask_b32 v82, 7, v82 :: v_dual_lshlrev_b32 v83, 3, v83
	s_delay_alu instid0(VALU_DEP_2) | instskip(NEXT) | instid1(VALU_DEP_2)
	v_and_b32_e32 v10, 0x80, v10
	v_and_b32_e32 v83, 0xf8, v83
	s_delay_alu instid0(VALU_DEP_3) | instskip(SKIP_1) | instid1(VALU_DEP_2)
	v_and_b32_e32 v86, 7, v82
	v_or_b32_e32 v66, v66, v82
	v_or3_b32 v10, v83, v10, v86
	s_delay_alu instid0(VALU_DEP_2) | instskip(NEXT) | instid1(VALU_DEP_2)
	v_cmp_ne_u32_e32 vcc_lo, 0, v66
	v_cndmask_b32_e32 v45, 0, v10, vcc_lo
.LBB6_10324:                            ;   in Loop: Header=BB6_9656 Depth=2
	s_or_b32 exec_lo, exec_lo, s24
.LBB6_10325:                            ;   in Loop: Header=BB6_9656 Depth=2
	s_delay_alu instid0(SALU_CYCLE_1) | instskip(SKIP_3) | instid1(VALU_DEP_1)
	s_or_b32 exec_lo, exec_lo, s23
	v_lshrrev_b32_e32 v10, 24, v11
	s_mov_b32 s10, 0
	s_mov_b32 s24, exec_lo
                                        ; implicit-def: $sgpr23
	v_cmpx_lt_i16_e32 0x7f, v10
	s_xor_b32 s24, exec_lo, s24
	s_cbranch_execnz .LBB6_11419
; %bb.10326:                            ;   in Loop: Header=BB6_9656 Depth=2
	s_or_saveexec_b32 s24, s24
	v_mov_b32_e32 v66, s23
	s_xor_b32 exec_lo, exec_lo, s24
	s_cbranch_execnz .LBB6_11422
.LBB6_10327:                            ;   in Loop: Header=BB6_9656 Depth=2
	s_or_b32 exec_lo, exec_lo, s24
	s_and_saveexec_b32 s23, s10
	s_cbranch_execz .LBB6_10329
.LBB6_10328:                            ;   in Loop: Header=BB6_9656 Depth=2
	v_bfe_u32 v66, v11, 24, 3
	s_delay_alu instid0(VALU_DEP_1) | instskip(NEXT) | instid1(VALU_DEP_1)
	v_clz_i32_u32_e32 v82, v66
	v_min_u32_e32 v82, 32, v82
	s_delay_alu instid0(VALU_DEP_1) | instskip(SKIP_1) | instid1(VALU_DEP_2)
	v_subrev_nc_u32_e32 v83, 28, v82
	v_sub_nc_u32_e32 v82, 29, v82
	v_lshlrev_b32_e32 v10, v83, v10
	v_bfe_u32 v83, v11, 27, 4
	v_and_b32_e32 v11, 0x80000000, v11
	s_delay_alu instid0(VALU_DEP_3) | instskip(NEXT) | instid1(VALU_DEP_3)
	v_and_b32_e32 v10, 7, v10
	v_cmp_eq_u32_e32 vcc_lo, 0, v83
	v_cndmask_b32_e32 v82, v83, v82, vcc_lo
	s_delay_alu instid0(VALU_DEP_3) | instskip(NEXT) | instid1(VALU_DEP_2)
	v_cndmask_b32_e32 v10, v66, v10, vcc_lo
	v_lshl_add_u32 v66, v82, 23, 0x3b800000
	s_delay_alu instid0(VALU_DEP_2) | instskip(NEXT) | instid1(VALU_DEP_1)
	v_lshlrev_b32_e32 v10, 20, v10
	v_or3_b32 v66, v11, v66, v10
.LBB6_10329:                            ;   in Loop: Header=BB6_9656 Depth=2
	s_or_b32 exec_lo, exec_lo, s23
	s_delay_alu instid0(VALU_DEP_1) | instskip(SKIP_2) | instid1(VALU_DEP_2)
	v_mul_f32_e32 v10, s22, v66
	v_mov_b32_e32 v46, 0x8000
	s_mov_b32 s23, exec_lo
	v_and_b32_e32 v11, 0x7f800000, v10
	s_delay_alu instid0(VALU_DEP_1)
	v_cmpx_ne_u32_e32 0x7f800000, v11
	s_cbranch_execz .LBB6_10337
; %bb.10330:                            ;   in Loop: Header=BB6_9656 Depth=2
	v_mov_b32_e32 v46, 0
	s_mov_b32 s24, exec_lo
	v_cmpx_ne_u32_e32 0, v10
	s_cbranch_execz .LBB6_10336
; %bb.10331:                            ;   in Loop: Header=BB6_9656 Depth=2
	v_bfe_u32 v11, v10, 23, 8
	v_and_b32_e32 v66, 0x7fffff, v10
	s_delay_alu instid0(VALU_DEP_2) | instskip(SKIP_1) | instid1(VALU_DEP_3)
	v_sub_nc_u32_e32 v82, 0x78, v11
	v_cmp_gt_u32_e32 vcc_lo, 0x79, v11
	v_or_b32_e32 v83, 0x800000, v66
	s_delay_alu instid0(VALU_DEP_3) | instskip(SKIP_2) | instid1(VALU_DEP_3)
	v_cndmask_b32_e32 v82, 0, v82, vcc_lo
	v_cmp_eq_u32_e32 vcc_lo, 0, v11
	v_add_nc_u32_e32 v11, 0xffffff89, v11
	v_cndmask_b32_e64 v82, v82, 0x77, vcc_lo
	v_cndmask_b32_e32 v66, v83, v66, vcc_lo
	s_delay_alu instid0(VALU_DEP_3) | instskip(NEXT) | instid1(VALU_DEP_3)
	v_cndmask_b32_e64 v11, v11, 0xffffff8a, vcc_lo
	v_lshl_add_u32 v83, 0x100000, v82, -1
	s_delay_alu instid0(VALU_DEP_3) | instskip(SKIP_1) | instid1(VALU_DEP_4)
	v_lshrrev_b32_e32 v86, v82, v66
	v_lshlrev_b32_e64 v96, v82, 0x80000
	v_add_nc_u32_e32 v82, v82, v11
	s_delay_alu instid0(VALU_DEP_4) | instskip(NEXT) | instid1(VALU_DEP_4)
	v_and_b32_e32 v66, v83, v66
	v_bfe_u32 v87, v86, 20, 1
	s_delay_alu instid0(VALU_DEP_2) | instskip(NEXT) | instid1(VALU_DEP_2)
	v_cmp_eq_u32_e64 s10, v66, v96
	v_add_nc_u32_e32 v83, -1, v87
	s_delay_alu instid0(VALU_DEP_1) | instskip(SKIP_2) | instid1(VALU_DEP_2)
	v_cndmask_b32_e64 v66, 0, v83, s10
	v_lshrrev_b32_e32 v83, 23, v86
	s_mov_b32 s10, exec_lo
	v_add_nc_u32_e32 v66, v66, v86
	s_delay_alu instid0(VALU_DEP_2) | instskip(NEXT) | instid1(VALU_DEP_2)
	v_xor_b32_e32 v83, 1, v83
	v_and_b32_e32 v11, 0xfffff, v66
	s_delay_alu instid0(VALU_DEP_1) | instskip(NEXT) | instid1(VALU_DEP_3)
	v_add_nc_u32_e32 v66, v11, v86
                                        ; implicit-def: $vgpr11
	v_cmpx_ne_u32_e64 v82, v83
	s_xor_b32 s10, exec_lo, s10
; %bb.10332:                            ;   in Loop: Header=BB6_9656 Depth=2
	s_delay_alu instid0(VALU_DEP_2) | instskip(SKIP_2) | instid1(VALU_DEP_2)
	v_cmp_lt_u32_e32 vcc_lo, 0xffffff, v66
	v_sub_nc_u32_e32 v11, v82, v83
	v_cndmask_b32_e64 v82, 0, 1, vcc_lo
	v_add_co_ci_u32_e32 v11, vcc_lo, 0, v11, vcc_lo
	s_delay_alu instid0(VALU_DEP_2)
	v_lshrrev_b32_e32 v66, v82, v66
; %bb.10333:                            ;   in Loop: Header=BB6_9656 Depth=2
	s_and_not1_saveexec_b32 s10, s10
; %bb.10334:                            ;   in Loop: Header=BB6_9656 Depth=2
	s_delay_alu instid0(VALU_DEP_1)
	v_bfe_u32 v11, v66, 23, 1
; %bb.10335:                            ;   in Loop: Header=BB6_9656 Depth=2
	s_or_b32 exec_lo, exec_lo, s10
	v_lshrrev_b32_e32 v66, 20, v66
	s_delay_alu instid0(VALU_DEP_2) | instskip(SKIP_2) | instid1(VALU_DEP_3)
	v_min_i32_e32 v82, 15, v11
	v_cmp_gt_i32_e32 vcc_lo, 16, v11
	v_lshrrev_b32_e32 v10, 24, v10
	v_lshlrev_b32_e32 v82, 3, v82
	v_cndmask_b32_e32 v66, 7, v66, vcc_lo
	s_delay_alu instid0(VALU_DEP_3) | instskip(NEXT) | instid1(VALU_DEP_3)
	v_and_b32_e32 v10, 0x80, v10
	v_and_b32_e32 v82, 0xf8, v82
	s_delay_alu instid0(VALU_DEP_3) | instskip(SKIP_1) | instid1(VALU_DEP_2)
	v_and_b32_e32 v83, 7, v66
	v_or_b32_e32 v11, v11, v66
	v_or3_b32 v10, v10, v82, v83
	s_delay_alu instid0(VALU_DEP_2) | instskip(NEXT) | instid1(VALU_DEP_2)
	v_cmp_ne_u32_e32 vcc_lo, 0, v11
	v_lshlrev_b32_e32 v10, 8, v10
	s_delay_alu instid0(VALU_DEP_1)
	v_cndmask_b32_e32 v46, 0, v10, vcc_lo
.LBB6_10336:                            ;   in Loop: Header=BB6_9656 Depth=2
	s_or_b32 exec_lo, exec_lo, s24
.LBB6_10337:                            ;   in Loop: Header=BB6_9656 Depth=2
	s_delay_alu instid0(SALU_CYCLE_1) | instskip(SKIP_3) | instid1(VALU_DEP_1)
	s_or_b32 exec_lo, exec_lo, s23
	v_and_b32_e32 v11, 0xff, v12
	s_mov_b32 s10, 0
	s_mov_b32 s24, exec_lo
                                        ; implicit-def: $sgpr23
	v_cmpx_lt_i16_e32 0x7f, v11
	s_xor_b32 s24, exec_lo, s24
	s_cbranch_execnz .LBB6_11423
; %bb.10338:                            ;   in Loop: Header=BB6_9656 Depth=2
	s_or_saveexec_b32 s24, s24
	v_mov_b32_e32 v10, s23
	s_xor_b32 exec_lo, exec_lo, s24
	s_cbranch_execnz .LBB6_11426
.LBB6_10339:                            ;   in Loop: Header=BB6_9656 Depth=2
	s_or_b32 exec_lo, exec_lo, s24
	s_and_saveexec_b32 s23, s10
	s_cbranch_execz .LBB6_10341
.LBB6_10340:                            ;   in Loop: Header=BB6_9656 Depth=2
	v_bfe_u32 v82, v12, 3, 4
	s_delay_alu instid0(VALU_DEP_1) | instskip(SKIP_1) | instid1(VALU_DEP_1)
	v_cmp_eq_u32_e32 vcc_lo, 0, v82
	v_and_b32_e32 v10, 7, v12
	v_clz_i32_u32_e32 v11, v10
	s_delay_alu instid0(VALU_DEP_1) | instskip(NEXT) | instid1(VALU_DEP_1)
	v_min_u32_e32 v11, 32, v11
	v_subrev_nc_u32_e32 v66, 28, v11
	v_sub_nc_u32_e32 v11, 29, v11
	s_delay_alu instid0(VALU_DEP_2) | instskip(NEXT) | instid1(VALU_DEP_1)
	v_lshlrev_b32_e32 v66, v66, v12
	v_dual_cndmask_b32 v11, v82, v11 :: v_dual_and_b32 v66, 7, v66
	v_lshlrev_b32_e32 v83, 24, v12
	s_delay_alu instid0(VALU_DEP_2) | instskip(NEXT) | instid1(VALU_DEP_3)
	v_lshl_add_u32 v11, v11, 23, 0x3b800000
	v_cndmask_b32_e32 v10, v10, v66, vcc_lo
	s_delay_alu instid0(VALU_DEP_3) | instskip(NEXT) | instid1(VALU_DEP_2)
	v_and_b32_e32 v66, 0x80000000, v83
	v_lshlrev_b32_e32 v10, 20, v10
	s_delay_alu instid0(VALU_DEP_1)
	v_or3_b32 v10, v66, v11, v10
.LBB6_10341:                            ;   in Loop: Header=BB6_9656 Depth=2
	s_or_b32 exec_lo, exec_lo, s23
	s_delay_alu instid0(VALU_DEP_1) | instskip(SKIP_1) | instid1(VALU_DEP_1)
	v_dual_mul_f32 v10, s22, v10 :: v_dual_mov_b32 v47, 0x80
	s_mov_b32 s23, exec_lo
	v_and_b32_e32 v11, 0x7f800000, v10
	s_delay_alu instid0(VALU_DEP_1)
	v_cmpx_ne_u32_e32 0x7f800000, v11
	s_cbranch_execz .LBB6_10349
; %bb.10342:                            ;   in Loop: Header=BB6_9656 Depth=2
	v_mov_b32_e32 v47, 0
	s_mov_b32 s24, exec_lo
	v_cmpx_ne_u32_e32 0, v10
	s_cbranch_execz .LBB6_10348
; %bb.10343:                            ;   in Loop: Header=BB6_9656 Depth=2
	v_bfe_u32 v11, v10, 23, 8
	v_and_b32_e32 v66, 0x7fffff, v10
	s_delay_alu instid0(VALU_DEP_2) | instskip(SKIP_1) | instid1(VALU_DEP_3)
	v_sub_nc_u32_e32 v82, 0x78, v11
	v_cmp_gt_u32_e32 vcc_lo, 0x79, v11
	v_or_b32_e32 v83, 0x800000, v66
	s_delay_alu instid0(VALU_DEP_3) | instskip(SKIP_2) | instid1(VALU_DEP_3)
	v_cndmask_b32_e32 v82, 0, v82, vcc_lo
	v_cmp_eq_u32_e32 vcc_lo, 0, v11
	v_add_nc_u32_e32 v11, 0xffffff89, v11
	v_cndmask_b32_e64 v82, v82, 0x77, vcc_lo
	v_cndmask_b32_e32 v66, v83, v66, vcc_lo
	s_delay_alu instid0(VALU_DEP_3) | instskip(NEXT) | instid1(VALU_DEP_3)
	v_cndmask_b32_e64 v11, v11, 0xffffff8a, vcc_lo
	v_lshl_add_u32 v83, 0x100000, v82, -1
	s_delay_alu instid0(VALU_DEP_3) | instskip(SKIP_1) | instid1(VALU_DEP_4)
	v_lshrrev_b32_e32 v86, v82, v66
	v_lshlrev_b32_e64 v96, v82, 0x80000
	v_add_nc_u32_e32 v82, v82, v11
	s_delay_alu instid0(VALU_DEP_4) | instskip(NEXT) | instid1(VALU_DEP_4)
	v_and_b32_e32 v66, v83, v66
	v_bfe_u32 v87, v86, 20, 1
	s_delay_alu instid0(VALU_DEP_2) | instskip(NEXT) | instid1(VALU_DEP_2)
	v_cmp_eq_u32_e64 s10, v66, v96
	v_add_nc_u32_e32 v83, -1, v87
	s_delay_alu instid0(VALU_DEP_1) | instskip(SKIP_2) | instid1(VALU_DEP_2)
	v_cndmask_b32_e64 v66, 0, v83, s10
	v_lshrrev_b32_e32 v83, 23, v86
	s_mov_b32 s10, exec_lo
	v_add_nc_u32_e32 v66, v66, v86
	s_delay_alu instid0(VALU_DEP_2) | instskip(NEXT) | instid1(VALU_DEP_2)
	v_xor_b32_e32 v83, 1, v83
	v_and_b32_e32 v11, 0xfffff, v66
	s_delay_alu instid0(VALU_DEP_1) | instskip(NEXT) | instid1(VALU_DEP_3)
	v_add_nc_u32_e32 v66, v11, v86
                                        ; implicit-def: $vgpr11
	v_cmpx_ne_u32_e64 v82, v83
	s_xor_b32 s10, exec_lo, s10
; %bb.10344:                            ;   in Loop: Header=BB6_9656 Depth=2
	s_delay_alu instid0(VALU_DEP_2) | instskip(SKIP_2) | instid1(VALU_DEP_2)
	v_cmp_lt_u32_e32 vcc_lo, 0xffffff, v66
	v_sub_nc_u32_e32 v11, v82, v83
	v_cndmask_b32_e64 v82, 0, 1, vcc_lo
	v_add_co_ci_u32_e32 v11, vcc_lo, 0, v11, vcc_lo
	s_delay_alu instid0(VALU_DEP_2)
	v_lshrrev_b32_e32 v66, v82, v66
; %bb.10345:                            ;   in Loop: Header=BB6_9656 Depth=2
	s_and_not1_saveexec_b32 s10, s10
; %bb.10346:                            ;   in Loop: Header=BB6_9656 Depth=2
	s_delay_alu instid0(VALU_DEP_1)
	v_bfe_u32 v11, v66, 23, 1
; %bb.10347:                            ;   in Loop: Header=BB6_9656 Depth=2
	s_or_b32 exec_lo, exec_lo, s10
	v_lshrrev_b32_e32 v66, 20, v66
	s_delay_alu instid0(VALU_DEP_2) | instskip(SKIP_2) | instid1(VALU_DEP_4)
	v_cmp_gt_i32_e32 vcc_lo, 16, v11
	v_lshrrev_b32_e32 v10, 24, v10
	v_min_i32_e32 v82, 15, v11
	v_cndmask_b32_e32 v66, 7, v66, vcc_lo
	s_delay_alu instid0(VALU_DEP_3) | instskip(NEXT) | instid1(VALU_DEP_3)
	v_and_b32_e32 v10, 0x80, v10
	v_lshlrev_b32_e32 v82, 3, v82
	s_delay_alu instid0(VALU_DEP_3) | instskip(SKIP_1) | instid1(VALU_DEP_2)
	v_and_b32_e32 v83, 7, v66
	v_or_b32_e32 v11, v11, v66
	v_or3_b32 v10, v82, v10, v83
	s_delay_alu instid0(VALU_DEP_2) | instskip(NEXT) | instid1(VALU_DEP_2)
	v_cmp_ne_u32_e32 vcc_lo, 0, v11
	v_cndmask_b32_e32 v47, 0, v10, vcc_lo
.LBB6_10348:                            ;   in Loop: Header=BB6_9656 Depth=2
	s_or_b32 exec_lo, exec_lo, s24
.LBB6_10349:                            ;   in Loop: Header=BB6_9656 Depth=2
	s_delay_alu instid0(SALU_CYCLE_1) | instskip(SKIP_3) | instid1(VALU_DEP_1)
	s_or_b32 exec_lo, exec_lo, s23
	v_lshrrev_b16 v10, 8, v12
	s_mov_b32 s10, 0
	s_mov_b32 s24, exec_lo
                                        ; implicit-def: $sgpr23
	v_cmpx_lt_i16_e32 0x7f, v10
	s_xor_b32 s24, exec_lo, s24
	s_cbranch_execnz .LBB6_11427
; %bb.10350:                            ;   in Loop: Header=BB6_9656 Depth=2
	s_or_saveexec_b32 s24, s24
	v_mov_b32_e32 v11, s23
	s_xor_b32 exec_lo, exec_lo, s24
	s_cbranch_execnz .LBB6_11430
.LBB6_10351:                            ;   in Loop: Header=BB6_9656 Depth=2
	s_or_b32 exec_lo, exec_lo, s24
	s_and_saveexec_b32 s23, s10
	s_cbranch_execz .LBB6_10353
.LBB6_10352:                            ;   in Loop: Header=BB6_9656 Depth=2
	v_and_b32_e32 v11, 0xffff, v10
	v_lshlrev_b32_e32 v10, 24, v10
	s_delay_alu instid0(VALU_DEP_2) | instskip(NEXT) | instid1(VALU_DEP_2)
	v_and_b32_e32 v66, 7, v11
	v_and_b32_e32 v10, 0x80000000, v10
	s_delay_alu instid0(VALU_DEP_2) | instskip(NEXT) | instid1(VALU_DEP_1)
	v_clz_i32_u32_e32 v82, v66
	v_min_u32_e32 v82, 32, v82
	s_delay_alu instid0(VALU_DEP_1) | instskip(SKIP_1) | instid1(VALU_DEP_2)
	v_subrev_nc_u32_e32 v83, 28, v82
	v_sub_nc_u32_e32 v82, 29, v82
	v_lshlrev_b32_e32 v83, v83, v11
	v_bfe_u32 v11, v11, 3, 4
	s_delay_alu instid0(VALU_DEP_2) | instskip(NEXT) | instid1(VALU_DEP_2)
	v_and_b32_e32 v83, 7, v83
	v_cmp_eq_u32_e32 vcc_lo, 0, v11
	s_delay_alu instid0(VALU_DEP_2) | instskip(NEXT) | instid1(VALU_DEP_1)
	v_dual_cndmask_b32 v11, v11, v82 :: v_dual_cndmask_b32 v66, v66, v83
	v_lshl_add_u32 v11, v11, 23, 0x3b800000
	s_delay_alu instid0(VALU_DEP_2) | instskip(NEXT) | instid1(VALU_DEP_1)
	v_lshlrev_b32_e32 v66, 20, v66
	v_or3_b32 v11, v10, v11, v66
.LBB6_10353:                            ;   in Loop: Header=BB6_9656 Depth=2
	s_or_b32 exec_lo, exec_lo, s23
	s_delay_alu instid0(VALU_DEP_1) | instskip(SKIP_2) | instid1(VALU_DEP_2)
	v_mul_f32_e32 v10, s22, v11
	v_mov_b32_e32 v56, 0x80
	s_mov_b32 s23, exec_lo
	v_and_b32_e32 v11, 0x7f800000, v10
	s_delay_alu instid0(VALU_DEP_1)
	v_cmpx_ne_u32_e32 0x7f800000, v11
	s_cbranch_execz .LBB6_10361
; %bb.10354:                            ;   in Loop: Header=BB6_9656 Depth=2
	v_mov_b32_e32 v56, 0
	s_mov_b32 s24, exec_lo
	v_cmpx_ne_u32_e32 0, v10
	s_cbranch_execz .LBB6_10360
; %bb.10355:                            ;   in Loop: Header=BB6_9656 Depth=2
	v_bfe_u32 v11, v10, 23, 8
	v_and_b32_e32 v66, 0x7fffff, v10
	s_delay_alu instid0(VALU_DEP_2) | instskip(SKIP_1) | instid1(VALU_DEP_3)
	v_sub_nc_u32_e32 v82, 0x78, v11
	v_cmp_gt_u32_e32 vcc_lo, 0x79, v11
	v_or_b32_e32 v83, 0x800000, v66
	s_delay_alu instid0(VALU_DEP_3) | instskip(SKIP_2) | instid1(VALU_DEP_3)
	v_cndmask_b32_e32 v82, 0, v82, vcc_lo
	v_cmp_eq_u32_e32 vcc_lo, 0, v11
	v_add_nc_u32_e32 v11, 0xffffff89, v11
	v_cndmask_b32_e64 v82, v82, 0x77, vcc_lo
	v_cndmask_b32_e32 v66, v83, v66, vcc_lo
	s_delay_alu instid0(VALU_DEP_3) | instskip(NEXT) | instid1(VALU_DEP_3)
	v_cndmask_b32_e64 v11, v11, 0xffffff8a, vcc_lo
	v_lshl_add_u32 v83, 0x100000, v82, -1
	s_delay_alu instid0(VALU_DEP_3) | instskip(SKIP_1) | instid1(VALU_DEP_4)
	v_lshrrev_b32_e32 v86, v82, v66
	v_lshlrev_b32_e64 v96, v82, 0x80000
	v_add_nc_u32_e32 v82, v82, v11
	s_delay_alu instid0(VALU_DEP_4) | instskip(NEXT) | instid1(VALU_DEP_4)
	v_and_b32_e32 v66, v83, v66
	v_bfe_u32 v87, v86, 20, 1
	s_delay_alu instid0(VALU_DEP_2) | instskip(NEXT) | instid1(VALU_DEP_2)
	v_cmp_eq_u32_e64 s10, v66, v96
	v_add_nc_u32_e32 v83, -1, v87
	s_delay_alu instid0(VALU_DEP_1) | instskip(SKIP_2) | instid1(VALU_DEP_2)
	v_cndmask_b32_e64 v66, 0, v83, s10
	v_lshrrev_b32_e32 v83, 23, v86
	s_mov_b32 s10, exec_lo
	v_add_nc_u32_e32 v66, v66, v86
	s_delay_alu instid0(VALU_DEP_2) | instskip(NEXT) | instid1(VALU_DEP_2)
	v_xor_b32_e32 v83, 1, v83
	v_and_b32_e32 v11, 0xfffff, v66
	s_delay_alu instid0(VALU_DEP_1) | instskip(NEXT) | instid1(VALU_DEP_3)
	v_add_nc_u32_e32 v66, v11, v86
                                        ; implicit-def: $vgpr11
	v_cmpx_ne_u32_e64 v82, v83
	s_xor_b32 s10, exec_lo, s10
; %bb.10356:                            ;   in Loop: Header=BB6_9656 Depth=2
	s_delay_alu instid0(VALU_DEP_2) | instskip(SKIP_2) | instid1(VALU_DEP_2)
	v_cmp_lt_u32_e32 vcc_lo, 0xffffff, v66
	v_sub_nc_u32_e32 v11, v82, v83
	v_cndmask_b32_e64 v82, 0, 1, vcc_lo
	v_add_co_ci_u32_e32 v11, vcc_lo, 0, v11, vcc_lo
	s_delay_alu instid0(VALU_DEP_2)
	v_lshrrev_b32_e32 v66, v82, v66
; %bb.10357:                            ;   in Loop: Header=BB6_9656 Depth=2
	s_and_not1_saveexec_b32 s10, s10
; %bb.10358:                            ;   in Loop: Header=BB6_9656 Depth=2
	s_delay_alu instid0(VALU_DEP_1)
	v_bfe_u32 v11, v66, 23, 1
; %bb.10359:                            ;   in Loop: Header=BB6_9656 Depth=2
	s_or_b32 exec_lo, exec_lo, s10
	v_lshrrev_b32_e32 v66, 20, v66
	s_delay_alu instid0(VALU_DEP_2) | instskip(SKIP_2) | instid1(VALU_DEP_4)
	v_cmp_gt_i32_e32 vcc_lo, 16, v11
	v_lshrrev_b32_e32 v10, 24, v10
	v_min_i32_e32 v82, 15, v11
	v_cndmask_b32_e32 v66, 7, v66, vcc_lo
	s_delay_alu instid0(VALU_DEP_3) | instskip(NEXT) | instid1(VALU_DEP_3)
	v_and_b32_e32 v10, 0x80, v10
	v_lshlrev_b32_e32 v82, 3, v82
	s_delay_alu instid0(VALU_DEP_3) | instskip(SKIP_1) | instid1(VALU_DEP_2)
	v_and_b32_e32 v83, 7, v66
	v_or_b32_e32 v11, v11, v66
	v_or3_b32 v10, v82, v10, v83
	s_delay_alu instid0(VALU_DEP_2) | instskip(NEXT) | instid1(VALU_DEP_2)
	v_cmp_ne_u32_e32 vcc_lo, 0, v11
	v_cndmask_b32_e32 v56, 0, v10, vcc_lo
.LBB6_10360:                            ;   in Loop: Header=BB6_9656 Depth=2
	s_or_b32 exec_lo, exec_lo, s24
.LBB6_10361:                            ;   in Loop: Header=BB6_9656 Depth=2
	s_delay_alu instid0(SALU_CYCLE_1) | instskip(SKIP_3) | instid1(VALU_DEP_1)
	s_or_b32 exec_lo, exec_lo, s23
	v_lshrrev_b32_e32 v10, 16, v12
	s_mov_b32 s10, 0
	s_mov_b32 s24, exec_lo
                                        ; implicit-def: $sgpr23
	v_and_b32_e32 v66, 0xff, v10
	s_delay_alu instid0(VALU_DEP_1)
	v_cmpx_lt_i16_e32 0x7f, v66
	s_xor_b32 s24, exec_lo, s24
	s_cbranch_execnz .LBB6_11431
; %bb.10362:                            ;   in Loop: Header=BB6_9656 Depth=2
	s_or_saveexec_b32 s24, s24
	v_mov_b32_e32 v11, s23
	s_xor_b32 exec_lo, exec_lo, s24
	s_cbranch_execnz .LBB6_11434
.LBB6_10363:                            ;   in Loop: Header=BB6_9656 Depth=2
	s_or_b32 exec_lo, exec_lo, s24
	s_and_saveexec_b32 s23, s10
	s_cbranch_execz .LBB6_10365
.LBB6_10364:                            ;   in Loop: Header=BB6_9656 Depth=2
	v_bfe_u32 v11, v12, 16, 3
	s_delay_alu instid0(VALU_DEP_1) | instskip(NEXT) | instid1(VALU_DEP_1)
	v_clz_i32_u32_e32 v66, v11
	v_min_u32_e32 v66, 32, v66
	s_delay_alu instid0(VALU_DEP_1) | instskip(SKIP_1) | instid1(VALU_DEP_2)
	v_subrev_nc_u32_e32 v82, 28, v66
	v_sub_nc_u32_e32 v66, 29, v66
	v_lshlrev_b32_e32 v10, v82, v10
	v_bfe_u32 v82, v12, 19, 4
	s_delay_alu instid0(VALU_DEP_2) | instskip(NEXT) | instid1(VALU_DEP_2)
	v_and_b32_e32 v10, 7, v10
	v_cmp_eq_u32_e32 vcc_lo, 0, v82
	v_dual_cndmask_b32 v66, v82, v66 :: v_dual_lshlrev_b32 v83, 8, v12
	s_delay_alu instid0(VALU_DEP_1) | instskip(NEXT) | instid1(VALU_DEP_2)
	v_dual_cndmask_b32 v10, v11, v10 :: v_dual_and_b32 v11, 0x80000000, v83
	v_lshl_add_u32 v66, v66, 23, 0x3b800000
	s_delay_alu instid0(VALU_DEP_2) | instskip(NEXT) | instid1(VALU_DEP_1)
	v_lshlrev_b32_e32 v10, 20, v10
	v_or3_b32 v11, v11, v66, v10
.LBB6_10365:                            ;   in Loop: Header=BB6_9656 Depth=2
	s_or_b32 exec_lo, exec_lo, s23
	s_delay_alu instid0(VALU_DEP_1) | instskip(SKIP_1) | instid1(VALU_DEP_1)
	v_dual_mul_f32 v10, s22, v11 :: v_dual_mov_b32 v57, 0x80
	s_mov_b32 s23, exec_lo
	v_and_b32_e32 v11, 0x7f800000, v10
	s_delay_alu instid0(VALU_DEP_1)
	v_cmpx_ne_u32_e32 0x7f800000, v11
	s_cbranch_execz .LBB6_10373
; %bb.10366:                            ;   in Loop: Header=BB6_9656 Depth=2
	v_mov_b32_e32 v57, 0
	s_mov_b32 s24, exec_lo
	v_cmpx_ne_u32_e32 0, v10
	s_cbranch_execz .LBB6_10372
; %bb.10367:                            ;   in Loop: Header=BB6_9656 Depth=2
	v_bfe_u32 v11, v10, 23, 8
	v_and_b32_e32 v66, 0x7fffff, v10
	s_delay_alu instid0(VALU_DEP_2) | instskip(SKIP_1) | instid1(VALU_DEP_3)
	v_sub_nc_u32_e32 v82, 0x78, v11
	v_cmp_gt_u32_e32 vcc_lo, 0x79, v11
	v_or_b32_e32 v83, 0x800000, v66
	s_delay_alu instid0(VALU_DEP_3) | instskip(SKIP_2) | instid1(VALU_DEP_3)
	v_cndmask_b32_e32 v82, 0, v82, vcc_lo
	v_cmp_eq_u32_e32 vcc_lo, 0, v11
	v_add_nc_u32_e32 v11, 0xffffff89, v11
	v_cndmask_b32_e64 v82, v82, 0x77, vcc_lo
	v_cndmask_b32_e32 v66, v83, v66, vcc_lo
	s_delay_alu instid0(VALU_DEP_3) | instskip(NEXT) | instid1(VALU_DEP_3)
	v_cndmask_b32_e64 v11, v11, 0xffffff8a, vcc_lo
	v_lshl_add_u32 v83, 0x100000, v82, -1
	s_delay_alu instid0(VALU_DEP_3) | instskip(SKIP_1) | instid1(VALU_DEP_4)
	v_lshrrev_b32_e32 v86, v82, v66
	v_lshlrev_b32_e64 v96, v82, 0x80000
	v_add_nc_u32_e32 v82, v82, v11
	s_delay_alu instid0(VALU_DEP_4) | instskip(NEXT) | instid1(VALU_DEP_4)
	v_and_b32_e32 v66, v83, v66
	v_bfe_u32 v87, v86, 20, 1
	s_delay_alu instid0(VALU_DEP_2) | instskip(NEXT) | instid1(VALU_DEP_2)
	v_cmp_eq_u32_e64 s10, v66, v96
	v_add_nc_u32_e32 v83, -1, v87
	s_delay_alu instid0(VALU_DEP_1) | instskip(SKIP_2) | instid1(VALU_DEP_2)
	v_cndmask_b32_e64 v66, 0, v83, s10
	v_lshrrev_b32_e32 v83, 23, v86
	s_mov_b32 s10, exec_lo
	v_add_nc_u32_e32 v66, v66, v86
	s_delay_alu instid0(VALU_DEP_2) | instskip(NEXT) | instid1(VALU_DEP_2)
	v_xor_b32_e32 v83, 1, v83
	v_and_b32_e32 v11, 0xfffff, v66
	s_delay_alu instid0(VALU_DEP_1) | instskip(NEXT) | instid1(VALU_DEP_3)
	v_add_nc_u32_e32 v66, v11, v86
                                        ; implicit-def: $vgpr11
	v_cmpx_ne_u32_e64 v82, v83
	s_xor_b32 s10, exec_lo, s10
; %bb.10368:                            ;   in Loop: Header=BB6_9656 Depth=2
	s_delay_alu instid0(VALU_DEP_2) | instskip(SKIP_2) | instid1(VALU_DEP_2)
	v_cmp_lt_u32_e32 vcc_lo, 0xffffff, v66
	v_sub_nc_u32_e32 v11, v82, v83
	v_cndmask_b32_e64 v82, 0, 1, vcc_lo
	v_add_co_ci_u32_e32 v11, vcc_lo, 0, v11, vcc_lo
	s_delay_alu instid0(VALU_DEP_2)
	v_lshrrev_b32_e32 v66, v82, v66
; %bb.10369:                            ;   in Loop: Header=BB6_9656 Depth=2
	s_and_not1_saveexec_b32 s10, s10
; %bb.10370:                            ;   in Loop: Header=BB6_9656 Depth=2
	s_delay_alu instid0(VALU_DEP_1)
	v_bfe_u32 v11, v66, 23, 1
; %bb.10371:                            ;   in Loop: Header=BB6_9656 Depth=2
	s_or_b32 exec_lo, exec_lo, s10
	v_lshrrev_b32_e32 v66, 20, v66
	s_delay_alu instid0(VALU_DEP_2) | instskip(SKIP_2) | instid1(VALU_DEP_4)
	v_cmp_gt_i32_e32 vcc_lo, 16, v11
	v_lshrrev_b32_e32 v10, 24, v10
	v_min_i32_e32 v82, 15, v11
	v_cndmask_b32_e32 v66, 7, v66, vcc_lo
	s_delay_alu instid0(VALU_DEP_3) | instskip(NEXT) | instid1(VALU_DEP_3)
	v_and_b32_e32 v10, 0x80, v10
	v_lshlrev_b32_e32 v82, 3, v82
	s_delay_alu instid0(VALU_DEP_3) | instskip(SKIP_1) | instid1(VALU_DEP_2)
	v_and_b32_e32 v83, 7, v66
	v_or_b32_e32 v11, v11, v66
	v_or3_b32 v10, v82, v10, v83
	s_delay_alu instid0(VALU_DEP_2) | instskip(NEXT) | instid1(VALU_DEP_2)
	v_cmp_ne_u32_e32 vcc_lo, 0, v11
	v_cndmask_b32_e32 v57, 0, v10, vcc_lo
.LBB6_10372:                            ;   in Loop: Header=BB6_9656 Depth=2
	s_or_b32 exec_lo, exec_lo, s24
.LBB6_10373:                            ;   in Loop: Header=BB6_9656 Depth=2
	s_delay_alu instid0(SALU_CYCLE_1) | instskip(SKIP_3) | instid1(VALU_DEP_1)
	s_or_b32 exec_lo, exec_lo, s23
	v_lshrrev_b32_e32 v10, 24, v12
	s_mov_b32 s10, 0
	s_mov_b32 s24, exec_lo
                                        ; implicit-def: $sgpr23
	v_cmpx_lt_i16_e32 0x7f, v10
	s_xor_b32 s24, exec_lo, s24
	s_cbranch_execnz .LBB6_11435
; %bb.10374:                            ;   in Loop: Header=BB6_9656 Depth=2
	s_or_saveexec_b32 s24, s24
	v_mov_b32_e32 v11, s23
	s_xor_b32 exec_lo, exec_lo, s24
	s_cbranch_execnz .LBB6_11438
.LBB6_10375:                            ;   in Loop: Header=BB6_9656 Depth=2
	s_or_b32 exec_lo, exec_lo, s24
	s_and_saveexec_b32 s23, s10
	s_cbranch_execz .LBB6_10377
.LBB6_10376:                            ;   in Loop: Header=BB6_9656 Depth=2
	v_bfe_u32 v11, v12, 24, 3
	s_delay_alu instid0(VALU_DEP_1) | instskip(NEXT) | instid1(VALU_DEP_1)
	v_clz_i32_u32_e32 v66, v11
	v_min_u32_e32 v66, 32, v66
	s_delay_alu instid0(VALU_DEP_1) | instskip(SKIP_1) | instid1(VALU_DEP_2)
	v_subrev_nc_u32_e32 v82, 28, v66
	v_sub_nc_u32_e32 v66, 29, v66
	v_lshlrev_b32_e32 v10, v82, v10
	v_bfe_u32 v82, v12, 27, 4
	s_delay_alu instid0(VALU_DEP_2) | instskip(NEXT) | instid1(VALU_DEP_2)
	v_and_b32_e32 v10, 7, v10
	v_cmp_eq_u32_e32 vcc_lo, 0, v82
	v_cndmask_b32_e32 v66, v82, v66, vcc_lo
	s_delay_alu instid0(VALU_DEP_3) | instskip(NEXT) | instid1(VALU_DEP_2)
	v_dual_cndmask_b32 v10, v11, v10 :: v_dual_and_b32 v11, 0x80000000, v12
	v_lshl_add_u32 v12, v66, 23, 0x3b800000
	s_delay_alu instid0(VALU_DEP_2) | instskip(NEXT) | instid1(VALU_DEP_1)
	v_lshlrev_b32_e32 v10, 20, v10
	v_or3_b32 v11, v11, v12, v10
.LBB6_10377:                            ;   in Loop: Header=BB6_9656 Depth=2
	s_or_b32 exec_lo, exec_lo, s23
	s_delay_alu instid0(VALU_DEP_1) | instskip(SKIP_2) | instid1(VALU_DEP_2)
	v_mul_f32_e32 v10, s22, v11
	v_mov_b32_e32 v58, 0x80
	s_mov_b32 s23, exec_lo
	v_and_b32_e32 v11, 0x7f800000, v10
	s_delay_alu instid0(VALU_DEP_1)
	v_cmpx_ne_u32_e32 0x7f800000, v11
	s_cbranch_execz .LBB6_10385
; %bb.10378:                            ;   in Loop: Header=BB6_9656 Depth=2
	v_mov_b32_e32 v58, 0
	s_mov_b32 s24, exec_lo
	v_cmpx_ne_u32_e32 0, v10
	s_cbranch_execz .LBB6_10384
; %bb.10379:                            ;   in Loop: Header=BB6_9656 Depth=2
	v_bfe_u32 v11, v10, 23, 8
	v_and_b32_e32 v12, 0x7fffff, v10
	s_delay_alu instid0(VALU_DEP_2) | instskip(SKIP_1) | instid1(VALU_DEP_3)
	v_sub_nc_u32_e32 v66, 0x78, v11
	v_cmp_gt_u32_e32 vcc_lo, 0x79, v11
	v_or_b32_e32 v82, 0x800000, v12
	s_delay_alu instid0(VALU_DEP_3) | instskip(SKIP_2) | instid1(VALU_DEP_3)
	v_cndmask_b32_e32 v66, 0, v66, vcc_lo
	v_cmp_eq_u32_e32 vcc_lo, 0, v11
	v_add_nc_u32_e32 v11, 0xffffff89, v11
	v_cndmask_b32_e64 v66, v66, 0x77, vcc_lo
	v_cndmask_b32_e32 v12, v82, v12, vcc_lo
	s_delay_alu instid0(VALU_DEP_3) | instskip(NEXT) | instid1(VALU_DEP_3)
	v_cndmask_b32_e64 v11, v11, 0xffffff8a, vcc_lo
	v_lshl_add_u32 v82, 0x100000, v66, -1
	s_delay_alu instid0(VALU_DEP_3) | instskip(SKIP_1) | instid1(VALU_DEP_4)
	v_lshrrev_b32_e32 v83, v66, v12
	v_lshlrev_b32_e64 v87, v66, 0x80000
	v_add_nc_u32_e32 v66, v66, v11
	s_delay_alu instid0(VALU_DEP_4) | instskip(NEXT) | instid1(VALU_DEP_4)
	v_and_b32_e32 v12, v82, v12
	v_bfe_u32 v86, v83, 20, 1
	s_delay_alu instid0(VALU_DEP_2) | instskip(NEXT) | instid1(VALU_DEP_2)
	v_cmp_eq_u32_e64 s10, v12, v87
	v_add_nc_u32_e32 v82, -1, v86
	s_delay_alu instid0(VALU_DEP_1) | instskip(SKIP_2) | instid1(VALU_DEP_2)
	v_cndmask_b32_e64 v12, 0, v82, s10
	v_lshrrev_b32_e32 v82, 23, v83
	s_mov_b32 s10, exec_lo
	v_add_nc_u32_e32 v12, v12, v83
	s_delay_alu instid0(VALU_DEP_2) | instskip(NEXT) | instid1(VALU_DEP_2)
	v_xor_b32_e32 v82, 1, v82
	v_and_b32_e32 v11, 0xfffff, v12
	s_delay_alu instid0(VALU_DEP_1) | instskip(NEXT) | instid1(VALU_DEP_3)
	v_add_nc_u32_e32 v12, v11, v83
                                        ; implicit-def: $vgpr11
	v_cmpx_ne_u32_e64 v66, v82
	s_xor_b32 s10, exec_lo, s10
; %bb.10380:                            ;   in Loop: Header=BB6_9656 Depth=2
	s_delay_alu instid0(VALU_DEP_2) | instskip(SKIP_2) | instid1(VALU_DEP_2)
	v_cmp_lt_u32_e32 vcc_lo, 0xffffff, v12
	v_sub_nc_u32_e32 v11, v66, v82
	v_cndmask_b32_e64 v66, 0, 1, vcc_lo
	v_add_co_ci_u32_e32 v11, vcc_lo, 0, v11, vcc_lo
	s_delay_alu instid0(VALU_DEP_2)
	v_lshrrev_b32_e32 v12, v66, v12
; %bb.10381:                            ;   in Loop: Header=BB6_9656 Depth=2
	s_and_not1_saveexec_b32 s10, s10
; %bb.10382:                            ;   in Loop: Header=BB6_9656 Depth=2
	s_delay_alu instid0(VALU_DEP_1)
	v_bfe_u32 v11, v12, 23, 1
; %bb.10383:                            ;   in Loop: Header=BB6_9656 Depth=2
	s_or_b32 exec_lo, exec_lo, s10
	v_lshrrev_b32_e32 v12, 20, v12
	s_delay_alu instid0(VALU_DEP_2) | instskip(SKIP_2) | instid1(VALU_DEP_4)
	v_cmp_gt_i32_e32 vcc_lo, 16, v11
	v_lshrrev_b32_e32 v10, 24, v10
	v_min_i32_e32 v66, 15, v11
	v_cndmask_b32_e32 v12, 7, v12, vcc_lo
	s_delay_alu instid0(VALU_DEP_3) | instskip(NEXT) | instid1(VALU_DEP_3)
	v_and_b32_e32 v10, 0x80, v10
	v_lshlrev_b32_e32 v66, 3, v66
	s_delay_alu instid0(VALU_DEP_3) | instskip(SKIP_1) | instid1(VALU_DEP_2)
	v_and_b32_e32 v82, 7, v12
	v_or_b32_e32 v11, v11, v12
	v_or3_b32 v10, v66, v10, v82
	s_delay_alu instid0(VALU_DEP_2) | instskip(NEXT) | instid1(VALU_DEP_2)
	v_cmp_ne_u32_e32 vcc_lo, 0, v11
	v_cndmask_b32_e32 v58, 0, v10, vcc_lo
.LBB6_10384:                            ;   in Loop: Header=BB6_9656 Depth=2
	s_or_b32 exec_lo, exec_lo, s24
.LBB6_10385:                            ;   in Loop: Header=BB6_9656 Depth=2
	s_delay_alu instid0(SALU_CYCLE_1) | instskip(SKIP_3) | instid1(VALU_DEP_1)
	s_or_b32 exec_lo, exec_lo, s23
	v_and_b32_e32 v11, 0xff, v13
	s_mov_b32 s10, 0
	s_mov_b32 s24, exec_lo
                                        ; implicit-def: $sgpr23
	v_cmpx_lt_i16_e32 0x7f, v11
	s_xor_b32 s24, exec_lo, s24
	s_cbranch_execnz .LBB6_11439
; %bb.10386:                            ;   in Loop: Header=BB6_9656 Depth=2
	s_or_saveexec_b32 s24, s24
	v_mov_b32_e32 v10, s23
	s_xor_b32 exec_lo, exec_lo, s24
	s_cbranch_execnz .LBB6_11442
.LBB6_10387:                            ;   in Loop: Header=BB6_9656 Depth=2
	s_or_b32 exec_lo, exec_lo, s24
	s_and_saveexec_b32 s23, s10
	s_cbranch_execz .LBB6_10389
.LBB6_10388:                            ;   in Loop: Header=BB6_9656 Depth=2
	v_bfe_u32 v66, v13, 3, 4
	v_lshlrev_b32_e32 v82, 24, v13
	s_delay_alu instid0(VALU_DEP_2) | instskip(SKIP_1) | instid1(VALU_DEP_1)
	v_cmp_eq_u32_e32 vcc_lo, 0, v66
	v_and_b32_e32 v10, 7, v13
	v_clz_i32_u32_e32 v11, v10
	s_delay_alu instid0(VALU_DEP_1) | instskip(NEXT) | instid1(VALU_DEP_1)
	v_min_u32_e32 v11, 32, v11
	v_subrev_nc_u32_e32 v12, 28, v11
	v_sub_nc_u32_e32 v11, 29, v11
	s_delay_alu instid0(VALU_DEP_1) | instskip(NEXT) | instid1(VALU_DEP_1)
	v_dual_cndmask_b32 v11, v66, v11 :: v_dual_lshlrev_b32 v12, v12, v13
	v_and_b32_e32 v12, 7, v12
	s_delay_alu instid0(VALU_DEP_2) | instskip(NEXT) | instid1(VALU_DEP_2)
	v_lshl_add_u32 v11, v11, 23, 0x3b800000
	v_cndmask_b32_e32 v10, v10, v12, vcc_lo
	v_and_b32_e32 v12, 0x80000000, v82
	s_delay_alu instid0(VALU_DEP_2) | instskip(NEXT) | instid1(VALU_DEP_1)
	v_lshlrev_b32_e32 v10, 20, v10
	v_or3_b32 v10, v12, v11, v10
.LBB6_10389:                            ;   in Loop: Header=BB6_9656 Depth=2
	s_or_b32 exec_lo, exec_lo, s23
	s_delay_alu instid0(VALU_DEP_1) | instskip(SKIP_1) | instid1(VALU_DEP_1)
	v_dual_mul_f32 v10, s22, v10 :: v_dual_mov_b32 v59, 0x80
	s_mov_b32 s23, exec_lo
	v_and_b32_e32 v11, 0x7f800000, v10
	s_delay_alu instid0(VALU_DEP_1)
	v_cmpx_ne_u32_e32 0x7f800000, v11
	s_cbranch_execz .LBB6_10397
; %bb.10390:                            ;   in Loop: Header=BB6_9656 Depth=2
	v_mov_b32_e32 v59, 0
	s_mov_b32 s24, exec_lo
	v_cmpx_ne_u32_e32 0, v10
	s_cbranch_execz .LBB6_10396
; %bb.10391:                            ;   in Loop: Header=BB6_9656 Depth=2
	v_bfe_u32 v11, v10, 23, 8
	v_and_b32_e32 v12, 0x7fffff, v10
	s_delay_alu instid0(VALU_DEP_2) | instskip(SKIP_1) | instid1(VALU_DEP_3)
	v_sub_nc_u32_e32 v66, 0x78, v11
	v_cmp_gt_u32_e32 vcc_lo, 0x79, v11
	v_or_b32_e32 v82, 0x800000, v12
	s_delay_alu instid0(VALU_DEP_3) | instskip(SKIP_2) | instid1(VALU_DEP_3)
	v_cndmask_b32_e32 v66, 0, v66, vcc_lo
	v_cmp_eq_u32_e32 vcc_lo, 0, v11
	v_add_nc_u32_e32 v11, 0xffffff89, v11
	v_cndmask_b32_e64 v66, v66, 0x77, vcc_lo
	v_cndmask_b32_e32 v12, v82, v12, vcc_lo
	s_delay_alu instid0(VALU_DEP_3) | instskip(NEXT) | instid1(VALU_DEP_3)
	v_cndmask_b32_e64 v11, v11, 0xffffff8a, vcc_lo
	v_lshl_add_u32 v82, 0x100000, v66, -1
	s_delay_alu instid0(VALU_DEP_3) | instskip(SKIP_1) | instid1(VALU_DEP_4)
	v_lshrrev_b32_e32 v83, v66, v12
	v_lshlrev_b32_e64 v87, v66, 0x80000
	v_add_nc_u32_e32 v66, v66, v11
	s_delay_alu instid0(VALU_DEP_4) | instskip(NEXT) | instid1(VALU_DEP_4)
	v_and_b32_e32 v12, v82, v12
	v_bfe_u32 v86, v83, 20, 1
	s_delay_alu instid0(VALU_DEP_2) | instskip(NEXT) | instid1(VALU_DEP_2)
	v_cmp_eq_u32_e64 s10, v12, v87
	v_add_nc_u32_e32 v82, -1, v86
	s_delay_alu instid0(VALU_DEP_1) | instskip(SKIP_2) | instid1(VALU_DEP_2)
	v_cndmask_b32_e64 v12, 0, v82, s10
	v_lshrrev_b32_e32 v82, 23, v83
	s_mov_b32 s10, exec_lo
	v_add_nc_u32_e32 v12, v12, v83
	s_delay_alu instid0(VALU_DEP_2) | instskip(NEXT) | instid1(VALU_DEP_2)
	v_xor_b32_e32 v82, 1, v82
	v_and_b32_e32 v11, 0xfffff, v12
	s_delay_alu instid0(VALU_DEP_1) | instskip(NEXT) | instid1(VALU_DEP_3)
	v_add_nc_u32_e32 v12, v11, v83
                                        ; implicit-def: $vgpr11
	v_cmpx_ne_u32_e64 v66, v82
	s_xor_b32 s10, exec_lo, s10
; %bb.10392:                            ;   in Loop: Header=BB6_9656 Depth=2
	s_delay_alu instid0(VALU_DEP_2) | instskip(SKIP_2) | instid1(VALU_DEP_2)
	v_cmp_lt_u32_e32 vcc_lo, 0xffffff, v12
	v_sub_nc_u32_e32 v11, v66, v82
	v_cndmask_b32_e64 v66, 0, 1, vcc_lo
	v_add_co_ci_u32_e32 v11, vcc_lo, 0, v11, vcc_lo
	s_delay_alu instid0(VALU_DEP_2)
	v_lshrrev_b32_e32 v12, v66, v12
; %bb.10393:                            ;   in Loop: Header=BB6_9656 Depth=2
	s_and_not1_saveexec_b32 s10, s10
; %bb.10394:                            ;   in Loop: Header=BB6_9656 Depth=2
	s_delay_alu instid0(VALU_DEP_1)
	v_bfe_u32 v11, v12, 23, 1
; %bb.10395:                            ;   in Loop: Header=BB6_9656 Depth=2
	s_or_b32 exec_lo, exec_lo, s10
	v_lshrrev_b32_e32 v12, 20, v12
	s_delay_alu instid0(VALU_DEP_2) | instskip(SKIP_2) | instid1(VALU_DEP_3)
	v_min_i32_e32 v66, 15, v11
	v_cmp_gt_i32_e32 vcc_lo, 16, v11
	v_lshrrev_b32_e32 v10, 24, v10
	v_lshlrev_b32_e32 v66, 3, v66
	v_cndmask_b32_e32 v12, 7, v12, vcc_lo
	s_delay_alu instid0(VALU_DEP_3) | instskip(NEXT) | instid1(VALU_DEP_3)
	v_and_b32_e32 v10, 0x80, v10
	v_and_b32_e32 v66, 0xf8, v66
	s_delay_alu instid0(VALU_DEP_3) | instskip(SKIP_1) | instid1(VALU_DEP_2)
	v_and_b32_e32 v82, 7, v12
	v_or_b32_e32 v11, v11, v12
	v_or3_b32 v10, v66, v10, v82
	s_delay_alu instid0(VALU_DEP_2) | instskip(NEXT) | instid1(VALU_DEP_2)
	v_cmp_ne_u32_e32 vcc_lo, 0, v11
	v_cndmask_b32_e32 v59, 0, v10, vcc_lo
.LBB6_10396:                            ;   in Loop: Header=BB6_9656 Depth=2
	s_or_b32 exec_lo, exec_lo, s24
.LBB6_10397:                            ;   in Loop: Header=BB6_9656 Depth=2
	s_delay_alu instid0(SALU_CYCLE_1) | instskip(SKIP_3) | instid1(VALU_DEP_1)
	s_or_b32 exec_lo, exec_lo, s23
	v_lshrrev_b16 v10, 8, v13
	s_mov_b32 s10, 0
	s_mov_b32 s24, exec_lo
                                        ; implicit-def: $sgpr23
	v_cmpx_lt_i16_e32 0x7f, v10
	s_xor_b32 s24, exec_lo, s24
	s_cbranch_execnz .LBB6_11443
; %bb.10398:                            ;   in Loop: Header=BB6_9656 Depth=2
	s_or_saveexec_b32 s24, s24
	v_mov_b32_e32 v11, s23
	s_xor_b32 exec_lo, exec_lo, s24
	s_cbranch_execnz .LBB6_11446
.LBB6_10399:                            ;   in Loop: Header=BB6_9656 Depth=2
	s_or_b32 exec_lo, exec_lo, s24
	s_and_saveexec_b32 s23, s10
	s_cbranch_execz .LBB6_10401
.LBB6_10400:                            ;   in Loop: Header=BB6_9656 Depth=2
	v_and_b32_e32 v11, 0xffff, v10
	v_lshlrev_b32_e32 v10, 24, v10
	s_delay_alu instid0(VALU_DEP_2) | instskip(NEXT) | instid1(VALU_DEP_2)
	v_and_b32_e32 v12, 7, v11
	v_and_b32_e32 v10, 0x80000000, v10
	s_delay_alu instid0(VALU_DEP_2) | instskip(NEXT) | instid1(VALU_DEP_1)
	v_clz_i32_u32_e32 v66, v12
	v_min_u32_e32 v66, 32, v66
	s_delay_alu instid0(VALU_DEP_1) | instskip(SKIP_1) | instid1(VALU_DEP_2)
	v_subrev_nc_u32_e32 v82, 28, v66
	v_sub_nc_u32_e32 v66, 29, v66
	v_lshlrev_b32_e32 v82, v82, v11
	v_bfe_u32 v11, v11, 3, 4
	s_delay_alu instid0(VALU_DEP_2) | instskip(NEXT) | instid1(VALU_DEP_2)
	v_and_b32_e32 v82, 7, v82
	v_cmp_eq_u32_e32 vcc_lo, 0, v11
	v_cndmask_b32_e32 v11, v11, v66, vcc_lo
	s_delay_alu instid0(VALU_DEP_3) | instskip(NEXT) | instid1(VALU_DEP_2)
	v_cndmask_b32_e32 v12, v12, v82, vcc_lo
	v_lshl_add_u32 v11, v11, 23, 0x3b800000
	s_delay_alu instid0(VALU_DEP_2) | instskip(NEXT) | instid1(VALU_DEP_1)
	v_lshlrev_b32_e32 v12, 20, v12
	v_or3_b32 v11, v10, v11, v12
.LBB6_10401:                            ;   in Loop: Header=BB6_9656 Depth=2
	s_or_b32 exec_lo, exec_lo, s23
	s_delay_alu instid0(VALU_DEP_1) | instskip(SKIP_2) | instid1(VALU_DEP_2)
	v_mul_f32_e32 v10, s22, v11
	v_mov_b32_e32 v60, 0x8000
	s_mov_b32 s23, exec_lo
	v_and_b32_e32 v11, 0x7f800000, v10
	s_delay_alu instid0(VALU_DEP_1)
	v_cmpx_ne_u32_e32 0x7f800000, v11
	s_cbranch_execz .LBB6_10409
; %bb.10402:                            ;   in Loop: Header=BB6_9656 Depth=2
	v_mov_b32_e32 v60, 0
	s_mov_b32 s24, exec_lo
	v_cmpx_ne_u32_e32 0, v10
	s_cbranch_execz .LBB6_10408
; %bb.10403:                            ;   in Loop: Header=BB6_9656 Depth=2
	v_bfe_u32 v11, v10, 23, 8
	v_and_b32_e32 v12, 0x7fffff, v10
	s_delay_alu instid0(VALU_DEP_2) | instskip(SKIP_1) | instid1(VALU_DEP_3)
	v_sub_nc_u32_e32 v66, 0x78, v11
	v_cmp_gt_u32_e32 vcc_lo, 0x79, v11
	v_or_b32_e32 v82, 0x800000, v12
	s_delay_alu instid0(VALU_DEP_3) | instskip(SKIP_2) | instid1(VALU_DEP_3)
	v_cndmask_b32_e32 v66, 0, v66, vcc_lo
	v_cmp_eq_u32_e32 vcc_lo, 0, v11
	v_add_nc_u32_e32 v11, 0xffffff89, v11
	v_cndmask_b32_e64 v66, v66, 0x77, vcc_lo
	v_cndmask_b32_e32 v12, v82, v12, vcc_lo
	s_delay_alu instid0(VALU_DEP_3) | instskip(NEXT) | instid1(VALU_DEP_3)
	v_cndmask_b32_e64 v11, v11, 0xffffff8a, vcc_lo
	v_lshl_add_u32 v82, 0x100000, v66, -1
	s_delay_alu instid0(VALU_DEP_3) | instskip(SKIP_1) | instid1(VALU_DEP_4)
	v_lshrrev_b32_e32 v83, v66, v12
	v_lshlrev_b32_e64 v87, v66, 0x80000
	v_add_nc_u32_e32 v66, v66, v11
	s_delay_alu instid0(VALU_DEP_4) | instskip(NEXT) | instid1(VALU_DEP_4)
	v_and_b32_e32 v12, v82, v12
	v_bfe_u32 v86, v83, 20, 1
	s_delay_alu instid0(VALU_DEP_2) | instskip(NEXT) | instid1(VALU_DEP_2)
	v_cmp_eq_u32_e64 s10, v12, v87
	v_add_nc_u32_e32 v82, -1, v86
	s_delay_alu instid0(VALU_DEP_1) | instskip(SKIP_2) | instid1(VALU_DEP_2)
	v_cndmask_b32_e64 v12, 0, v82, s10
	v_lshrrev_b32_e32 v82, 23, v83
	s_mov_b32 s10, exec_lo
	v_add_nc_u32_e32 v12, v12, v83
	s_delay_alu instid0(VALU_DEP_2) | instskip(NEXT) | instid1(VALU_DEP_2)
	v_xor_b32_e32 v82, 1, v82
	v_and_b32_e32 v11, 0xfffff, v12
	s_delay_alu instid0(VALU_DEP_1) | instskip(NEXT) | instid1(VALU_DEP_3)
	v_add_nc_u32_e32 v12, v11, v83
                                        ; implicit-def: $vgpr11
	v_cmpx_ne_u32_e64 v66, v82
	s_xor_b32 s10, exec_lo, s10
; %bb.10404:                            ;   in Loop: Header=BB6_9656 Depth=2
	s_delay_alu instid0(VALU_DEP_2) | instskip(SKIP_2) | instid1(VALU_DEP_2)
	v_cmp_lt_u32_e32 vcc_lo, 0xffffff, v12
	v_sub_nc_u32_e32 v11, v66, v82
	v_cndmask_b32_e64 v66, 0, 1, vcc_lo
	v_add_co_ci_u32_e32 v11, vcc_lo, 0, v11, vcc_lo
	s_delay_alu instid0(VALU_DEP_2)
	v_lshrrev_b32_e32 v12, v66, v12
; %bb.10405:                            ;   in Loop: Header=BB6_9656 Depth=2
	s_and_not1_saveexec_b32 s10, s10
; %bb.10406:                            ;   in Loop: Header=BB6_9656 Depth=2
	s_delay_alu instid0(VALU_DEP_1)
	v_bfe_u32 v11, v12, 23, 1
; %bb.10407:                            ;   in Loop: Header=BB6_9656 Depth=2
	s_or_b32 exec_lo, exec_lo, s10
	v_lshrrev_b32_e32 v12, 20, v12
	s_delay_alu instid0(VALU_DEP_2) | instskip(SKIP_2) | instid1(VALU_DEP_3)
	v_min_i32_e32 v66, 15, v11
	v_cmp_gt_i32_e32 vcc_lo, 16, v11
	v_lshrrev_b32_e32 v10, 24, v10
	v_lshlrev_b32_e32 v66, 3, v66
	v_cndmask_b32_e32 v12, 7, v12, vcc_lo
	s_delay_alu instid0(VALU_DEP_3) | instskip(NEXT) | instid1(VALU_DEP_3)
	v_and_b32_e32 v10, 0x80, v10
	v_and_b32_e32 v66, 0xf8, v66
	s_delay_alu instid0(VALU_DEP_3) | instskip(SKIP_1) | instid1(VALU_DEP_2)
	v_and_b32_e32 v82, 7, v12
	v_or_b32_e32 v11, v11, v12
	v_or3_b32 v10, v10, v66, v82
	s_delay_alu instid0(VALU_DEP_2) | instskip(NEXT) | instid1(VALU_DEP_2)
	v_cmp_ne_u32_e32 vcc_lo, 0, v11
	v_lshlrev_b32_e32 v10, 8, v10
	s_delay_alu instid0(VALU_DEP_1)
	v_cndmask_b32_e32 v60, 0, v10, vcc_lo
.LBB6_10408:                            ;   in Loop: Header=BB6_9656 Depth=2
	s_or_b32 exec_lo, exec_lo, s24
.LBB6_10409:                            ;   in Loop: Header=BB6_9656 Depth=2
	s_delay_alu instid0(SALU_CYCLE_1) | instskip(SKIP_3) | instid1(VALU_DEP_1)
	s_or_b32 exec_lo, exec_lo, s23
	v_lshrrev_b32_e32 v10, 16, v13
	s_mov_b32 s10, 0
	s_mov_b32 s24, exec_lo
                                        ; implicit-def: $sgpr23
	v_and_b32_e32 v12, 0xff, v10
	s_delay_alu instid0(VALU_DEP_1)
	v_cmpx_lt_i16_e32 0x7f, v12
	s_xor_b32 s24, exec_lo, s24
	s_cbranch_execnz .LBB6_11447
; %bb.10410:                            ;   in Loop: Header=BB6_9656 Depth=2
	s_or_saveexec_b32 s24, s24
	v_mov_b32_e32 v11, s23
	s_xor_b32 exec_lo, exec_lo, s24
	s_cbranch_execnz .LBB6_11450
.LBB6_10411:                            ;   in Loop: Header=BB6_9656 Depth=2
	s_or_b32 exec_lo, exec_lo, s24
	s_and_saveexec_b32 s23, s10
	s_cbranch_execz .LBB6_10413
.LBB6_10412:                            ;   in Loop: Header=BB6_9656 Depth=2
	v_bfe_u32 v11, v13, 16, 3
	v_lshlrev_b32_e32 v82, 8, v13
	s_delay_alu instid0(VALU_DEP_2) | instskip(NEXT) | instid1(VALU_DEP_1)
	v_clz_i32_u32_e32 v12, v11
	v_min_u32_e32 v12, 32, v12
	s_delay_alu instid0(VALU_DEP_1) | instskip(SKIP_1) | instid1(VALU_DEP_2)
	v_subrev_nc_u32_e32 v66, 28, v12
	v_sub_nc_u32_e32 v12, 29, v12
	v_lshlrev_b32_e32 v10, v66, v10
	v_bfe_u32 v66, v13, 19, 4
	s_delay_alu instid0(VALU_DEP_2) | instskip(NEXT) | instid1(VALU_DEP_2)
	v_and_b32_e32 v10, 7, v10
	v_cmp_eq_u32_e32 vcc_lo, 0, v66
	v_cndmask_b32_e32 v12, v66, v12, vcc_lo
	s_delay_alu instid0(VALU_DEP_3) | instskip(SKIP_1) | instid1(VALU_DEP_3)
	v_cndmask_b32_e32 v10, v11, v10, vcc_lo
	v_and_b32_e32 v11, 0x80000000, v82
	v_lshl_add_u32 v12, v12, 23, 0x3b800000
	s_delay_alu instid0(VALU_DEP_3) | instskip(NEXT) | instid1(VALU_DEP_1)
	v_lshlrev_b32_e32 v10, 20, v10
	v_or3_b32 v11, v11, v12, v10
.LBB6_10413:                            ;   in Loop: Header=BB6_9656 Depth=2
	s_or_b32 exec_lo, exec_lo, s23
	s_delay_alu instid0(VALU_DEP_1) | instskip(SKIP_1) | instid1(VALU_DEP_1)
	v_dual_mul_f32 v10, s22, v11 :: v_dual_mov_b32 v61, 0x80
	s_mov_b32 s23, exec_lo
	v_and_b32_e32 v11, 0x7f800000, v10
	s_delay_alu instid0(VALU_DEP_1)
	v_cmpx_ne_u32_e32 0x7f800000, v11
	s_cbranch_execz .LBB6_10421
; %bb.10414:                            ;   in Loop: Header=BB6_9656 Depth=2
	v_mov_b32_e32 v61, 0
	s_mov_b32 s24, exec_lo
	v_cmpx_ne_u32_e32 0, v10
	s_cbranch_execz .LBB6_10420
; %bb.10415:                            ;   in Loop: Header=BB6_9656 Depth=2
	v_bfe_u32 v11, v10, 23, 8
	v_and_b32_e32 v12, 0x7fffff, v10
	s_delay_alu instid0(VALU_DEP_2) | instskip(SKIP_1) | instid1(VALU_DEP_3)
	v_sub_nc_u32_e32 v66, 0x78, v11
	v_cmp_gt_u32_e32 vcc_lo, 0x79, v11
	v_or_b32_e32 v82, 0x800000, v12
	s_delay_alu instid0(VALU_DEP_3) | instskip(SKIP_2) | instid1(VALU_DEP_3)
	v_cndmask_b32_e32 v66, 0, v66, vcc_lo
	v_cmp_eq_u32_e32 vcc_lo, 0, v11
	v_add_nc_u32_e32 v11, 0xffffff89, v11
	v_cndmask_b32_e64 v66, v66, 0x77, vcc_lo
	v_cndmask_b32_e32 v12, v82, v12, vcc_lo
	s_delay_alu instid0(VALU_DEP_3) | instskip(NEXT) | instid1(VALU_DEP_3)
	v_cndmask_b32_e64 v11, v11, 0xffffff8a, vcc_lo
	v_lshl_add_u32 v82, 0x100000, v66, -1
	s_delay_alu instid0(VALU_DEP_3) | instskip(SKIP_1) | instid1(VALU_DEP_4)
	v_lshrrev_b32_e32 v83, v66, v12
	v_lshlrev_b32_e64 v87, v66, 0x80000
	v_add_nc_u32_e32 v66, v66, v11
	s_delay_alu instid0(VALU_DEP_4) | instskip(NEXT) | instid1(VALU_DEP_4)
	v_and_b32_e32 v12, v82, v12
	v_bfe_u32 v86, v83, 20, 1
	s_delay_alu instid0(VALU_DEP_2) | instskip(NEXT) | instid1(VALU_DEP_2)
	v_cmp_eq_u32_e64 s10, v12, v87
	v_add_nc_u32_e32 v82, -1, v86
	s_delay_alu instid0(VALU_DEP_1) | instskip(SKIP_2) | instid1(VALU_DEP_2)
	v_cndmask_b32_e64 v12, 0, v82, s10
	v_lshrrev_b32_e32 v82, 23, v83
	s_mov_b32 s10, exec_lo
	v_add_nc_u32_e32 v12, v12, v83
	s_delay_alu instid0(VALU_DEP_2) | instskip(NEXT) | instid1(VALU_DEP_2)
	v_xor_b32_e32 v82, 1, v82
	v_and_b32_e32 v11, 0xfffff, v12
	s_delay_alu instid0(VALU_DEP_1) | instskip(NEXT) | instid1(VALU_DEP_3)
	v_add_nc_u32_e32 v12, v11, v83
                                        ; implicit-def: $vgpr11
	v_cmpx_ne_u32_e64 v66, v82
	s_xor_b32 s10, exec_lo, s10
; %bb.10416:                            ;   in Loop: Header=BB6_9656 Depth=2
	s_delay_alu instid0(VALU_DEP_2) | instskip(SKIP_2) | instid1(VALU_DEP_2)
	v_cmp_lt_u32_e32 vcc_lo, 0xffffff, v12
	v_sub_nc_u32_e32 v11, v66, v82
	v_cndmask_b32_e64 v66, 0, 1, vcc_lo
	v_add_co_ci_u32_e32 v11, vcc_lo, 0, v11, vcc_lo
	s_delay_alu instid0(VALU_DEP_2)
	v_lshrrev_b32_e32 v12, v66, v12
; %bb.10417:                            ;   in Loop: Header=BB6_9656 Depth=2
	s_and_not1_saveexec_b32 s10, s10
; %bb.10418:                            ;   in Loop: Header=BB6_9656 Depth=2
	s_delay_alu instid0(VALU_DEP_1)
	v_bfe_u32 v11, v12, 23, 1
; %bb.10419:                            ;   in Loop: Header=BB6_9656 Depth=2
	s_or_b32 exec_lo, exec_lo, s10
	v_lshrrev_b32_e32 v12, 20, v12
	s_delay_alu instid0(VALU_DEP_2) | instskip(SKIP_2) | instid1(VALU_DEP_3)
	v_min_i32_e32 v66, 15, v11
	v_cmp_gt_i32_e32 vcc_lo, 16, v11
	v_lshrrev_b32_e32 v10, 24, v10
	v_lshlrev_b32_e32 v66, 3, v66
	v_cndmask_b32_e32 v12, 7, v12, vcc_lo
	s_delay_alu instid0(VALU_DEP_3) | instskip(NEXT) | instid1(VALU_DEP_3)
	v_and_b32_e32 v10, 0x80, v10
	v_and_b32_e32 v66, 0xf8, v66
	s_delay_alu instid0(VALU_DEP_3) | instskip(SKIP_1) | instid1(VALU_DEP_2)
	v_and_b32_e32 v82, 7, v12
	v_or_b32_e32 v11, v11, v12
	v_or3_b32 v10, v66, v10, v82
	s_delay_alu instid0(VALU_DEP_2) | instskip(NEXT) | instid1(VALU_DEP_2)
	v_cmp_ne_u32_e32 vcc_lo, 0, v11
	v_cndmask_b32_e32 v61, 0, v10, vcc_lo
.LBB6_10420:                            ;   in Loop: Header=BB6_9656 Depth=2
	s_or_b32 exec_lo, exec_lo, s24
.LBB6_10421:                            ;   in Loop: Header=BB6_9656 Depth=2
	s_delay_alu instid0(SALU_CYCLE_1) | instskip(SKIP_3) | instid1(VALU_DEP_1)
	s_or_b32 exec_lo, exec_lo, s23
	v_lshrrev_b32_e32 v10, 24, v13
	s_mov_b32 s10, 0
	s_mov_b32 s24, exec_lo
                                        ; implicit-def: $sgpr23
	v_cmpx_lt_i16_e32 0x7f, v10
	s_xor_b32 s24, exec_lo, s24
	s_cbranch_execnz .LBB6_11451
; %bb.10422:                            ;   in Loop: Header=BB6_9656 Depth=2
	s_or_saveexec_b32 s24, s24
	v_mov_b32_e32 v11, s23
	s_xor_b32 exec_lo, exec_lo, s24
	s_cbranch_execnz .LBB6_11454
.LBB6_10423:                            ;   in Loop: Header=BB6_9656 Depth=2
	s_or_b32 exec_lo, exec_lo, s24
	s_and_saveexec_b32 s23, s10
	s_cbranch_execz .LBB6_10425
.LBB6_10424:                            ;   in Loop: Header=BB6_9656 Depth=2
	v_bfe_u32 v11, v13, 24, 3
	s_delay_alu instid0(VALU_DEP_1) | instskip(NEXT) | instid1(VALU_DEP_1)
	v_clz_i32_u32_e32 v12, v11
	v_min_u32_e32 v12, 32, v12
	s_delay_alu instid0(VALU_DEP_1) | instskip(SKIP_1) | instid1(VALU_DEP_2)
	v_subrev_nc_u32_e32 v66, 28, v12
	v_sub_nc_u32_e32 v12, 29, v12
	v_lshlrev_b32_e32 v10, v66, v10
	v_bfe_u32 v66, v13, 27, 4
	s_delay_alu instid0(VALU_DEP_2) | instskip(NEXT) | instid1(VALU_DEP_2)
	v_and_b32_e32 v10, 7, v10
	v_cmp_eq_u32_e32 vcc_lo, 0, v66
	v_cndmask_b32_e32 v12, v66, v12, vcc_lo
	s_delay_alu instid0(VALU_DEP_3) | instskip(NEXT) | instid1(VALU_DEP_2)
	v_dual_cndmask_b32 v10, v11, v10 :: v_dual_and_b32 v11, 0x80000000, v13
	v_lshl_add_u32 v12, v12, 23, 0x3b800000
	s_delay_alu instid0(VALU_DEP_2) | instskip(NEXT) | instid1(VALU_DEP_1)
	v_lshlrev_b32_e32 v10, 20, v10
	v_or3_b32 v11, v11, v12, v10
.LBB6_10425:                            ;   in Loop: Header=BB6_9656 Depth=2
	s_or_b32 exec_lo, exec_lo, s23
	s_delay_alu instid0(VALU_DEP_1) | instskip(SKIP_2) | instid1(VALU_DEP_2)
	v_mul_f32_e32 v10, s22, v11
	v_mov_b32_e32 v62, 0x8000
	s_mov_b32 s23, exec_lo
	v_and_b32_e32 v11, 0x7f800000, v10
	s_delay_alu instid0(VALU_DEP_1)
	v_cmpx_ne_u32_e32 0x7f800000, v11
	s_cbranch_execz .LBB6_10433
; %bb.10426:                            ;   in Loop: Header=BB6_9656 Depth=2
	v_mov_b32_e32 v62, 0
	s_mov_b32 s24, exec_lo
	v_cmpx_ne_u32_e32 0, v10
	s_cbranch_execz .LBB6_10432
; %bb.10427:                            ;   in Loop: Header=BB6_9656 Depth=2
	v_bfe_u32 v11, v10, 23, 8
	s_delay_alu instid0(VALU_DEP_1) | instskip(SKIP_1) | instid1(VALU_DEP_2)
	v_sub_nc_u32_e32 v13, 0x78, v11
	v_cmp_gt_u32_e32 vcc_lo, 0x79, v11
	v_dual_cndmask_b32 v13, 0, v13 :: v_dual_and_b32 v12, 0x7fffff, v10
	s_delay_alu instid0(VALU_DEP_1) | instskip(SKIP_2) | instid1(VALU_DEP_4)
	v_or_b32_e32 v66, 0x800000, v12
	v_cmp_eq_u32_e32 vcc_lo, 0, v11
	v_add_nc_u32_e32 v11, 0xffffff89, v11
	v_cndmask_b32_e64 v13, v13, 0x77, vcc_lo
	s_delay_alu instid0(VALU_DEP_4) | instskip(NEXT) | instid1(VALU_DEP_3)
	v_cndmask_b32_e32 v12, v66, v12, vcc_lo
	v_cndmask_b32_e64 v11, v11, 0xffffff8a, vcc_lo
	s_delay_alu instid0(VALU_DEP_3) | instskip(NEXT) | instid1(VALU_DEP_3)
	v_lshl_add_u32 v66, 0x100000, v13, -1
	v_lshrrev_b32_e32 v82, v13, v12
	v_lshlrev_b32_e64 v86, v13, 0x80000
	s_delay_alu instid0(VALU_DEP_4) | instskip(NEXT) | instid1(VALU_DEP_4)
	v_add_nc_u32_e32 v13, v13, v11
	v_and_b32_e32 v12, v66, v12
	s_delay_alu instid0(VALU_DEP_4) | instskip(NEXT) | instid1(VALU_DEP_2)
	v_bfe_u32 v83, v82, 20, 1
	v_cmp_eq_u32_e64 s10, v12, v86
	s_delay_alu instid0(VALU_DEP_2) | instskip(NEXT) | instid1(VALU_DEP_1)
	v_add_nc_u32_e32 v66, -1, v83
	v_cndmask_b32_e64 v12, 0, v66, s10
	v_lshrrev_b32_e32 v66, 23, v82
	s_mov_b32 s10, exec_lo
	s_delay_alu instid0(VALU_DEP_2) | instskip(NEXT) | instid1(VALU_DEP_2)
	v_add_nc_u32_e32 v12, v12, v82
	v_xor_b32_e32 v66, 1, v66
	s_delay_alu instid0(VALU_DEP_2) | instskip(NEXT) | instid1(VALU_DEP_1)
	v_and_b32_e32 v11, 0xfffff, v12
	v_add_nc_u32_e32 v12, v11, v82
                                        ; implicit-def: $vgpr11
	s_delay_alu instid0(VALU_DEP_3)
	v_cmpx_ne_u32_e64 v13, v66
	s_xor_b32 s10, exec_lo, s10
; %bb.10428:                            ;   in Loop: Header=BB6_9656 Depth=2
	s_delay_alu instid0(VALU_DEP_2) | instskip(SKIP_2) | instid1(VALU_DEP_2)
	v_cmp_lt_u32_e32 vcc_lo, 0xffffff, v12
	v_sub_nc_u32_e32 v11, v13, v66
	v_cndmask_b32_e64 v13, 0, 1, vcc_lo
	v_add_co_ci_u32_e32 v11, vcc_lo, 0, v11, vcc_lo
	s_delay_alu instid0(VALU_DEP_2)
	v_lshrrev_b32_e32 v12, v13, v12
; %bb.10429:                            ;   in Loop: Header=BB6_9656 Depth=2
	s_and_not1_saveexec_b32 s10, s10
; %bb.10430:                            ;   in Loop: Header=BB6_9656 Depth=2
	s_delay_alu instid0(VALU_DEP_1)
	v_bfe_u32 v11, v12, 23, 1
; %bb.10431:                            ;   in Loop: Header=BB6_9656 Depth=2
	s_or_b32 exec_lo, exec_lo, s10
	v_lshrrev_b32_e32 v12, 20, v12
	s_delay_alu instid0(VALU_DEP_2) | instskip(SKIP_2) | instid1(VALU_DEP_2)
	v_cmp_gt_i32_e32 vcc_lo, 16, v11
	v_min_i32_e32 v13, 15, v11
	v_lshrrev_b32_e32 v10, 24, v10
	v_dual_cndmask_b32 v12, 7, v12 :: v_dual_lshlrev_b32 v13, 3, v13
	s_delay_alu instid0(VALU_DEP_2) | instskip(NEXT) | instid1(VALU_DEP_2)
	v_and_b32_e32 v10, 0x80, v10
	v_or_b32_e32 v11, v11, v12
	v_and_b32_e32 v66, 7, v12
	s_delay_alu instid0(VALU_DEP_2) | instskip(SKIP_1) | instid1(VALU_DEP_1)
	v_cmp_ne_u32_e32 vcc_lo, 0, v11
	v_and_b32_e32 v13, 0xf8, v13
	v_or3_b32 v10, v10, v13, v66
	s_delay_alu instid0(VALU_DEP_1) | instskip(NEXT) | instid1(VALU_DEP_1)
	v_lshlrev_b32_e32 v10, 8, v10
	v_cndmask_b32_e32 v62, 0, v10, vcc_lo
.LBB6_10432:                            ;   in Loop: Header=BB6_9656 Depth=2
	s_or_b32 exec_lo, exec_lo, s24
.LBB6_10433:                            ;   in Loop: Header=BB6_9656 Depth=2
	s_delay_alu instid0(SALU_CYCLE_1)
	s_or_b32 exec_lo, exec_lo, s23
	global_load_b128 v[10:13], v[23:24], off offset:2048 slc dlc
	s_mov_b32 s10, 0
	s_mov_b32 s24, exec_lo
                                        ; implicit-def: $sgpr23
	s_waitcnt vmcnt(0)
	v_and_b32_e32 v82, 0xff, v10
	s_delay_alu instid0(VALU_DEP_1)
	v_cmpx_lt_i16_e32 0x7f, v82
	s_xor_b32 s24, exec_lo, s24
	s_cbranch_execnz .LBB6_11455
; %bb.10434:                            ;   in Loop: Header=BB6_9656 Depth=2
	s_or_saveexec_b32 s24, s24
	v_mov_b32_e32 v66, s23
	s_xor_b32 exec_lo, exec_lo, s24
	s_cbranch_execnz .LBB6_11458
.LBB6_10435:                            ;   in Loop: Header=BB6_9656 Depth=2
	s_or_b32 exec_lo, exec_lo, s24
	s_and_saveexec_b32 s23, s10
	s_cbranch_execz .LBB6_10437
.LBB6_10436:                            ;   in Loop: Header=BB6_9656 Depth=2
	v_and_b32_e32 v66, 7, v10
	v_bfe_u32 v86, v10, 3, 4
	s_delay_alu instid0(VALU_DEP_2) | instskip(NEXT) | instid1(VALU_DEP_2)
	v_clz_i32_u32_e32 v82, v66
	v_cmp_eq_u32_e32 vcc_lo, 0, v86
	s_delay_alu instid0(VALU_DEP_2) | instskip(NEXT) | instid1(VALU_DEP_1)
	v_min_u32_e32 v82, 32, v82
	v_subrev_nc_u32_e32 v83, 28, v82
	v_sub_nc_u32_e32 v82, 29, v82
	s_delay_alu instid0(VALU_DEP_2) | instskip(NEXT) | instid1(VALU_DEP_1)
	v_lshlrev_b32_e32 v83, v83, v10
	v_dual_cndmask_b32 v82, v86, v82 :: v_dual_and_b32 v83, 7, v83
	v_lshlrev_b32_e32 v87, 24, v10
	s_delay_alu instid0(VALU_DEP_2) | instskip(NEXT) | instid1(VALU_DEP_3)
	v_lshl_add_u32 v82, v82, 23, 0x3b800000
	v_cndmask_b32_e32 v66, v66, v83, vcc_lo
	s_delay_alu instid0(VALU_DEP_3) | instskip(NEXT) | instid1(VALU_DEP_2)
	v_and_b32_e32 v83, 0x80000000, v87
	v_lshlrev_b32_e32 v66, 20, v66
	s_delay_alu instid0(VALU_DEP_1)
	v_or3_b32 v66, v83, v82, v66
.LBB6_10437:                            ;   in Loop: Header=BB6_9656 Depth=2
	s_or_b32 exec_lo, exec_lo, s23
	s_delay_alu instid0(VALU_DEP_1) | instskip(SKIP_1) | instid1(VALU_DEP_1)
	v_dual_mul_f32 v66, s22, v66 :: v_dual_mov_b32 v63, 0x80
	s_mov_b32 s23, exec_lo
	v_and_b32_e32 v82, 0x7f800000, v66
	s_delay_alu instid0(VALU_DEP_1)
	v_cmpx_ne_u32_e32 0x7f800000, v82
	s_cbranch_execz .LBB6_10445
; %bb.10438:                            ;   in Loop: Header=BB6_9656 Depth=2
	v_mov_b32_e32 v63, 0
	s_mov_b32 s24, exec_lo
	v_cmpx_ne_u32_e32 0, v66
	s_cbranch_execz .LBB6_10444
; %bb.10439:                            ;   in Loop: Header=BB6_9656 Depth=2
	v_bfe_u32 v82, v66, 23, 8
	v_and_b32_e32 v83, 0x7fffff, v66
	s_delay_alu instid0(VALU_DEP_2) | instskip(SKIP_1) | instid1(VALU_DEP_3)
	v_sub_nc_u32_e32 v86, 0x78, v82
	v_cmp_gt_u32_e32 vcc_lo, 0x79, v82
	v_or_b32_e32 v87, 0x800000, v83
	s_delay_alu instid0(VALU_DEP_3) | instskip(SKIP_1) | instid1(VALU_DEP_3)
	v_cndmask_b32_e32 v86, 0, v86, vcc_lo
	v_cmp_eq_u32_e32 vcc_lo, 0, v82
	v_dual_cndmask_b32 v83, v87, v83 :: v_dual_add_nc_u32 v82, 0xffffff89, v82
	s_delay_alu instid0(VALU_DEP_3) | instskip(NEXT) | instid1(VALU_DEP_2)
	v_cndmask_b32_e64 v86, v86, 0x77, vcc_lo
	v_cndmask_b32_e64 v82, v82, 0xffffff8a, vcc_lo
	s_delay_alu instid0(VALU_DEP_2) | instskip(SKIP_2) | instid1(VALU_DEP_4)
	v_lshrrev_b32_e32 v96, v86, v83
	v_lshl_add_u32 v87, 0x100000, v86, -1
	v_lshlrev_b32_e64 v98, v86, 0x80000
	v_add_nc_u32_e32 v86, v86, v82
	s_delay_alu instid0(VALU_DEP_4) | instskip(NEXT) | instid1(VALU_DEP_4)
	v_bfe_u32 v97, v96, 20, 1
	v_and_b32_e32 v83, v87, v83
	s_delay_alu instid0(VALU_DEP_2) | instskip(NEXT) | instid1(VALU_DEP_2)
	v_add_nc_u32_e32 v87, -1, v97
	v_cmp_eq_u32_e64 s10, v83, v98
	s_delay_alu instid0(VALU_DEP_1) | instskip(SKIP_2) | instid1(VALU_DEP_2)
	v_cndmask_b32_e64 v83, 0, v87, s10
	v_lshrrev_b32_e32 v87, 23, v96
	s_mov_b32 s10, exec_lo
	v_add_nc_u32_e32 v83, v83, v96
	s_delay_alu instid0(VALU_DEP_2) | instskip(NEXT) | instid1(VALU_DEP_2)
	v_xor_b32_e32 v87, 1, v87
	v_and_b32_e32 v82, 0xfffff, v83
	s_delay_alu instid0(VALU_DEP_1) | instskip(NEXT) | instid1(VALU_DEP_3)
	v_add_nc_u32_e32 v83, v82, v96
                                        ; implicit-def: $vgpr82
	v_cmpx_ne_u32_e64 v86, v87
	s_xor_b32 s10, exec_lo, s10
; %bb.10440:                            ;   in Loop: Header=BB6_9656 Depth=2
	s_delay_alu instid0(VALU_DEP_2) | instskip(SKIP_2) | instid1(VALU_DEP_2)
	v_cmp_lt_u32_e32 vcc_lo, 0xffffff, v83
	v_sub_nc_u32_e32 v82, v86, v87
	v_cndmask_b32_e64 v86, 0, 1, vcc_lo
	v_add_co_ci_u32_e32 v82, vcc_lo, 0, v82, vcc_lo
	s_delay_alu instid0(VALU_DEP_2)
	v_lshrrev_b32_e32 v83, v86, v83
; %bb.10441:                            ;   in Loop: Header=BB6_9656 Depth=2
	s_and_not1_saveexec_b32 s10, s10
; %bb.10442:                            ;   in Loop: Header=BB6_9656 Depth=2
	s_delay_alu instid0(VALU_DEP_1)
	v_bfe_u32 v82, v83, 23, 1
; %bb.10443:                            ;   in Loop: Header=BB6_9656 Depth=2
	s_or_b32 exec_lo, exec_lo, s10
	v_lshrrev_b32_e32 v83, 20, v83
	s_delay_alu instid0(VALU_DEP_2) | instskip(SKIP_2) | instid1(VALU_DEP_2)
	v_cmp_gt_i32_e32 vcc_lo, 16, v82
	v_lshrrev_b32_e32 v66, 24, v66
	v_min_i32_e32 v86, 15, v82
	v_dual_cndmask_b32 v83, 7, v83 :: v_dual_and_b32 v66, 0x80, v66
	s_delay_alu instid0(VALU_DEP_2) | instskip(NEXT) | instid1(VALU_DEP_2)
	v_lshlrev_b32_e32 v86, 3, v86
	v_and_b32_e32 v87, 7, v83
	v_or_b32_e32 v82, v82, v83
	s_delay_alu instid0(VALU_DEP_2) | instskip(NEXT) | instid1(VALU_DEP_2)
	v_or3_b32 v66, v86, v66, v87
	v_cmp_ne_u32_e32 vcc_lo, 0, v82
	s_delay_alu instid0(VALU_DEP_2)
	v_cndmask_b32_e32 v63, 0, v66, vcc_lo
.LBB6_10444:                            ;   in Loop: Header=BB6_9656 Depth=2
	s_or_b32 exec_lo, exec_lo, s24
.LBB6_10445:                            ;   in Loop: Header=BB6_9656 Depth=2
	s_delay_alu instid0(SALU_CYCLE_1) | instskip(SKIP_3) | instid1(VALU_DEP_1)
	s_or_b32 exec_lo, exec_lo, s23
	v_lshrrev_b16 v66, 8, v10
	s_mov_b32 s10, 0
	s_mov_b32 s24, exec_lo
                                        ; implicit-def: $sgpr23
	v_cmpx_lt_i16_e32 0x7f, v66
	s_xor_b32 s24, exec_lo, s24
	s_cbranch_execnz .LBB6_11459
; %bb.10446:                            ;   in Loop: Header=BB6_9656 Depth=2
	s_or_saveexec_b32 s24, s24
	v_mov_b32_e32 v82, s23
	s_xor_b32 exec_lo, exec_lo, s24
	s_cbranch_execnz .LBB6_11462
.LBB6_10447:                            ;   in Loop: Header=BB6_9656 Depth=2
	s_or_b32 exec_lo, exec_lo, s24
	s_and_saveexec_b32 s23, s10
	s_cbranch_execz .LBB6_10449
.LBB6_10448:                            ;   in Loop: Header=BB6_9656 Depth=2
	v_and_b32_e32 v82, 0xffff, v66
	v_lshlrev_b32_e32 v66, 24, v66
	s_delay_alu instid0(VALU_DEP_2) | instskip(NEXT) | instid1(VALU_DEP_2)
	v_and_b32_e32 v83, 7, v82
	v_and_b32_e32 v66, 0x80000000, v66
	s_delay_alu instid0(VALU_DEP_2) | instskip(NEXT) | instid1(VALU_DEP_1)
	v_clz_i32_u32_e32 v86, v83
	v_min_u32_e32 v86, 32, v86
	s_delay_alu instid0(VALU_DEP_1) | instskip(SKIP_1) | instid1(VALU_DEP_2)
	v_subrev_nc_u32_e32 v87, 28, v86
	v_sub_nc_u32_e32 v86, 29, v86
	v_lshlrev_b32_e32 v87, v87, v82
	v_bfe_u32 v82, v82, 3, 4
	s_delay_alu instid0(VALU_DEP_1) | instskip(NEXT) | instid1(VALU_DEP_3)
	v_cmp_eq_u32_e32 vcc_lo, 0, v82
	v_dual_cndmask_b32 v82, v82, v86 :: v_dual_and_b32 v87, 7, v87
	s_delay_alu instid0(VALU_DEP_1) | instskip(NEXT) | instid1(VALU_DEP_2)
	v_cndmask_b32_e32 v83, v83, v87, vcc_lo
	v_lshl_add_u32 v82, v82, 23, 0x3b800000
	s_delay_alu instid0(VALU_DEP_2) | instskip(NEXT) | instid1(VALU_DEP_1)
	v_lshlrev_b32_e32 v83, 20, v83
	v_or3_b32 v82, v66, v82, v83
.LBB6_10449:                            ;   in Loop: Header=BB6_9656 Depth=2
	s_or_b32 exec_lo, exec_lo, s23
	s_delay_alu instid0(VALU_DEP_1) | instskip(SKIP_2) | instid1(VALU_DEP_2)
	v_mul_f32_e32 v66, s22, v82
	v_mov_b32_e32 v72, 0x80
	s_mov_b32 s23, exec_lo
	v_and_b32_e32 v82, 0x7f800000, v66
	s_delay_alu instid0(VALU_DEP_1)
	v_cmpx_ne_u32_e32 0x7f800000, v82
	s_cbranch_execz .LBB6_10457
; %bb.10450:                            ;   in Loop: Header=BB6_9656 Depth=2
	v_mov_b32_e32 v72, 0
	s_mov_b32 s24, exec_lo
	v_cmpx_ne_u32_e32 0, v66
	s_cbranch_execz .LBB6_10456
; %bb.10451:                            ;   in Loop: Header=BB6_9656 Depth=2
	v_bfe_u32 v82, v66, 23, 8
	v_and_b32_e32 v83, 0x7fffff, v66
	s_delay_alu instid0(VALU_DEP_2) | instskip(SKIP_1) | instid1(VALU_DEP_3)
	v_sub_nc_u32_e32 v86, 0x78, v82
	v_cmp_gt_u32_e32 vcc_lo, 0x79, v82
	v_or_b32_e32 v87, 0x800000, v83
	s_delay_alu instid0(VALU_DEP_3) | instskip(SKIP_1) | instid1(VALU_DEP_3)
	v_cndmask_b32_e32 v86, 0, v86, vcc_lo
	v_cmp_eq_u32_e32 vcc_lo, 0, v82
	v_dual_cndmask_b32 v83, v87, v83 :: v_dual_add_nc_u32 v82, 0xffffff89, v82
	s_delay_alu instid0(VALU_DEP_3) | instskip(NEXT) | instid1(VALU_DEP_2)
	v_cndmask_b32_e64 v86, v86, 0x77, vcc_lo
	v_cndmask_b32_e64 v82, v82, 0xffffff8a, vcc_lo
	s_delay_alu instid0(VALU_DEP_2) | instskip(SKIP_2) | instid1(VALU_DEP_4)
	v_lshrrev_b32_e32 v96, v86, v83
	v_lshl_add_u32 v87, 0x100000, v86, -1
	v_lshlrev_b32_e64 v98, v86, 0x80000
	v_add_nc_u32_e32 v86, v86, v82
	s_delay_alu instid0(VALU_DEP_4) | instskip(NEXT) | instid1(VALU_DEP_4)
	v_bfe_u32 v97, v96, 20, 1
	v_and_b32_e32 v83, v87, v83
	s_delay_alu instid0(VALU_DEP_2) | instskip(NEXT) | instid1(VALU_DEP_2)
	v_add_nc_u32_e32 v87, -1, v97
	v_cmp_eq_u32_e64 s10, v83, v98
	s_delay_alu instid0(VALU_DEP_1) | instskip(SKIP_2) | instid1(VALU_DEP_2)
	v_cndmask_b32_e64 v83, 0, v87, s10
	v_lshrrev_b32_e32 v87, 23, v96
	s_mov_b32 s10, exec_lo
	v_add_nc_u32_e32 v83, v83, v96
	s_delay_alu instid0(VALU_DEP_2) | instskip(NEXT) | instid1(VALU_DEP_2)
	v_xor_b32_e32 v87, 1, v87
	v_and_b32_e32 v82, 0xfffff, v83
	s_delay_alu instid0(VALU_DEP_1) | instskip(NEXT) | instid1(VALU_DEP_3)
	v_add_nc_u32_e32 v83, v82, v96
                                        ; implicit-def: $vgpr82
	v_cmpx_ne_u32_e64 v86, v87
	s_xor_b32 s10, exec_lo, s10
; %bb.10452:                            ;   in Loop: Header=BB6_9656 Depth=2
	s_delay_alu instid0(VALU_DEP_2) | instskip(SKIP_2) | instid1(VALU_DEP_2)
	v_cmp_lt_u32_e32 vcc_lo, 0xffffff, v83
	v_sub_nc_u32_e32 v82, v86, v87
	v_cndmask_b32_e64 v86, 0, 1, vcc_lo
	v_add_co_ci_u32_e32 v82, vcc_lo, 0, v82, vcc_lo
	s_delay_alu instid0(VALU_DEP_2)
	v_lshrrev_b32_e32 v83, v86, v83
; %bb.10453:                            ;   in Loop: Header=BB6_9656 Depth=2
	s_and_not1_saveexec_b32 s10, s10
; %bb.10454:                            ;   in Loop: Header=BB6_9656 Depth=2
	s_delay_alu instid0(VALU_DEP_1)
	v_bfe_u32 v82, v83, 23, 1
; %bb.10455:                            ;   in Loop: Header=BB6_9656 Depth=2
	s_or_b32 exec_lo, exec_lo, s10
	v_lshrrev_b32_e32 v83, 20, v83
	s_delay_alu instid0(VALU_DEP_2) | instskip(SKIP_2) | instid1(VALU_DEP_2)
	v_cmp_gt_i32_e32 vcc_lo, 16, v82
	v_lshrrev_b32_e32 v66, 24, v66
	v_min_i32_e32 v86, 15, v82
	v_dual_cndmask_b32 v83, 7, v83 :: v_dual_and_b32 v66, 0x80, v66
	s_delay_alu instid0(VALU_DEP_2) | instskip(NEXT) | instid1(VALU_DEP_2)
	v_lshlrev_b32_e32 v86, 3, v86
	v_or_b32_e32 v82, v82, v83
	s_delay_alu instid0(VALU_DEP_1) | instskip(SKIP_1) | instid1(VALU_DEP_1)
	v_cmp_ne_u32_e32 vcc_lo, 0, v82
	v_and_b32_e32 v87, 7, v83
	v_or3_b32 v66, v86, v66, v87
	s_delay_alu instid0(VALU_DEP_1)
	v_cndmask_b32_e32 v72, 0, v66, vcc_lo
.LBB6_10456:                            ;   in Loop: Header=BB6_9656 Depth=2
	s_or_b32 exec_lo, exec_lo, s24
.LBB6_10457:                            ;   in Loop: Header=BB6_9656 Depth=2
	s_delay_alu instid0(SALU_CYCLE_1) | instskip(SKIP_3) | instid1(VALU_DEP_1)
	s_or_b32 exec_lo, exec_lo, s23
	v_lshrrev_b32_e32 v66, 16, v10
	s_mov_b32 s10, 0
	s_mov_b32 s24, exec_lo
                                        ; implicit-def: $sgpr23
	v_and_b32_e32 v83, 0xff, v66
	s_delay_alu instid0(VALU_DEP_1)
	v_cmpx_lt_i16_e32 0x7f, v83
	s_xor_b32 s24, exec_lo, s24
	s_cbranch_execnz .LBB6_11463
; %bb.10458:                            ;   in Loop: Header=BB6_9656 Depth=2
	s_or_saveexec_b32 s24, s24
	v_mov_b32_e32 v82, s23
	s_xor_b32 exec_lo, exec_lo, s24
	s_cbranch_execnz .LBB6_11466
.LBB6_10459:                            ;   in Loop: Header=BB6_9656 Depth=2
	s_or_b32 exec_lo, exec_lo, s24
	s_and_saveexec_b32 s23, s10
	s_cbranch_execz .LBB6_10461
.LBB6_10460:                            ;   in Loop: Header=BB6_9656 Depth=2
	v_bfe_u32 v82, v10, 16, 3
	v_lshlrev_b32_e32 v87, 8, v10
	s_delay_alu instid0(VALU_DEP_2) | instskip(NEXT) | instid1(VALU_DEP_1)
	v_clz_i32_u32_e32 v83, v82
	v_min_u32_e32 v83, 32, v83
	s_delay_alu instid0(VALU_DEP_1) | instskip(SKIP_1) | instid1(VALU_DEP_2)
	v_subrev_nc_u32_e32 v86, 28, v83
	v_sub_nc_u32_e32 v83, 29, v83
	v_lshlrev_b32_e32 v66, v86, v66
	v_bfe_u32 v86, v10, 19, 4
	s_delay_alu instid0(VALU_DEP_1) | instskip(NEXT) | instid1(VALU_DEP_3)
	v_cmp_eq_u32_e32 vcc_lo, 0, v86
	v_dual_cndmask_b32 v83, v86, v83 :: v_dual_and_b32 v66, 7, v66
	s_delay_alu instid0(VALU_DEP_1) | instskip(SKIP_1) | instid1(VALU_DEP_3)
	v_cndmask_b32_e32 v66, v82, v66, vcc_lo
	v_and_b32_e32 v82, 0x80000000, v87
	v_lshl_add_u32 v83, v83, 23, 0x3b800000
	s_delay_alu instid0(VALU_DEP_3) | instskip(NEXT) | instid1(VALU_DEP_1)
	v_lshlrev_b32_e32 v66, 20, v66
	v_or3_b32 v82, v82, v83, v66
.LBB6_10461:                            ;   in Loop: Header=BB6_9656 Depth=2
	s_or_b32 exec_lo, exec_lo, s23
	s_delay_alu instid0(VALU_DEP_1) | instskip(SKIP_1) | instid1(VALU_DEP_1)
	v_dual_mul_f32 v66, s22, v82 :: v_dual_mov_b32 v73, 0x80
	s_mov_b32 s23, exec_lo
	v_and_b32_e32 v82, 0x7f800000, v66
	s_delay_alu instid0(VALU_DEP_1)
	v_cmpx_ne_u32_e32 0x7f800000, v82
	s_cbranch_execz .LBB6_10469
; %bb.10462:                            ;   in Loop: Header=BB6_9656 Depth=2
	v_mov_b32_e32 v73, 0
	s_mov_b32 s24, exec_lo
	v_cmpx_ne_u32_e32 0, v66
	s_cbranch_execz .LBB6_10468
; %bb.10463:                            ;   in Loop: Header=BB6_9656 Depth=2
	v_bfe_u32 v82, v66, 23, 8
	v_and_b32_e32 v83, 0x7fffff, v66
	s_delay_alu instid0(VALU_DEP_2) | instskip(SKIP_1) | instid1(VALU_DEP_3)
	v_sub_nc_u32_e32 v86, 0x78, v82
	v_cmp_gt_u32_e32 vcc_lo, 0x79, v82
	v_or_b32_e32 v87, 0x800000, v83
	s_delay_alu instid0(VALU_DEP_3) | instskip(SKIP_1) | instid1(VALU_DEP_3)
	v_cndmask_b32_e32 v86, 0, v86, vcc_lo
	v_cmp_eq_u32_e32 vcc_lo, 0, v82
	v_dual_cndmask_b32 v83, v87, v83 :: v_dual_add_nc_u32 v82, 0xffffff89, v82
	s_delay_alu instid0(VALU_DEP_3) | instskip(NEXT) | instid1(VALU_DEP_2)
	v_cndmask_b32_e64 v86, v86, 0x77, vcc_lo
	v_cndmask_b32_e64 v82, v82, 0xffffff8a, vcc_lo
	s_delay_alu instid0(VALU_DEP_2) | instskip(SKIP_2) | instid1(VALU_DEP_4)
	v_lshrrev_b32_e32 v96, v86, v83
	v_lshl_add_u32 v87, 0x100000, v86, -1
	v_lshlrev_b32_e64 v98, v86, 0x80000
	v_add_nc_u32_e32 v86, v86, v82
	s_delay_alu instid0(VALU_DEP_4) | instskip(NEXT) | instid1(VALU_DEP_4)
	v_bfe_u32 v97, v96, 20, 1
	v_and_b32_e32 v83, v87, v83
	s_delay_alu instid0(VALU_DEP_2) | instskip(NEXT) | instid1(VALU_DEP_2)
	v_add_nc_u32_e32 v87, -1, v97
	v_cmp_eq_u32_e64 s10, v83, v98
	s_delay_alu instid0(VALU_DEP_1) | instskip(SKIP_2) | instid1(VALU_DEP_2)
	v_cndmask_b32_e64 v83, 0, v87, s10
	v_lshrrev_b32_e32 v87, 23, v96
	s_mov_b32 s10, exec_lo
	v_add_nc_u32_e32 v83, v83, v96
	s_delay_alu instid0(VALU_DEP_2) | instskip(NEXT) | instid1(VALU_DEP_2)
	v_xor_b32_e32 v87, 1, v87
	v_and_b32_e32 v82, 0xfffff, v83
	s_delay_alu instid0(VALU_DEP_1) | instskip(NEXT) | instid1(VALU_DEP_3)
	v_add_nc_u32_e32 v83, v82, v96
                                        ; implicit-def: $vgpr82
	v_cmpx_ne_u32_e64 v86, v87
	s_xor_b32 s10, exec_lo, s10
; %bb.10464:                            ;   in Loop: Header=BB6_9656 Depth=2
	s_delay_alu instid0(VALU_DEP_2) | instskip(SKIP_2) | instid1(VALU_DEP_2)
	v_cmp_lt_u32_e32 vcc_lo, 0xffffff, v83
	v_sub_nc_u32_e32 v82, v86, v87
	v_cndmask_b32_e64 v86, 0, 1, vcc_lo
	v_add_co_ci_u32_e32 v82, vcc_lo, 0, v82, vcc_lo
	s_delay_alu instid0(VALU_DEP_2)
	v_lshrrev_b32_e32 v83, v86, v83
; %bb.10465:                            ;   in Loop: Header=BB6_9656 Depth=2
	s_and_not1_saveexec_b32 s10, s10
; %bb.10466:                            ;   in Loop: Header=BB6_9656 Depth=2
	s_delay_alu instid0(VALU_DEP_1)
	v_bfe_u32 v82, v83, 23, 1
; %bb.10467:                            ;   in Loop: Header=BB6_9656 Depth=2
	s_or_b32 exec_lo, exec_lo, s10
	v_lshrrev_b32_e32 v83, 20, v83
	s_delay_alu instid0(VALU_DEP_2) | instskip(SKIP_2) | instid1(VALU_DEP_2)
	v_cmp_gt_i32_e32 vcc_lo, 16, v82
	v_lshrrev_b32_e32 v66, 24, v66
	v_min_i32_e32 v86, 15, v82
	v_dual_cndmask_b32 v83, 7, v83 :: v_dual_and_b32 v66, 0x80, v66
	s_delay_alu instid0(VALU_DEP_2) | instskip(NEXT) | instid1(VALU_DEP_2)
	v_lshlrev_b32_e32 v86, 3, v86
	v_and_b32_e32 v87, 7, v83
	v_or_b32_e32 v82, v82, v83
	s_delay_alu instid0(VALU_DEP_2) | instskip(NEXT) | instid1(VALU_DEP_2)
	v_or3_b32 v66, v86, v66, v87
	v_cmp_ne_u32_e32 vcc_lo, 0, v82
	s_delay_alu instid0(VALU_DEP_2)
	v_cndmask_b32_e32 v73, 0, v66, vcc_lo
.LBB6_10468:                            ;   in Loop: Header=BB6_9656 Depth=2
	s_or_b32 exec_lo, exec_lo, s24
.LBB6_10469:                            ;   in Loop: Header=BB6_9656 Depth=2
	s_delay_alu instid0(SALU_CYCLE_1) | instskip(SKIP_3) | instid1(VALU_DEP_1)
	s_or_b32 exec_lo, exec_lo, s23
	v_lshrrev_b32_e32 v66, 24, v10
	s_mov_b32 s10, 0
	s_mov_b32 s24, exec_lo
                                        ; implicit-def: $sgpr23
	v_cmpx_lt_i16_e32 0x7f, v66
	s_xor_b32 s24, exec_lo, s24
	s_cbranch_execnz .LBB6_11467
; %bb.10470:                            ;   in Loop: Header=BB6_9656 Depth=2
	s_or_saveexec_b32 s24, s24
	v_mov_b32_e32 v82, s23
	s_xor_b32 exec_lo, exec_lo, s24
	s_cbranch_execnz .LBB6_11470
.LBB6_10471:                            ;   in Loop: Header=BB6_9656 Depth=2
	s_or_b32 exec_lo, exec_lo, s24
	s_and_saveexec_b32 s23, s10
	s_cbranch_execz .LBB6_10473
.LBB6_10472:                            ;   in Loop: Header=BB6_9656 Depth=2
	v_bfe_u32 v82, v10, 24, 3
	s_delay_alu instid0(VALU_DEP_1) | instskip(NEXT) | instid1(VALU_DEP_1)
	v_clz_i32_u32_e32 v83, v82
	v_min_u32_e32 v83, 32, v83
	s_delay_alu instid0(VALU_DEP_1) | instskip(SKIP_1) | instid1(VALU_DEP_2)
	v_subrev_nc_u32_e32 v86, 28, v83
	v_sub_nc_u32_e32 v83, 29, v83
	v_lshlrev_b32_e32 v66, v86, v66
	v_bfe_u32 v86, v10, 27, 4
	v_and_b32_e32 v10, 0x80000000, v10
	s_delay_alu instid0(VALU_DEP_2) | instskip(NEXT) | instid1(VALU_DEP_4)
	v_cmp_eq_u32_e32 vcc_lo, 0, v86
	v_dual_cndmask_b32 v83, v86, v83 :: v_dual_and_b32 v66, 7, v66
	s_delay_alu instid0(VALU_DEP_1) | instskip(NEXT) | instid1(VALU_DEP_2)
	v_cndmask_b32_e32 v66, v82, v66, vcc_lo
	v_lshl_add_u32 v82, v83, 23, 0x3b800000
	s_delay_alu instid0(VALU_DEP_2) | instskip(NEXT) | instid1(VALU_DEP_1)
	v_lshlrev_b32_e32 v66, 20, v66
	v_or3_b32 v82, v10, v82, v66
.LBB6_10473:                            ;   in Loop: Header=BB6_9656 Depth=2
	s_or_b32 exec_lo, exec_lo, s23
	s_delay_alu instid0(VALU_DEP_1) | instskip(SKIP_2) | instid1(VALU_DEP_2)
	v_mul_f32_e32 v10, s22, v82
	v_mov_b32_e32 v74, 0x80
	s_mov_b32 s23, exec_lo
	v_and_b32_e32 v66, 0x7f800000, v10
	s_delay_alu instid0(VALU_DEP_1)
	v_cmpx_ne_u32_e32 0x7f800000, v66
	s_cbranch_execz .LBB6_10481
; %bb.10474:                            ;   in Loop: Header=BB6_9656 Depth=2
	v_mov_b32_e32 v74, 0
	s_mov_b32 s24, exec_lo
	v_cmpx_ne_u32_e32 0, v10
	s_cbranch_execz .LBB6_10480
; %bb.10475:                            ;   in Loop: Header=BB6_9656 Depth=2
	v_bfe_u32 v66, v10, 23, 8
	s_delay_alu instid0(VALU_DEP_1) | instskip(SKIP_1) | instid1(VALU_DEP_2)
	v_sub_nc_u32_e32 v83, 0x78, v66
	v_cmp_gt_u32_e32 vcc_lo, 0x79, v66
	v_dual_cndmask_b32 v83, 0, v83 :: v_dual_and_b32 v82, 0x7fffff, v10
	s_delay_alu instid0(VALU_DEP_1) | instskip(SKIP_2) | instid1(VALU_DEP_4)
	v_or_b32_e32 v86, 0x800000, v82
	v_cmp_eq_u32_e32 vcc_lo, 0, v66
	v_add_nc_u32_e32 v66, 0xffffff89, v66
	v_cndmask_b32_e64 v83, v83, 0x77, vcc_lo
	s_delay_alu instid0(VALU_DEP_4) | instskip(NEXT) | instid1(VALU_DEP_3)
	v_cndmask_b32_e32 v82, v86, v82, vcc_lo
	v_cndmask_b32_e64 v66, v66, 0xffffff8a, vcc_lo
	s_delay_alu instid0(VALU_DEP_3) | instskip(NEXT) | instid1(VALU_DEP_3)
	v_lshl_add_u32 v86, 0x100000, v83, -1
	v_lshrrev_b32_e32 v87, v83, v82
	v_lshlrev_b32_e64 v97, v83, 0x80000
	s_delay_alu instid0(VALU_DEP_4) | instskip(NEXT) | instid1(VALU_DEP_4)
	v_add_nc_u32_e32 v83, v83, v66
	v_and_b32_e32 v82, v86, v82
	s_delay_alu instid0(VALU_DEP_4) | instskip(NEXT) | instid1(VALU_DEP_2)
	v_bfe_u32 v96, v87, 20, 1
	v_cmp_eq_u32_e64 s10, v82, v97
	s_delay_alu instid0(VALU_DEP_2) | instskip(NEXT) | instid1(VALU_DEP_1)
	v_add_nc_u32_e32 v86, -1, v96
	v_cndmask_b32_e64 v82, 0, v86, s10
	v_lshrrev_b32_e32 v86, 23, v87
	s_mov_b32 s10, exec_lo
	s_delay_alu instid0(VALU_DEP_2) | instskip(NEXT) | instid1(VALU_DEP_2)
	v_add_nc_u32_e32 v82, v82, v87
	v_xor_b32_e32 v86, 1, v86
	s_delay_alu instid0(VALU_DEP_2) | instskip(NEXT) | instid1(VALU_DEP_1)
	v_and_b32_e32 v66, 0xfffff, v82
	v_add_nc_u32_e32 v82, v66, v87
                                        ; implicit-def: $vgpr66
	s_delay_alu instid0(VALU_DEP_3)
	v_cmpx_ne_u32_e64 v83, v86
	s_xor_b32 s10, exec_lo, s10
; %bb.10476:                            ;   in Loop: Header=BB6_9656 Depth=2
	s_delay_alu instid0(VALU_DEP_2) | instskip(SKIP_2) | instid1(VALU_DEP_2)
	v_cmp_lt_u32_e32 vcc_lo, 0xffffff, v82
	v_sub_nc_u32_e32 v66, v83, v86
	v_cndmask_b32_e64 v83, 0, 1, vcc_lo
	v_add_co_ci_u32_e32 v66, vcc_lo, 0, v66, vcc_lo
	s_delay_alu instid0(VALU_DEP_2)
	v_lshrrev_b32_e32 v82, v83, v82
; %bb.10477:                            ;   in Loop: Header=BB6_9656 Depth=2
	s_and_not1_saveexec_b32 s10, s10
; %bb.10478:                            ;   in Loop: Header=BB6_9656 Depth=2
	s_delay_alu instid0(VALU_DEP_1)
	v_bfe_u32 v66, v82, 23, 1
; %bb.10479:                            ;   in Loop: Header=BB6_9656 Depth=2
	s_or_b32 exec_lo, exec_lo, s10
	v_lshrrev_b32_e32 v82, 20, v82
	s_delay_alu instid0(VALU_DEP_2) | instskip(SKIP_2) | instid1(VALU_DEP_4)
	v_cmp_gt_i32_e32 vcc_lo, 16, v66
	v_lshrrev_b32_e32 v10, 24, v10
	v_min_i32_e32 v83, 15, v66
	v_cndmask_b32_e32 v82, 7, v82, vcc_lo
	s_delay_alu instid0(VALU_DEP_3) | instskip(NEXT) | instid1(VALU_DEP_3)
	v_and_b32_e32 v10, 0x80, v10
	v_lshlrev_b32_e32 v83, 3, v83
	s_delay_alu instid0(VALU_DEP_3) | instskip(SKIP_1) | instid1(VALU_DEP_2)
	v_and_b32_e32 v86, 7, v82
	v_or_b32_e32 v66, v66, v82
	v_or3_b32 v10, v83, v10, v86
	s_delay_alu instid0(VALU_DEP_2) | instskip(NEXT) | instid1(VALU_DEP_2)
	v_cmp_ne_u32_e32 vcc_lo, 0, v66
	v_cndmask_b32_e32 v74, 0, v10, vcc_lo
.LBB6_10480:                            ;   in Loop: Header=BB6_9656 Depth=2
	s_or_b32 exec_lo, exec_lo, s24
.LBB6_10481:                            ;   in Loop: Header=BB6_9656 Depth=2
	s_delay_alu instid0(SALU_CYCLE_1) | instskip(SKIP_3) | instid1(VALU_DEP_1)
	s_or_b32 exec_lo, exec_lo, s23
	v_and_b32_e32 v66, 0xff, v11
	s_mov_b32 s10, 0
	s_mov_b32 s24, exec_lo
                                        ; implicit-def: $sgpr23
	v_cmpx_lt_i16_e32 0x7f, v66
	s_xor_b32 s24, exec_lo, s24
	s_cbranch_execnz .LBB6_11471
; %bb.10482:                            ;   in Loop: Header=BB6_9656 Depth=2
	s_or_saveexec_b32 s24, s24
	v_mov_b32_e32 v10, s23
	s_xor_b32 exec_lo, exec_lo, s24
	s_cbranch_execnz .LBB6_11474
.LBB6_10483:                            ;   in Loop: Header=BB6_9656 Depth=2
	s_or_b32 exec_lo, exec_lo, s24
	s_and_saveexec_b32 s23, s10
	s_cbranch_execz .LBB6_10485
.LBB6_10484:                            ;   in Loop: Header=BB6_9656 Depth=2
	v_and_b32_e32 v10, 7, v11
	v_bfe_u32 v83, v11, 3, 4
	v_lshlrev_b32_e32 v86, 24, v11
	s_delay_alu instid0(VALU_DEP_3) | instskip(NEXT) | instid1(VALU_DEP_3)
	v_clz_i32_u32_e32 v66, v10
	v_cmp_eq_u32_e32 vcc_lo, 0, v83
	s_delay_alu instid0(VALU_DEP_2) | instskip(NEXT) | instid1(VALU_DEP_1)
	v_min_u32_e32 v66, 32, v66
	v_subrev_nc_u32_e32 v82, 28, v66
	v_sub_nc_u32_e32 v66, 29, v66
	s_delay_alu instid0(VALU_DEP_2) | instskip(NEXT) | instid1(VALU_DEP_2)
	v_lshlrev_b32_e32 v82, v82, v11
	v_cndmask_b32_e32 v66, v83, v66, vcc_lo
	s_delay_alu instid0(VALU_DEP_2) | instskip(NEXT) | instid1(VALU_DEP_2)
	v_and_b32_e32 v82, 7, v82
	v_lshl_add_u32 v66, v66, 23, 0x3b800000
	s_delay_alu instid0(VALU_DEP_2) | instskip(SKIP_1) | instid1(VALU_DEP_2)
	v_cndmask_b32_e32 v10, v10, v82, vcc_lo
	v_and_b32_e32 v82, 0x80000000, v86
	v_lshlrev_b32_e32 v10, 20, v10
	s_delay_alu instid0(VALU_DEP_1)
	v_or3_b32 v10, v82, v66, v10
.LBB6_10485:                            ;   in Loop: Header=BB6_9656 Depth=2
	s_or_b32 exec_lo, exec_lo, s23
	s_delay_alu instid0(VALU_DEP_1) | instskip(SKIP_1) | instid1(VALU_DEP_1)
	v_dual_mul_f32 v10, s22, v10 :: v_dual_mov_b32 v75, 0x80
	s_mov_b32 s23, exec_lo
	v_and_b32_e32 v66, 0x7f800000, v10
	s_delay_alu instid0(VALU_DEP_1)
	v_cmpx_ne_u32_e32 0x7f800000, v66
	s_cbranch_execz .LBB6_10493
; %bb.10486:                            ;   in Loop: Header=BB6_9656 Depth=2
	v_mov_b32_e32 v75, 0
	s_mov_b32 s24, exec_lo
	v_cmpx_ne_u32_e32 0, v10
	s_cbranch_execz .LBB6_10492
; %bb.10487:                            ;   in Loop: Header=BB6_9656 Depth=2
	v_bfe_u32 v66, v10, 23, 8
	s_delay_alu instid0(VALU_DEP_1) | instskip(SKIP_1) | instid1(VALU_DEP_2)
	v_sub_nc_u32_e32 v83, 0x78, v66
	v_cmp_gt_u32_e32 vcc_lo, 0x79, v66
	v_dual_cndmask_b32 v83, 0, v83 :: v_dual_and_b32 v82, 0x7fffff, v10
	s_delay_alu instid0(VALU_DEP_1) | instskip(SKIP_2) | instid1(VALU_DEP_4)
	v_or_b32_e32 v86, 0x800000, v82
	v_cmp_eq_u32_e32 vcc_lo, 0, v66
	v_add_nc_u32_e32 v66, 0xffffff89, v66
	v_cndmask_b32_e64 v83, v83, 0x77, vcc_lo
	s_delay_alu instid0(VALU_DEP_4) | instskip(NEXT) | instid1(VALU_DEP_3)
	v_cndmask_b32_e32 v82, v86, v82, vcc_lo
	v_cndmask_b32_e64 v66, v66, 0xffffff8a, vcc_lo
	s_delay_alu instid0(VALU_DEP_3) | instskip(NEXT) | instid1(VALU_DEP_3)
	v_lshl_add_u32 v86, 0x100000, v83, -1
	v_lshrrev_b32_e32 v87, v83, v82
	v_lshlrev_b32_e64 v97, v83, 0x80000
	s_delay_alu instid0(VALU_DEP_4) | instskip(NEXT) | instid1(VALU_DEP_4)
	v_add_nc_u32_e32 v83, v83, v66
	v_and_b32_e32 v82, v86, v82
	s_delay_alu instid0(VALU_DEP_4) | instskip(NEXT) | instid1(VALU_DEP_2)
	v_bfe_u32 v96, v87, 20, 1
	v_cmp_eq_u32_e64 s10, v82, v97
	s_delay_alu instid0(VALU_DEP_2) | instskip(NEXT) | instid1(VALU_DEP_1)
	v_add_nc_u32_e32 v86, -1, v96
	v_cndmask_b32_e64 v82, 0, v86, s10
	v_lshrrev_b32_e32 v86, 23, v87
	s_mov_b32 s10, exec_lo
	s_delay_alu instid0(VALU_DEP_2) | instskip(NEXT) | instid1(VALU_DEP_2)
	v_add_nc_u32_e32 v82, v82, v87
	v_xor_b32_e32 v86, 1, v86
	s_delay_alu instid0(VALU_DEP_2) | instskip(NEXT) | instid1(VALU_DEP_1)
	v_and_b32_e32 v66, 0xfffff, v82
	v_add_nc_u32_e32 v82, v66, v87
                                        ; implicit-def: $vgpr66
	s_delay_alu instid0(VALU_DEP_3)
	v_cmpx_ne_u32_e64 v83, v86
	s_xor_b32 s10, exec_lo, s10
; %bb.10488:                            ;   in Loop: Header=BB6_9656 Depth=2
	s_delay_alu instid0(VALU_DEP_2) | instskip(SKIP_2) | instid1(VALU_DEP_2)
	v_cmp_lt_u32_e32 vcc_lo, 0xffffff, v82
	v_sub_nc_u32_e32 v66, v83, v86
	v_cndmask_b32_e64 v83, 0, 1, vcc_lo
	v_add_co_ci_u32_e32 v66, vcc_lo, 0, v66, vcc_lo
	s_delay_alu instid0(VALU_DEP_2)
	v_lshrrev_b32_e32 v82, v83, v82
; %bb.10489:                            ;   in Loop: Header=BB6_9656 Depth=2
	s_and_not1_saveexec_b32 s10, s10
; %bb.10490:                            ;   in Loop: Header=BB6_9656 Depth=2
	s_delay_alu instid0(VALU_DEP_1)
	v_bfe_u32 v66, v82, 23, 1
; %bb.10491:                            ;   in Loop: Header=BB6_9656 Depth=2
	s_or_b32 exec_lo, exec_lo, s10
	v_lshrrev_b32_e32 v82, 20, v82
	s_delay_alu instid0(VALU_DEP_2) | instskip(SKIP_2) | instid1(VALU_DEP_3)
	v_min_i32_e32 v83, 15, v66
	v_cmp_gt_i32_e32 vcc_lo, 16, v66
	v_lshrrev_b32_e32 v10, 24, v10
	v_dual_cndmask_b32 v82, 7, v82 :: v_dual_lshlrev_b32 v83, 3, v83
	s_delay_alu instid0(VALU_DEP_2) | instskip(NEXT) | instid1(VALU_DEP_2)
	v_and_b32_e32 v10, 0x80, v10
	v_and_b32_e32 v83, 0xf8, v83
	s_delay_alu instid0(VALU_DEP_3) | instskip(SKIP_1) | instid1(VALU_DEP_2)
	v_and_b32_e32 v86, 7, v82
	v_or_b32_e32 v66, v66, v82
	v_or3_b32 v10, v83, v10, v86
	s_delay_alu instid0(VALU_DEP_2) | instskip(NEXT) | instid1(VALU_DEP_2)
	v_cmp_ne_u32_e32 vcc_lo, 0, v66
	v_cndmask_b32_e32 v75, 0, v10, vcc_lo
.LBB6_10492:                            ;   in Loop: Header=BB6_9656 Depth=2
	s_or_b32 exec_lo, exec_lo, s24
.LBB6_10493:                            ;   in Loop: Header=BB6_9656 Depth=2
	s_delay_alu instid0(SALU_CYCLE_1) | instskip(SKIP_3) | instid1(VALU_DEP_1)
	s_or_b32 exec_lo, exec_lo, s23
	v_lshrrev_b16 v10, 8, v11
	s_mov_b32 s10, 0
	s_mov_b32 s24, exec_lo
                                        ; implicit-def: $sgpr23
	v_cmpx_lt_i16_e32 0x7f, v10
	s_xor_b32 s24, exec_lo, s24
	s_cbranch_execnz .LBB6_11475
; %bb.10494:                            ;   in Loop: Header=BB6_9656 Depth=2
	s_or_saveexec_b32 s24, s24
	v_mov_b32_e32 v66, s23
	s_xor_b32 exec_lo, exec_lo, s24
	s_cbranch_execnz .LBB6_11478
.LBB6_10495:                            ;   in Loop: Header=BB6_9656 Depth=2
	s_or_b32 exec_lo, exec_lo, s24
	s_and_saveexec_b32 s23, s10
	s_cbranch_execz .LBB6_10497
.LBB6_10496:                            ;   in Loop: Header=BB6_9656 Depth=2
	v_and_b32_e32 v66, 0xffff, v10
	v_lshlrev_b32_e32 v10, 24, v10
	s_delay_alu instid0(VALU_DEP_2) | instskip(NEXT) | instid1(VALU_DEP_2)
	v_and_b32_e32 v82, 7, v66
	v_and_b32_e32 v10, 0x80000000, v10
	s_delay_alu instid0(VALU_DEP_2) | instskip(NEXT) | instid1(VALU_DEP_1)
	v_clz_i32_u32_e32 v83, v82
	v_min_u32_e32 v83, 32, v83
	s_delay_alu instid0(VALU_DEP_1) | instskip(SKIP_1) | instid1(VALU_DEP_2)
	v_subrev_nc_u32_e32 v86, 28, v83
	v_sub_nc_u32_e32 v83, 29, v83
	v_lshlrev_b32_e32 v86, v86, v66
	v_bfe_u32 v66, v66, 3, 4
	s_delay_alu instid0(VALU_DEP_2) | instskip(NEXT) | instid1(VALU_DEP_2)
	v_and_b32_e32 v86, 7, v86
	v_cmp_eq_u32_e32 vcc_lo, 0, v66
	v_cndmask_b32_e32 v66, v66, v83, vcc_lo
	s_delay_alu instid0(VALU_DEP_3) | instskip(NEXT) | instid1(VALU_DEP_2)
	v_cndmask_b32_e32 v82, v82, v86, vcc_lo
	v_lshl_add_u32 v66, v66, 23, 0x3b800000
	s_delay_alu instid0(VALU_DEP_2) | instskip(NEXT) | instid1(VALU_DEP_1)
	v_lshlrev_b32_e32 v82, 20, v82
	v_or3_b32 v66, v10, v66, v82
.LBB6_10497:                            ;   in Loop: Header=BB6_9656 Depth=2
	s_or_b32 exec_lo, exec_lo, s23
	s_delay_alu instid0(VALU_DEP_1) | instskip(SKIP_2) | instid1(VALU_DEP_2)
	v_mul_f32_e32 v10, s22, v66
	v_mov_b32_e32 v76, 0x8000
	s_mov_b32 s23, exec_lo
	v_and_b32_e32 v66, 0x7f800000, v10
	s_delay_alu instid0(VALU_DEP_1)
	v_cmpx_ne_u32_e32 0x7f800000, v66
	s_cbranch_execz .LBB6_10505
; %bb.10498:                            ;   in Loop: Header=BB6_9656 Depth=2
	v_mov_b32_e32 v76, 0
	s_mov_b32 s24, exec_lo
	v_cmpx_ne_u32_e32 0, v10
	s_cbranch_execz .LBB6_10504
; %bb.10499:                            ;   in Loop: Header=BB6_9656 Depth=2
	v_bfe_u32 v66, v10, 23, 8
	s_delay_alu instid0(VALU_DEP_1) | instskip(SKIP_1) | instid1(VALU_DEP_2)
	v_sub_nc_u32_e32 v83, 0x78, v66
	v_cmp_gt_u32_e32 vcc_lo, 0x79, v66
	v_dual_cndmask_b32 v83, 0, v83 :: v_dual_and_b32 v82, 0x7fffff, v10
	s_delay_alu instid0(VALU_DEP_1) | instskip(SKIP_2) | instid1(VALU_DEP_4)
	v_or_b32_e32 v86, 0x800000, v82
	v_cmp_eq_u32_e32 vcc_lo, 0, v66
	v_add_nc_u32_e32 v66, 0xffffff89, v66
	v_cndmask_b32_e64 v83, v83, 0x77, vcc_lo
	s_delay_alu instid0(VALU_DEP_4) | instskip(NEXT) | instid1(VALU_DEP_3)
	v_cndmask_b32_e32 v82, v86, v82, vcc_lo
	v_cndmask_b32_e64 v66, v66, 0xffffff8a, vcc_lo
	s_delay_alu instid0(VALU_DEP_3) | instskip(NEXT) | instid1(VALU_DEP_3)
	v_lshl_add_u32 v86, 0x100000, v83, -1
	v_lshrrev_b32_e32 v87, v83, v82
	v_lshlrev_b32_e64 v97, v83, 0x80000
	s_delay_alu instid0(VALU_DEP_4) | instskip(NEXT) | instid1(VALU_DEP_4)
	v_add_nc_u32_e32 v83, v83, v66
	v_and_b32_e32 v82, v86, v82
	s_delay_alu instid0(VALU_DEP_4) | instskip(NEXT) | instid1(VALU_DEP_2)
	v_bfe_u32 v96, v87, 20, 1
	v_cmp_eq_u32_e64 s10, v82, v97
	s_delay_alu instid0(VALU_DEP_2) | instskip(NEXT) | instid1(VALU_DEP_1)
	v_add_nc_u32_e32 v86, -1, v96
	v_cndmask_b32_e64 v82, 0, v86, s10
	v_lshrrev_b32_e32 v86, 23, v87
	s_mov_b32 s10, exec_lo
	s_delay_alu instid0(VALU_DEP_2) | instskip(NEXT) | instid1(VALU_DEP_2)
	v_add_nc_u32_e32 v82, v82, v87
	v_xor_b32_e32 v86, 1, v86
	s_delay_alu instid0(VALU_DEP_2) | instskip(NEXT) | instid1(VALU_DEP_1)
	v_and_b32_e32 v66, 0xfffff, v82
	v_add_nc_u32_e32 v82, v66, v87
                                        ; implicit-def: $vgpr66
	s_delay_alu instid0(VALU_DEP_3)
	v_cmpx_ne_u32_e64 v83, v86
	s_xor_b32 s10, exec_lo, s10
; %bb.10500:                            ;   in Loop: Header=BB6_9656 Depth=2
	s_delay_alu instid0(VALU_DEP_2) | instskip(SKIP_2) | instid1(VALU_DEP_2)
	v_cmp_lt_u32_e32 vcc_lo, 0xffffff, v82
	v_sub_nc_u32_e32 v66, v83, v86
	v_cndmask_b32_e64 v83, 0, 1, vcc_lo
	v_add_co_ci_u32_e32 v66, vcc_lo, 0, v66, vcc_lo
	s_delay_alu instid0(VALU_DEP_2)
	v_lshrrev_b32_e32 v82, v83, v82
; %bb.10501:                            ;   in Loop: Header=BB6_9656 Depth=2
	s_and_not1_saveexec_b32 s10, s10
; %bb.10502:                            ;   in Loop: Header=BB6_9656 Depth=2
	s_delay_alu instid0(VALU_DEP_1)
	v_bfe_u32 v66, v82, 23, 1
; %bb.10503:                            ;   in Loop: Header=BB6_9656 Depth=2
	s_or_b32 exec_lo, exec_lo, s10
	v_lshrrev_b32_e32 v82, 20, v82
	s_delay_alu instid0(VALU_DEP_2) | instskip(SKIP_2) | instid1(VALU_DEP_2)
	v_cmp_gt_i32_e32 vcc_lo, 16, v66
	v_min_i32_e32 v83, 15, v66
	v_lshrrev_b32_e32 v10, 24, v10
	v_dual_cndmask_b32 v82, 7, v82 :: v_dual_lshlrev_b32 v83, 3, v83
	s_delay_alu instid0(VALU_DEP_2) | instskip(NEXT) | instid1(VALU_DEP_2)
	v_and_b32_e32 v10, 0x80, v10
	v_or_b32_e32 v66, v66, v82
	v_and_b32_e32 v86, 7, v82
	s_delay_alu instid0(VALU_DEP_2) | instskip(SKIP_1) | instid1(VALU_DEP_1)
	v_cmp_ne_u32_e32 vcc_lo, 0, v66
	v_and_b32_e32 v83, 0xf8, v83
	v_or3_b32 v10, v10, v83, v86
	s_delay_alu instid0(VALU_DEP_1) | instskip(NEXT) | instid1(VALU_DEP_1)
	v_lshlrev_b32_e32 v10, 8, v10
	v_cndmask_b32_e32 v76, 0, v10, vcc_lo
.LBB6_10504:                            ;   in Loop: Header=BB6_9656 Depth=2
	s_or_b32 exec_lo, exec_lo, s24
.LBB6_10505:                            ;   in Loop: Header=BB6_9656 Depth=2
	s_delay_alu instid0(SALU_CYCLE_1) | instskip(SKIP_3) | instid1(VALU_DEP_1)
	s_or_b32 exec_lo, exec_lo, s23
	v_lshrrev_b32_e32 v10, 16, v11
	s_mov_b32 s10, 0
	s_mov_b32 s24, exec_lo
                                        ; implicit-def: $sgpr23
	v_and_b32_e32 v82, 0xff, v10
	s_delay_alu instid0(VALU_DEP_1)
	v_cmpx_lt_i16_e32 0x7f, v82
	s_xor_b32 s24, exec_lo, s24
	s_cbranch_execnz .LBB6_11479
; %bb.10506:                            ;   in Loop: Header=BB6_9656 Depth=2
	s_or_saveexec_b32 s24, s24
	v_mov_b32_e32 v66, s23
	s_xor_b32 exec_lo, exec_lo, s24
	s_cbranch_execnz .LBB6_11482
.LBB6_10507:                            ;   in Loop: Header=BB6_9656 Depth=2
	s_or_b32 exec_lo, exec_lo, s24
	s_and_saveexec_b32 s23, s10
	s_cbranch_execz .LBB6_10509
.LBB6_10508:                            ;   in Loop: Header=BB6_9656 Depth=2
	v_bfe_u32 v66, v11, 16, 3
	v_lshlrev_b32_e32 v86, 8, v11
	s_delay_alu instid0(VALU_DEP_2) | instskip(NEXT) | instid1(VALU_DEP_1)
	v_clz_i32_u32_e32 v82, v66
	v_min_u32_e32 v82, 32, v82
	s_delay_alu instid0(VALU_DEP_1) | instskip(SKIP_1) | instid1(VALU_DEP_2)
	v_subrev_nc_u32_e32 v83, 28, v82
	v_sub_nc_u32_e32 v82, 29, v82
	v_lshlrev_b32_e32 v10, v83, v10
	v_bfe_u32 v83, v11, 19, 4
	s_delay_alu instid0(VALU_DEP_2) | instskip(NEXT) | instid1(VALU_DEP_2)
	v_and_b32_e32 v10, 7, v10
	v_cmp_eq_u32_e32 vcc_lo, 0, v83
	v_cndmask_b32_e32 v82, v83, v82, vcc_lo
	s_delay_alu instid0(VALU_DEP_3) | instskip(SKIP_1) | instid1(VALU_DEP_3)
	v_cndmask_b32_e32 v10, v66, v10, vcc_lo
	v_and_b32_e32 v66, 0x80000000, v86
	v_lshl_add_u32 v82, v82, 23, 0x3b800000
	s_delay_alu instid0(VALU_DEP_3) | instskip(NEXT) | instid1(VALU_DEP_1)
	v_lshlrev_b32_e32 v10, 20, v10
	v_or3_b32 v66, v66, v82, v10
.LBB6_10509:                            ;   in Loop: Header=BB6_9656 Depth=2
	s_or_b32 exec_lo, exec_lo, s23
	s_delay_alu instid0(VALU_DEP_1) | instskip(SKIP_1) | instid1(VALU_DEP_1)
	v_dual_mul_f32 v10, s22, v66 :: v_dual_mov_b32 v77, 0x80
	s_mov_b32 s23, exec_lo
	v_and_b32_e32 v66, 0x7f800000, v10
	s_delay_alu instid0(VALU_DEP_1)
	v_cmpx_ne_u32_e32 0x7f800000, v66
	s_cbranch_execz .LBB6_10517
; %bb.10510:                            ;   in Loop: Header=BB6_9656 Depth=2
	v_mov_b32_e32 v77, 0
	s_mov_b32 s24, exec_lo
	v_cmpx_ne_u32_e32 0, v10
	s_cbranch_execz .LBB6_10516
; %bb.10511:                            ;   in Loop: Header=BB6_9656 Depth=2
	v_bfe_u32 v66, v10, 23, 8
	s_delay_alu instid0(VALU_DEP_1) | instskip(SKIP_1) | instid1(VALU_DEP_2)
	v_sub_nc_u32_e32 v83, 0x78, v66
	v_cmp_gt_u32_e32 vcc_lo, 0x79, v66
	v_dual_cndmask_b32 v83, 0, v83 :: v_dual_and_b32 v82, 0x7fffff, v10
	s_delay_alu instid0(VALU_DEP_1) | instskip(SKIP_2) | instid1(VALU_DEP_4)
	v_or_b32_e32 v86, 0x800000, v82
	v_cmp_eq_u32_e32 vcc_lo, 0, v66
	v_add_nc_u32_e32 v66, 0xffffff89, v66
	v_cndmask_b32_e64 v83, v83, 0x77, vcc_lo
	s_delay_alu instid0(VALU_DEP_4) | instskip(NEXT) | instid1(VALU_DEP_3)
	v_cndmask_b32_e32 v82, v86, v82, vcc_lo
	v_cndmask_b32_e64 v66, v66, 0xffffff8a, vcc_lo
	s_delay_alu instid0(VALU_DEP_3) | instskip(NEXT) | instid1(VALU_DEP_3)
	v_lshl_add_u32 v86, 0x100000, v83, -1
	v_lshrrev_b32_e32 v87, v83, v82
	v_lshlrev_b32_e64 v97, v83, 0x80000
	s_delay_alu instid0(VALU_DEP_4) | instskip(NEXT) | instid1(VALU_DEP_4)
	v_add_nc_u32_e32 v83, v83, v66
	v_and_b32_e32 v82, v86, v82
	s_delay_alu instid0(VALU_DEP_4) | instskip(NEXT) | instid1(VALU_DEP_2)
	v_bfe_u32 v96, v87, 20, 1
	v_cmp_eq_u32_e64 s10, v82, v97
	s_delay_alu instid0(VALU_DEP_2) | instskip(NEXT) | instid1(VALU_DEP_1)
	v_add_nc_u32_e32 v86, -1, v96
	v_cndmask_b32_e64 v82, 0, v86, s10
	v_lshrrev_b32_e32 v86, 23, v87
	s_mov_b32 s10, exec_lo
	s_delay_alu instid0(VALU_DEP_2) | instskip(NEXT) | instid1(VALU_DEP_2)
	v_add_nc_u32_e32 v82, v82, v87
	v_xor_b32_e32 v86, 1, v86
	s_delay_alu instid0(VALU_DEP_2) | instskip(NEXT) | instid1(VALU_DEP_1)
	v_and_b32_e32 v66, 0xfffff, v82
	v_add_nc_u32_e32 v82, v66, v87
                                        ; implicit-def: $vgpr66
	s_delay_alu instid0(VALU_DEP_3)
	v_cmpx_ne_u32_e64 v83, v86
	s_xor_b32 s10, exec_lo, s10
; %bb.10512:                            ;   in Loop: Header=BB6_9656 Depth=2
	s_delay_alu instid0(VALU_DEP_2) | instskip(SKIP_2) | instid1(VALU_DEP_2)
	v_cmp_lt_u32_e32 vcc_lo, 0xffffff, v82
	v_sub_nc_u32_e32 v66, v83, v86
	v_cndmask_b32_e64 v83, 0, 1, vcc_lo
	v_add_co_ci_u32_e32 v66, vcc_lo, 0, v66, vcc_lo
	s_delay_alu instid0(VALU_DEP_2)
	v_lshrrev_b32_e32 v82, v83, v82
; %bb.10513:                            ;   in Loop: Header=BB6_9656 Depth=2
	s_and_not1_saveexec_b32 s10, s10
; %bb.10514:                            ;   in Loop: Header=BB6_9656 Depth=2
	s_delay_alu instid0(VALU_DEP_1)
	v_bfe_u32 v66, v82, 23, 1
; %bb.10515:                            ;   in Loop: Header=BB6_9656 Depth=2
	s_or_b32 exec_lo, exec_lo, s10
	v_lshrrev_b32_e32 v82, 20, v82
	s_delay_alu instid0(VALU_DEP_2) | instskip(SKIP_2) | instid1(VALU_DEP_3)
	v_min_i32_e32 v83, 15, v66
	v_cmp_gt_i32_e32 vcc_lo, 16, v66
	v_lshrrev_b32_e32 v10, 24, v10
	v_dual_cndmask_b32 v82, 7, v82 :: v_dual_lshlrev_b32 v83, 3, v83
	s_delay_alu instid0(VALU_DEP_2) | instskip(NEXT) | instid1(VALU_DEP_2)
	v_and_b32_e32 v10, 0x80, v10
	v_and_b32_e32 v83, 0xf8, v83
	s_delay_alu instid0(VALU_DEP_3) | instskip(SKIP_1) | instid1(VALU_DEP_2)
	v_and_b32_e32 v86, 7, v82
	v_or_b32_e32 v66, v66, v82
	v_or3_b32 v10, v83, v10, v86
	s_delay_alu instid0(VALU_DEP_2) | instskip(NEXT) | instid1(VALU_DEP_2)
	v_cmp_ne_u32_e32 vcc_lo, 0, v66
	v_cndmask_b32_e32 v77, 0, v10, vcc_lo
.LBB6_10516:                            ;   in Loop: Header=BB6_9656 Depth=2
	s_or_b32 exec_lo, exec_lo, s24
.LBB6_10517:                            ;   in Loop: Header=BB6_9656 Depth=2
	s_delay_alu instid0(SALU_CYCLE_1) | instskip(SKIP_3) | instid1(VALU_DEP_1)
	s_or_b32 exec_lo, exec_lo, s23
	v_lshrrev_b32_e32 v10, 24, v11
	s_mov_b32 s10, 0
	s_mov_b32 s24, exec_lo
                                        ; implicit-def: $sgpr23
	v_cmpx_lt_i16_e32 0x7f, v10
	s_xor_b32 s24, exec_lo, s24
	s_cbranch_execnz .LBB6_11483
; %bb.10518:                            ;   in Loop: Header=BB6_9656 Depth=2
	s_or_saveexec_b32 s24, s24
	v_mov_b32_e32 v66, s23
	s_xor_b32 exec_lo, exec_lo, s24
	s_cbranch_execnz .LBB6_11486
.LBB6_10519:                            ;   in Loop: Header=BB6_9656 Depth=2
	s_or_b32 exec_lo, exec_lo, s24
	s_and_saveexec_b32 s23, s10
	s_cbranch_execz .LBB6_10521
.LBB6_10520:                            ;   in Loop: Header=BB6_9656 Depth=2
	v_bfe_u32 v66, v11, 24, 3
	s_delay_alu instid0(VALU_DEP_1) | instskip(NEXT) | instid1(VALU_DEP_1)
	v_clz_i32_u32_e32 v82, v66
	v_min_u32_e32 v82, 32, v82
	s_delay_alu instid0(VALU_DEP_1) | instskip(SKIP_1) | instid1(VALU_DEP_2)
	v_subrev_nc_u32_e32 v83, 28, v82
	v_sub_nc_u32_e32 v82, 29, v82
	v_lshlrev_b32_e32 v10, v83, v10
	v_bfe_u32 v83, v11, 27, 4
	v_and_b32_e32 v11, 0x80000000, v11
	s_delay_alu instid0(VALU_DEP_3) | instskip(NEXT) | instid1(VALU_DEP_3)
	v_and_b32_e32 v10, 7, v10
	v_cmp_eq_u32_e32 vcc_lo, 0, v83
	v_cndmask_b32_e32 v82, v83, v82, vcc_lo
	s_delay_alu instid0(VALU_DEP_3) | instskip(NEXT) | instid1(VALU_DEP_2)
	v_cndmask_b32_e32 v10, v66, v10, vcc_lo
	v_lshl_add_u32 v66, v82, 23, 0x3b800000
	s_delay_alu instid0(VALU_DEP_2) | instskip(NEXT) | instid1(VALU_DEP_1)
	v_lshlrev_b32_e32 v10, 20, v10
	v_or3_b32 v66, v11, v66, v10
.LBB6_10521:                            ;   in Loop: Header=BB6_9656 Depth=2
	s_or_b32 exec_lo, exec_lo, s23
	s_delay_alu instid0(VALU_DEP_1) | instskip(SKIP_2) | instid1(VALU_DEP_2)
	v_mul_f32_e32 v10, s22, v66
	v_mov_b32_e32 v78, 0x8000
	s_mov_b32 s23, exec_lo
	v_and_b32_e32 v11, 0x7f800000, v10
	s_delay_alu instid0(VALU_DEP_1)
	v_cmpx_ne_u32_e32 0x7f800000, v11
	s_cbranch_execz .LBB6_10529
; %bb.10522:                            ;   in Loop: Header=BB6_9656 Depth=2
	v_mov_b32_e32 v78, 0
	s_mov_b32 s24, exec_lo
	v_cmpx_ne_u32_e32 0, v10
	s_cbranch_execz .LBB6_10528
; %bb.10523:                            ;   in Loop: Header=BB6_9656 Depth=2
	v_bfe_u32 v11, v10, 23, 8
	v_and_b32_e32 v66, 0x7fffff, v10
	s_delay_alu instid0(VALU_DEP_2) | instskip(SKIP_1) | instid1(VALU_DEP_3)
	v_sub_nc_u32_e32 v82, 0x78, v11
	v_cmp_gt_u32_e32 vcc_lo, 0x79, v11
	v_or_b32_e32 v83, 0x800000, v66
	s_delay_alu instid0(VALU_DEP_3) | instskip(SKIP_2) | instid1(VALU_DEP_3)
	v_cndmask_b32_e32 v82, 0, v82, vcc_lo
	v_cmp_eq_u32_e32 vcc_lo, 0, v11
	v_add_nc_u32_e32 v11, 0xffffff89, v11
	v_cndmask_b32_e64 v82, v82, 0x77, vcc_lo
	v_cndmask_b32_e32 v66, v83, v66, vcc_lo
	s_delay_alu instid0(VALU_DEP_3) | instskip(NEXT) | instid1(VALU_DEP_3)
	v_cndmask_b32_e64 v11, v11, 0xffffff8a, vcc_lo
	v_lshl_add_u32 v83, 0x100000, v82, -1
	s_delay_alu instid0(VALU_DEP_3) | instskip(SKIP_1) | instid1(VALU_DEP_4)
	v_lshrrev_b32_e32 v86, v82, v66
	v_lshlrev_b32_e64 v96, v82, 0x80000
	v_add_nc_u32_e32 v82, v82, v11
	s_delay_alu instid0(VALU_DEP_4) | instskip(NEXT) | instid1(VALU_DEP_4)
	v_and_b32_e32 v66, v83, v66
	v_bfe_u32 v87, v86, 20, 1
	s_delay_alu instid0(VALU_DEP_2) | instskip(NEXT) | instid1(VALU_DEP_2)
	v_cmp_eq_u32_e64 s10, v66, v96
	v_add_nc_u32_e32 v83, -1, v87
	s_delay_alu instid0(VALU_DEP_1) | instskip(SKIP_2) | instid1(VALU_DEP_2)
	v_cndmask_b32_e64 v66, 0, v83, s10
	v_lshrrev_b32_e32 v83, 23, v86
	s_mov_b32 s10, exec_lo
	v_add_nc_u32_e32 v66, v66, v86
	s_delay_alu instid0(VALU_DEP_2) | instskip(NEXT) | instid1(VALU_DEP_2)
	v_xor_b32_e32 v83, 1, v83
	v_and_b32_e32 v11, 0xfffff, v66
	s_delay_alu instid0(VALU_DEP_1) | instskip(NEXT) | instid1(VALU_DEP_3)
	v_add_nc_u32_e32 v66, v11, v86
                                        ; implicit-def: $vgpr11
	v_cmpx_ne_u32_e64 v82, v83
	s_xor_b32 s10, exec_lo, s10
; %bb.10524:                            ;   in Loop: Header=BB6_9656 Depth=2
	s_delay_alu instid0(VALU_DEP_2) | instskip(SKIP_2) | instid1(VALU_DEP_2)
	v_cmp_lt_u32_e32 vcc_lo, 0xffffff, v66
	v_sub_nc_u32_e32 v11, v82, v83
	v_cndmask_b32_e64 v82, 0, 1, vcc_lo
	v_add_co_ci_u32_e32 v11, vcc_lo, 0, v11, vcc_lo
	s_delay_alu instid0(VALU_DEP_2)
	v_lshrrev_b32_e32 v66, v82, v66
; %bb.10525:                            ;   in Loop: Header=BB6_9656 Depth=2
	s_and_not1_saveexec_b32 s10, s10
; %bb.10526:                            ;   in Loop: Header=BB6_9656 Depth=2
	s_delay_alu instid0(VALU_DEP_1)
	v_bfe_u32 v11, v66, 23, 1
; %bb.10527:                            ;   in Loop: Header=BB6_9656 Depth=2
	s_or_b32 exec_lo, exec_lo, s10
	v_lshrrev_b32_e32 v66, 20, v66
	s_delay_alu instid0(VALU_DEP_2) | instskip(SKIP_2) | instid1(VALU_DEP_3)
	v_min_i32_e32 v82, 15, v11
	v_cmp_gt_i32_e32 vcc_lo, 16, v11
	v_lshrrev_b32_e32 v10, 24, v10
	v_lshlrev_b32_e32 v82, 3, v82
	v_cndmask_b32_e32 v66, 7, v66, vcc_lo
	s_delay_alu instid0(VALU_DEP_3) | instskip(NEXT) | instid1(VALU_DEP_3)
	v_and_b32_e32 v10, 0x80, v10
	v_and_b32_e32 v82, 0xf8, v82
	s_delay_alu instid0(VALU_DEP_3) | instskip(SKIP_1) | instid1(VALU_DEP_2)
	v_and_b32_e32 v83, 7, v66
	v_or_b32_e32 v11, v11, v66
	v_or3_b32 v10, v10, v82, v83
	s_delay_alu instid0(VALU_DEP_2) | instskip(NEXT) | instid1(VALU_DEP_2)
	v_cmp_ne_u32_e32 vcc_lo, 0, v11
	v_lshlrev_b32_e32 v10, 8, v10
	s_delay_alu instid0(VALU_DEP_1)
	v_cndmask_b32_e32 v78, 0, v10, vcc_lo
.LBB6_10528:                            ;   in Loop: Header=BB6_9656 Depth=2
	s_or_b32 exec_lo, exec_lo, s24
.LBB6_10529:                            ;   in Loop: Header=BB6_9656 Depth=2
	s_delay_alu instid0(SALU_CYCLE_1) | instskip(SKIP_3) | instid1(VALU_DEP_1)
	s_or_b32 exec_lo, exec_lo, s23
	v_and_b32_e32 v11, 0xff, v12
	s_mov_b32 s10, 0
	s_mov_b32 s24, exec_lo
                                        ; implicit-def: $sgpr23
	v_cmpx_lt_i16_e32 0x7f, v11
	s_xor_b32 s24, exec_lo, s24
	s_cbranch_execnz .LBB6_11487
; %bb.10530:                            ;   in Loop: Header=BB6_9656 Depth=2
	s_or_saveexec_b32 s24, s24
	v_mov_b32_e32 v10, s23
	s_xor_b32 exec_lo, exec_lo, s24
	s_cbranch_execnz .LBB6_11490
.LBB6_10531:                            ;   in Loop: Header=BB6_9656 Depth=2
	s_or_b32 exec_lo, exec_lo, s24
	s_and_saveexec_b32 s23, s10
	s_cbranch_execz .LBB6_10533
.LBB6_10532:                            ;   in Loop: Header=BB6_9656 Depth=2
	v_bfe_u32 v82, v12, 3, 4
	s_delay_alu instid0(VALU_DEP_1) | instskip(SKIP_1) | instid1(VALU_DEP_1)
	v_cmp_eq_u32_e32 vcc_lo, 0, v82
	v_and_b32_e32 v10, 7, v12
	v_clz_i32_u32_e32 v11, v10
	s_delay_alu instid0(VALU_DEP_1) | instskip(NEXT) | instid1(VALU_DEP_1)
	v_min_u32_e32 v11, 32, v11
	v_subrev_nc_u32_e32 v66, 28, v11
	v_sub_nc_u32_e32 v11, 29, v11
	s_delay_alu instid0(VALU_DEP_2) | instskip(NEXT) | instid1(VALU_DEP_1)
	v_lshlrev_b32_e32 v66, v66, v12
	v_dual_cndmask_b32 v11, v82, v11 :: v_dual_and_b32 v66, 7, v66
	v_lshlrev_b32_e32 v83, 24, v12
	s_delay_alu instid0(VALU_DEP_2) | instskip(NEXT) | instid1(VALU_DEP_3)
	v_lshl_add_u32 v11, v11, 23, 0x3b800000
	v_cndmask_b32_e32 v10, v10, v66, vcc_lo
	s_delay_alu instid0(VALU_DEP_3) | instskip(NEXT) | instid1(VALU_DEP_2)
	v_and_b32_e32 v66, 0x80000000, v83
	v_lshlrev_b32_e32 v10, 20, v10
	s_delay_alu instid0(VALU_DEP_1)
	v_or3_b32 v10, v66, v11, v10
.LBB6_10533:                            ;   in Loop: Header=BB6_9656 Depth=2
	s_or_b32 exec_lo, exec_lo, s23
	s_delay_alu instid0(VALU_DEP_1) | instskip(SKIP_1) | instid1(VALU_DEP_1)
	v_dual_mul_f32 v10, s22, v10 :: v_dual_mov_b32 v79, 0x80
	s_mov_b32 s23, exec_lo
	v_and_b32_e32 v11, 0x7f800000, v10
	s_delay_alu instid0(VALU_DEP_1)
	v_cmpx_ne_u32_e32 0x7f800000, v11
	s_cbranch_execz .LBB6_10541
; %bb.10534:                            ;   in Loop: Header=BB6_9656 Depth=2
	v_mov_b32_e32 v79, 0
	s_mov_b32 s24, exec_lo
	v_cmpx_ne_u32_e32 0, v10
	s_cbranch_execz .LBB6_10540
; %bb.10535:                            ;   in Loop: Header=BB6_9656 Depth=2
	v_bfe_u32 v11, v10, 23, 8
	v_and_b32_e32 v66, 0x7fffff, v10
	s_delay_alu instid0(VALU_DEP_2) | instskip(SKIP_1) | instid1(VALU_DEP_3)
	v_sub_nc_u32_e32 v82, 0x78, v11
	v_cmp_gt_u32_e32 vcc_lo, 0x79, v11
	v_or_b32_e32 v83, 0x800000, v66
	s_delay_alu instid0(VALU_DEP_3) | instskip(SKIP_2) | instid1(VALU_DEP_3)
	v_cndmask_b32_e32 v82, 0, v82, vcc_lo
	v_cmp_eq_u32_e32 vcc_lo, 0, v11
	v_add_nc_u32_e32 v11, 0xffffff89, v11
	v_cndmask_b32_e64 v82, v82, 0x77, vcc_lo
	v_cndmask_b32_e32 v66, v83, v66, vcc_lo
	s_delay_alu instid0(VALU_DEP_3) | instskip(NEXT) | instid1(VALU_DEP_3)
	v_cndmask_b32_e64 v11, v11, 0xffffff8a, vcc_lo
	v_lshl_add_u32 v83, 0x100000, v82, -1
	s_delay_alu instid0(VALU_DEP_3) | instskip(SKIP_1) | instid1(VALU_DEP_4)
	v_lshrrev_b32_e32 v86, v82, v66
	v_lshlrev_b32_e64 v96, v82, 0x80000
	v_add_nc_u32_e32 v82, v82, v11
	s_delay_alu instid0(VALU_DEP_4) | instskip(NEXT) | instid1(VALU_DEP_4)
	v_and_b32_e32 v66, v83, v66
	v_bfe_u32 v87, v86, 20, 1
	s_delay_alu instid0(VALU_DEP_2) | instskip(NEXT) | instid1(VALU_DEP_2)
	v_cmp_eq_u32_e64 s10, v66, v96
	v_add_nc_u32_e32 v83, -1, v87
	s_delay_alu instid0(VALU_DEP_1) | instskip(SKIP_2) | instid1(VALU_DEP_2)
	v_cndmask_b32_e64 v66, 0, v83, s10
	v_lshrrev_b32_e32 v83, 23, v86
	s_mov_b32 s10, exec_lo
	v_add_nc_u32_e32 v66, v66, v86
	s_delay_alu instid0(VALU_DEP_2) | instskip(NEXT) | instid1(VALU_DEP_2)
	v_xor_b32_e32 v83, 1, v83
	v_and_b32_e32 v11, 0xfffff, v66
	s_delay_alu instid0(VALU_DEP_1) | instskip(NEXT) | instid1(VALU_DEP_3)
	v_add_nc_u32_e32 v66, v11, v86
                                        ; implicit-def: $vgpr11
	v_cmpx_ne_u32_e64 v82, v83
	s_xor_b32 s10, exec_lo, s10
; %bb.10536:                            ;   in Loop: Header=BB6_9656 Depth=2
	s_delay_alu instid0(VALU_DEP_2) | instskip(SKIP_2) | instid1(VALU_DEP_2)
	v_cmp_lt_u32_e32 vcc_lo, 0xffffff, v66
	v_sub_nc_u32_e32 v11, v82, v83
	v_cndmask_b32_e64 v82, 0, 1, vcc_lo
	v_add_co_ci_u32_e32 v11, vcc_lo, 0, v11, vcc_lo
	s_delay_alu instid0(VALU_DEP_2)
	v_lshrrev_b32_e32 v66, v82, v66
; %bb.10537:                            ;   in Loop: Header=BB6_9656 Depth=2
	s_and_not1_saveexec_b32 s10, s10
; %bb.10538:                            ;   in Loop: Header=BB6_9656 Depth=2
	s_delay_alu instid0(VALU_DEP_1)
	v_bfe_u32 v11, v66, 23, 1
; %bb.10539:                            ;   in Loop: Header=BB6_9656 Depth=2
	s_or_b32 exec_lo, exec_lo, s10
	v_lshrrev_b32_e32 v66, 20, v66
	s_delay_alu instid0(VALU_DEP_2) | instskip(SKIP_2) | instid1(VALU_DEP_4)
	v_cmp_gt_i32_e32 vcc_lo, 16, v11
	v_lshrrev_b32_e32 v10, 24, v10
	v_min_i32_e32 v82, 15, v11
	v_cndmask_b32_e32 v66, 7, v66, vcc_lo
	s_delay_alu instid0(VALU_DEP_3) | instskip(NEXT) | instid1(VALU_DEP_3)
	v_and_b32_e32 v10, 0x80, v10
	v_lshlrev_b32_e32 v82, 3, v82
	s_delay_alu instid0(VALU_DEP_3) | instskip(SKIP_1) | instid1(VALU_DEP_2)
	v_and_b32_e32 v83, 7, v66
	v_or_b32_e32 v11, v11, v66
	v_or3_b32 v10, v82, v10, v83
	s_delay_alu instid0(VALU_DEP_2) | instskip(NEXT) | instid1(VALU_DEP_2)
	v_cmp_ne_u32_e32 vcc_lo, 0, v11
	v_cndmask_b32_e32 v79, 0, v10, vcc_lo
.LBB6_10540:                            ;   in Loop: Header=BB6_9656 Depth=2
	s_or_b32 exec_lo, exec_lo, s24
.LBB6_10541:                            ;   in Loop: Header=BB6_9656 Depth=2
	s_delay_alu instid0(SALU_CYCLE_1) | instskip(SKIP_3) | instid1(VALU_DEP_1)
	s_or_b32 exec_lo, exec_lo, s23
	v_lshrrev_b16 v10, 8, v12
	s_mov_b32 s10, 0
	s_mov_b32 s24, exec_lo
                                        ; implicit-def: $sgpr23
	v_cmpx_lt_i16_e32 0x7f, v10
	s_xor_b32 s24, exec_lo, s24
	s_cbranch_execnz .LBB6_11491
; %bb.10542:                            ;   in Loop: Header=BB6_9656 Depth=2
	s_or_saveexec_b32 s24, s24
	v_mov_b32_e32 v11, s23
	s_xor_b32 exec_lo, exec_lo, s24
	s_cbranch_execnz .LBB6_11494
.LBB6_10543:                            ;   in Loop: Header=BB6_9656 Depth=2
	s_or_b32 exec_lo, exec_lo, s24
	s_and_saveexec_b32 s23, s10
	s_cbranch_execz .LBB6_10545
.LBB6_10544:                            ;   in Loop: Header=BB6_9656 Depth=2
	v_and_b32_e32 v11, 0xffff, v10
	v_lshlrev_b32_e32 v10, 24, v10
	s_delay_alu instid0(VALU_DEP_2) | instskip(NEXT) | instid1(VALU_DEP_2)
	v_and_b32_e32 v66, 7, v11
	v_and_b32_e32 v10, 0x80000000, v10
	s_delay_alu instid0(VALU_DEP_2) | instskip(NEXT) | instid1(VALU_DEP_1)
	v_clz_i32_u32_e32 v82, v66
	v_min_u32_e32 v82, 32, v82
	s_delay_alu instid0(VALU_DEP_1) | instskip(SKIP_1) | instid1(VALU_DEP_2)
	v_subrev_nc_u32_e32 v83, 28, v82
	v_sub_nc_u32_e32 v82, 29, v82
	v_lshlrev_b32_e32 v83, v83, v11
	v_bfe_u32 v11, v11, 3, 4
	s_delay_alu instid0(VALU_DEP_2) | instskip(NEXT) | instid1(VALU_DEP_2)
	v_and_b32_e32 v83, 7, v83
	v_cmp_eq_u32_e32 vcc_lo, 0, v11
	s_delay_alu instid0(VALU_DEP_2) | instskip(NEXT) | instid1(VALU_DEP_1)
	v_dual_cndmask_b32 v11, v11, v82 :: v_dual_cndmask_b32 v66, v66, v83
	v_lshl_add_u32 v11, v11, 23, 0x3b800000
	s_delay_alu instid0(VALU_DEP_2) | instskip(NEXT) | instid1(VALU_DEP_1)
	v_lshlrev_b32_e32 v66, 20, v66
	v_or3_b32 v11, v10, v11, v66
.LBB6_10545:                            ;   in Loop: Header=BB6_9656 Depth=2
	s_or_b32 exec_lo, exec_lo, s23
	s_delay_alu instid0(VALU_DEP_1) | instskip(SKIP_2) | instid1(VALU_DEP_2)
	v_mul_f32_e32 v10, s22, v11
	v_mov_b32_e32 v88, 0x80
	s_mov_b32 s23, exec_lo
	v_and_b32_e32 v11, 0x7f800000, v10
	s_delay_alu instid0(VALU_DEP_1)
	v_cmpx_ne_u32_e32 0x7f800000, v11
	s_cbranch_execz .LBB6_10553
; %bb.10546:                            ;   in Loop: Header=BB6_9656 Depth=2
	v_mov_b32_e32 v88, 0
	s_mov_b32 s24, exec_lo
	v_cmpx_ne_u32_e32 0, v10
	s_cbranch_execz .LBB6_10552
; %bb.10547:                            ;   in Loop: Header=BB6_9656 Depth=2
	v_bfe_u32 v11, v10, 23, 8
	v_and_b32_e32 v66, 0x7fffff, v10
	s_delay_alu instid0(VALU_DEP_2) | instskip(SKIP_1) | instid1(VALU_DEP_3)
	v_sub_nc_u32_e32 v82, 0x78, v11
	v_cmp_gt_u32_e32 vcc_lo, 0x79, v11
	v_or_b32_e32 v83, 0x800000, v66
	s_delay_alu instid0(VALU_DEP_3) | instskip(SKIP_2) | instid1(VALU_DEP_3)
	v_cndmask_b32_e32 v82, 0, v82, vcc_lo
	v_cmp_eq_u32_e32 vcc_lo, 0, v11
	v_add_nc_u32_e32 v11, 0xffffff89, v11
	v_cndmask_b32_e64 v82, v82, 0x77, vcc_lo
	v_cndmask_b32_e32 v66, v83, v66, vcc_lo
	s_delay_alu instid0(VALU_DEP_3) | instskip(NEXT) | instid1(VALU_DEP_3)
	v_cndmask_b32_e64 v11, v11, 0xffffff8a, vcc_lo
	v_lshl_add_u32 v83, 0x100000, v82, -1
	s_delay_alu instid0(VALU_DEP_3) | instskip(SKIP_1) | instid1(VALU_DEP_4)
	v_lshrrev_b32_e32 v86, v82, v66
	v_lshlrev_b32_e64 v96, v82, 0x80000
	v_add_nc_u32_e32 v82, v82, v11
	s_delay_alu instid0(VALU_DEP_4) | instskip(NEXT) | instid1(VALU_DEP_4)
	v_and_b32_e32 v66, v83, v66
	v_bfe_u32 v87, v86, 20, 1
	s_delay_alu instid0(VALU_DEP_2) | instskip(NEXT) | instid1(VALU_DEP_2)
	v_cmp_eq_u32_e64 s10, v66, v96
	v_add_nc_u32_e32 v83, -1, v87
	s_delay_alu instid0(VALU_DEP_1) | instskip(SKIP_2) | instid1(VALU_DEP_2)
	v_cndmask_b32_e64 v66, 0, v83, s10
	v_lshrrev_b32_e32 v83, 23, v86
	s_mov_b32 s10, exec_lo
	v_add_nc_u32_e32 v66, v66, v86
	s_delay_alu instid0(VALU_DEP_2) | instskip(NEXT) | instid1(VALU_DEP_2)
	v_xor_b32_e32 v83, 1, v83
	v_and_b32_e32 v11, 0xfffff, v66
	s_delay_alu instid0(VALU_DEP_1) | instskip(NEXT) | instid1(VALU_DEP_3)
	v_add_nc_u32_e32 v66, v11, v86
                                        ; implicit-def: $vgpr11
	v_cmpx_ne_u32_e64 v82, v83
	s_xor_b32 s10, exec_lo, s10
; %bb.10548:                            ;   in Loop: Header=BB6_9656 Depth=2
	s_delay_alu instid0(VALU_DEP_2) | instskip(SKIP_2) | instid1(VALU_DEP_2)
	v_cmp_lt_u32_e32 vcc_lo, 0xffffff, v66
	v_sub_nc_u32_e32 v11, v82, v83
	v_cndmask_b32_e64 v82, 0, 1, vcc_lo
	v_add_co_ci_u32_e32 v11, vcc_lo, 0, v11, vcc_lo
	s_delay_alu instid0(VALU_DEP_2)
	v_lshrrev_b32_e32 v66, v82, v66
; %bb.10549:                            ;   in Loop: Header=BB6_9656 Depth=2
	s_and_not1_saveexec_b32 s10, s10
; %bb.10550:                            ;   in Loop: Header=BB6_9656 Depth=2
	s_delay_alu instid0(VALU_DEP_1)
	v_bfe_u32 v11, v66, 23, 1
; %bb.10551:                            ;   in Loop: Header=BB6_9656 Depth=2
	s_or_b32 exec_lo, exec_lo, s10
	v_lshrrev_b32_e32 v66, 20, v66
	s_delay_alu instid0(VALU_DEP_2) | instskip(SKIP_2) | instid1(VALU_DEP_4)
	v_cmp_gt_i32_e32 vcc_lo, 16, v11
	v_lshrrev_b32_e32 v10, 24, v10
	v_min_i32_e32 v82, 15, v11
	v_cndmask_b32_e32 v66, 7, v66, vcc_lo
	s_delay_alu instid0(VALU_DEP_3) | instskip(NEXT) | instid1(VALU_DEP_3)
	v_and_b32_e32 v10, 0x80, v10
	v_lshlrev_b32_e32 v82, 3, v82
	s_delay_alu instid0(VALU_DEP_3) | instskip(SKIP_1) | instid1(VALU_DEP_2)
	v_and_b32_e32 v83, 7, v66
	v_or_b32_e32 v11, v11, v66
	v_or3_b32 v10, v82, v10, v83
	s_delay_alu instid0(VALU_DEP_2) | instskip(NEXT) | instid1(VALU_DEP_2)
	v_cmp_ne_u32_e32 vcc_lo, 0, v11
	v_cndmask_b32_e32 v88, 0, v10, vcc_lo
.LBB6_10552:                            ;   in Loop: Header=BB6_9656 Depth=2
	s_or_b32 exec_lo, exec_lo, s24
.LBB6_10553:                            ;   in Loop: Header=BB6_9656 Depth=2
	s_delay_alu instid0(SALU_CYCLE_1) | instskip(SKIP_3) | instid1(VALU_DEP_1)
	s_or_b32 exec_lo, exec_lo, s23
	v_lshrrev_b32_e32 v10, 16, v12
	s_mov_b32 s10, 0
	s_mov_b32 s24, exec_lo
                                        ; implicit-def: $sgpr23
	v_and_b32_e32 v66, 0xff, v10
	s_delay_alu instid0(VALU_DEP_1)
	v_cmpx_lt_i16_e32 0x7f, v66
	s_xor_b32 s24, exec_lo, s24
	s_cbranch_execnz .LBB6_11495
; %bb.10554:                            ;   in Loop: Header=BB6_9656 Depth=2
	s_or_saveexec_b32 s24, s24
	v_mov_b32_e32 v11, s23
	s_xor_b32 exec_lo, exec_lo, s24
	s_cbranch_execnz .LBB6_11498
.LBB6_10555:                            ;   in Loop: Header=BB6_9656 Depth=2
	s_or_b32 exec_lo, exec_lo, s24
	s_and_saveexec_b32 s23, s10
	s_cbranch_execz .LBB6_10557
.LBB6_10556:                            ;   in Loop: Header=BB6_9656 Depth=2
	v_bfe_u32 v11, v12, 16, 3
	s_delay_alu instid0(VALU_DEP_1) | instskip(NEXT) | instid1(VALU_DEP_1)
	v_clz_i32_u32_e32 v66, v11
	v_min_u32_e32 v66, 32, v66
	s_delay_alu instid0(VALU_DEP_1) | instskip(SKIP_1) | instid1(VALU_DEP_2)
	v_subrev_nc_u32_e32 v82, 28, v66
	v_sub_nc_u32_e32 v66, 29, v66
	v_lshlrev_b32_e32 v10, v82, v10
	v_bfe_u32 v82, v12, 19, 4
	s_delay_alu instid0(VALU_DEP_2) | instskip(NEXT) | instid1(VALU_DEP_2)
	v_and_b32_e32 v10, 7, v10
	v_cmp_eq_u32_e32 vcc_lo, 0, v82
	v_dual_cndmask_b32 v66, v82, v66 :: v_dual_lshlrev_b32 v83, 8, v12
	s_delay_alu instid0(VALU_DEP_1) | instskip(NEXT) | instid1(VALU_DEP_2)
	v_dual_cndmask_b32 v10, v11, v10 :: v_dual_and_b32 v11, 0x80000000, v83
	v_lshl_add_u32 v66, v66, 23, 0x3b800000
	s_delay_alu instid0(VALU_DEP_2) | instskip(NEXT) | instid1(VALU_DEP_1)
	v_lshlrev_b32_e32 v10, 20, v10
	v_or3_b32 v11, v11, v66, v10
.LBB6_10557:                            ;   in Loop: Header=BB6_9656 Depth=2
	s_or_b32 exec_lo, exec_lo, s23
	s_delay_alu instid0(VALU_DEP_1) | instskip(SKIP_1) | instid1(VALU_DEP_1)
	v_dual_mul_f32 v10, s22, v11 :: v_dual_mov_b32 v89, 0x80
	s_mov_b32 s23, exec_lo
	v_and_b32_e32 v11, 0x7f800000, v10
	s_delay_alu instid0(VALU_DEP_1)
	v_cmpx_ne_u32_e32 0x7f800000, v11
	s_cbranch_execz .LBB6_10565
; %bb.10558:                            ;   in Loop: Header=BB6_9656 Depth=2
	v_mov_b32_e32 v89, 0
	s_mov_b32 s24, exec_lo
	v_cmpx_ne_u32_e32 0, v10
	s_cbranch_execz .LBB6_10564
; %bb.10559:                            ;   in Loop: Header=BB6_9656 Depth=2
	v_bfe_u32 v11, v10, 23, 8
	v_and_b32_e32 v66, 0x7fffff, v10
	s_delay_alu instid0(VALU_DEP_2) | instskip(SKIP_1) | instid1(VALU_DEP_3)
	v_sub_nc_u32_e32 v82, 0x78, v11
	v_cmp_gt_u32_e32 vcc_lo, 0x79, v11
	v_or_b32_e32 v83, 0x800000, v66
	s_delay_alu instid0(VALU_DEP_3) | instskip(SKIP_2) | instid1(VALU_DEP_3)
	v_cndmask_b32_e32 v82, 0, v82, vcc_lo
	v_cmp_eq_u32_e32 vcc_lo, 0, v11
	v_add_nc_u32_e32 v11, 0xffffff89, v11
	v_cndmask_b32_e64 v82, v82, 0x77, vcc_lo
	v_cndmask_b32_e32 v66, v83, v66, vcc_lo
	s_delay_alu instid0(VALU_DEP_3) | instskip(NEXT) | instid1(VALU_DEP_3)
	v_cndmask_b32_e64 v11, v11, 0xffffff8a, vcc_lo
	v_lshl_add_u32 v83, 0x100000, v82, -1
	s_delay_alu instid0(VALU_DEP_3) | instskip(SKIP_1) | instid1(VALU_DEP_4)
	v_lshrrev_b32_e32 v86, v82, v66
	v_lshlrev_b32_e64 v96, v82, 0x80000
	v_add_nc_u32_e32 v82, v82, v11
	s_delay_alu instid0(VALU_DEP_4) | instskip(NEXT) | instid1(VALU_DEP_4)
	v_and_b32_e32 v66, v83, v66
	v_bfe_u32 v87, v86, 20, 1
	s_delay_alu instid0(VALU_DEP_2) | instskip(NEXT) | instid1(VALU_DEP_2)
	v_cmp_eq_u32_e64 s10, v66, v96
	v_add_nc_u32_e32 v83, -1, v87
	s_delay_alu instid0(VALU_DEP_1) | instskip(SKIP_2) | instid1(VALU_DEP_2)
	v_cndmask_b32_e64 v66, 0, v83, s10
	v_lshrrev_b32_e32 v83, 23, v86
	s_mov_b32 s10, exec_lo
	v_add_nc_u32_e32 v66, v66, v86
	s_delay_alu instid0(VALU_DEP_2) | instskip(NEXT) | instid1(VALU_DEP_2)
	v_xor_b32_e32 v83, 1, v83
	v_and_b32_e32 v11, 0xfffff, v66
	s_delay_alu instid0(VALU_DEP_1) | instskip(NEXT) | instid1(VALU_DEP_3)
	v_add_nc_u32_e32 v66, v11, v86
                                        ; implicit-def: $vgpr11
	v_cmpx_ne_u32_e64 v82, v83
	s_xor_b32 s10, exec_lo, s10
; %bb.10560:                            ;   in Loop: Header=BB6_9656 Depth=2
	s_delay_alu instid0(VALU_DEP_2) | instskip(SKIP_2) | instid1(VALU_DEP_2)
	v_cmp_lt_u32_e32 vcc_lo, 0xffffff, v66
	v_sub_nc_u32_e32 v11, v82, v83
	v_cndmask_b32_e64 v82, 0, 1, vcc_lo
	v_add_co_ci_u32_e32 v11, vcc_lo, 0, v11, vcc_lo
	s_delay_alu instid0(VALU_DEP_2)
	v_lshrrev_b32_e32 v66, v82, v66
; %bb.10561:                            ;   in Loop: Header=BB6_9656 Depth=2
	s_and_not1_saveexec_b32 s10, s10
; %bb.10562:                            ;   in Loop: Header=BB6_9656 Depth=2
	s_delay_alu instid0(VALU_DEP_1)
	v_bfe_u32 v11, v66, 23, 1
; %bb.10563:                            ;   in Loop: Header=BB6_9656 Depth=2
	s_or_b32 exec_lo, exec_lo, s10
	v_lshrrev_b32_e32 v66, 20, v66
	s_delay_alu instid0(VALU_DEP_2) | instskip(SKIP_2) | instid1(VALU_DEP_4)
	v_cmp_gt_i32_e32 vcc_lo, 16, v11
	v_lshrrev_b32_e32 v10, 24, v10
	v_min_i32_e32 v82, 15, v11
	v_cndmask_b32_e32 v66, 7, v66, vcc_lo
	s_delay_alu instid0(VALU_DEP_3) | instskip(NEXT) | instid1(VALU_DEP_3)
	v_and_b32_e32 v10, 0x80, v10
	v_lshlrev_b32_e32 v82, 3, v82
	s_delay_alu instid0(VALU_DEP_3) | instskip(SKIP_1) | instid1(VALU_DEP_2)
	v_and_b32_e32 v83, 7, v66
	v_or_b32_e32 v11, v11, v66
	v_or3_b32 v10, v82, v10, v83
	s_delay_alu instid0(VALU_DEP_2) | instskip(NEXT) | instid1(VALU_DEP_2)
	v_cmp_ne_u32_e32 vcc_lo, 0, v11
	v_cndmask_b32_e32 v89, 0, v10, vcc_lo
.LBB6_10564:                            ;   in Loop: Header=BB6_9656 Depth=2
	s_or_b32 exec_lo, exec_lo, s24
.LBB6_10565:                            ;   in Loop: Header=BB6_9656 Depth=2
	s_delay_alu instid0(SALU_CYCLE_1) | instskip(SKIP_3) | instid1(VALU_DEP_1)
	s_or_b32 exec_lo, exec_lo, s23
	v_lshrrev_b32_e32 v10, 24, v12
	s_mov_b32 s10, 0
	s_mov_b32 s24, exec_lo
                                        ; implicit-def: $sgpr23
	v_cmpx_lt_i16_e32 0x7f, v10
	s_xor_b32 s24, exec_lo, s24
	s_cbranch_execnz .LBB6_11499
; %bb.10566:                            ;   in Loop: Header=BB6_9656 Depth=2
	s_or_saveexec_b32 s24, s24
	v_mov_b32_e32 v11, s23
	s_xor_b32 exec_lo, exec_lo, s24
	s_cbranch_execnz .LBB6_11502
.LBB6_10567:                            ;   in Loop: Header=BB6_9656 Depth=2
	s_or_b32 exec_lo, exec_lo, s24
	s_and_saveexec_b32 s23, s10
	s_cbranch_execz .LBB6_10569
.LBB6_10568:                            ;   in Loop: Header=BB6_9656 Depth=2
	v_bfe_u32 v11, v12, 24, 3
	s_delay_alu instid0(VALU_DEP_1) | instskip(NEXT) | instid1(VALU_DEP_1)
	v_clz_i32_u32_e32 v66, v11
	v_min_u32_e32 v66, 32, v66
	s_delay_alu instid0(VALU_DEP_1) | instskip(SKIP_1) | instid1(VALU_DEP_2)
	v_subrev_nc_u32_e32 v82, 28, v66
	v_sub_nc_u32_e32 v66, 29, v66
	v_lshlrev_b32_e32 v10, v82, v10
	v_bfe_u32 v82, v12, 27, 4
	s_delay_alu instid0(VALU_DEP_2) | instskip(NEXT) | instid1(VALU_DEP_2)
	v_and_b32_e32 v10, 7, v10
	v_cmp_eq_u32_e32 vcc_lo, 0, v82
	v_cndmask_b32_e32 v66, v82, v66, vcc_lo
	s_delay_alu instid0(VALU_DEP_3) | instskip(NEXT) | instid1(VALU_DEP_2)
	v_dual_cndmask_b32 v10, v11, v10 :: v_dual_and_b32 v11, 0x80000000, v12
	v_lshl_add_u32 v12, v66, 23, 0x3b800000
	s_delay_alu instid0(VALU_DEP_2) | instskip(NEXT) | instid1(VALU_DEP_1)
	v_lshlrev_b32_e32 v10, 20, v10
	v_or3_b32 v11, v11, v12, v10
.LBB6_10569:                            ;   in Loop: Header=BB6_9656 Depth=2
	s_or_b32 exec_lo, exec_lo, s23
	s_delay_alu instid0(VALU_DEP_1) | instskip(SKIP_2) | instid1(VALU_DEP_2)
	v_mul_f32_e32 v10, s22, v11
	v_mov_b32_e32 v90, 0x80
	s_mov_b32 s23, exec_lo
	v_and_b32_e32 v11, 0x7f800000, v10
	s_delay_alu instid0(VALU_DEP_1)
	v_cmpx_ne_u32_e32 0x7f800000, v11
	s_cbranch_execz .LBB6_10577
; %bb.10570:                            ;   in Loop: Header=BB6_9656 Depth=2
	v_mov_b32_e32 v90, 0
	s_mov_b32 s24, exec_lo
	v_cmpx_ne_u32_e32 0, v10
	s_cbranch_execz .LBB6_10576
; %bb.10571:                            ;   in Loop: Header=BB6_9656 Depth=2
	v_bfe_u32 v11, v10, 23, 8
	v_and_b32_e32 v12, 0x7fffff, v10
	s_delay_alu instid0(VALU_DEP_2) | instskip(SKIP_1) | instid1(VALU_DEP_3)
	v_sub_nc_u32_e32 v66, 0x78, v11
	v_cmp_gt_u32_e32 vcc_lo, 0x79, v11
	v_or_b32_e32 v82, 0x800000, v12
	s_delay_alu instid0(VALU_DEP_3) | instskip(SKIP_2) | instid1(VALU_DEP_3)
	v_cndmask_b32_e32 v66, 0, v66, vcc_lo
	v_cmp_eq_u32_e32 vcc_lo, 0, v11
	v_add_nc_u32_e32 v11, 0xffffff89, v11
	v_cndmask_b32_e64 v66, v66, 0x77, vcc_lo
	v_cndmask_b32_e32 v12, v82, v12, vcc_lo
	s_delay_alu instid0(VALU_DEP_3) | instskip(NEXT) | instid1(VALU_DEP_3)
	v_cndmask_b32_e64 v11, v11, 0xffffff8a, vcc_lo
	v_lshl_add_u32 v82, 0x100000, v66, -1
	s_delay_alu instid0(VALU_DEP_3) | instskip(SKIP_1) | instid1(VALU_DEP_4)
	v_lshrrev_b32_e32 v83, v66, v12
	v_lshlrev_b32_e64 v87, v66, 0x80000
	v_add_nc_u32_e32 v66, v66, v11
	s_delay_alu instid0(VALU_DEP_4) | instskip(NEXT) | instid1(VALU_DEP_4)
	v_and_b32_e32 v12, v82, v12
	v_bfe_u32 v86, v83, 20, 1
	s_delay_alu instid0(VALU_DEP_2) | instskip(NEXT) | instid1(VALU_DEP_2)
	v_cmp_eq_u32_e64 s10, v12, v87
	v_add_nc_u32_e32 v82, -1, v86
	s_delay_alu instid0(VALU_DEP_1) | instskip(SKIP_2) | instid1(VALU_DEP_2)
	v_cndmask_b32_e64 v12, 0, v82, s10
	v_lshrrev_b32_e32 v82, 23, v83
	s_mov_b32 s10, exec_lo
	v_add_nc_u32_e32 v12, v12, v83
	s_delay_alu instid0(VALU_DEP_2) | instskip(NEXT) | instid1(VALU_DEP_2)
	v_xor_b32_e32 v82, 1, v82
	v_and_b32_e32 v11, 0xfffff, v12
	s_delay_alu instid0(VALU_DEP_1) | instskip(NEXT) | instid1(VALU_DEP_3)
	v_add_nc_u32_e32 v12, v11, v83
                                        ; implicit-def: $vgpr11
	v_cmpx_ne_u32_e64 v66, v82
	s_xor_b32 s10, exec_lo, s10
; %bb.10572:                            ;   in Loop: Header=BB6_9656 Depth=2
	s_delay_alu instid0(VALU_DEP_2) | instskip(SKIP_2) | instid1(VALU_DEP_2)
	v_cmp_lt_u32_e32 vcc_lo, 0xffffff, v12
	v_sub_nc_u32_e32 v11, v66, v82
	v_cndmask_b32_e64 v66, 0, 1, vcc_lo
	v_add_co_ci_u32_e32 v11, vcc_lo, 0, v11, vcc_lo
	s_delay_alu instid0(VALU_DEP_2)
	v_lshrrev_b32_e32 v12, v66, v12
; %bb.10573:                            ;   in Loop: Header=BB6_9656 Depth=2
	s_and_not1_saveexec_b32 s10, s10
; %bb.10574:                            ;   in Loop: Header=BB6_9656 Depth=2
	s_delay_alu instid0(VALU_DEP_1)
	v_bfe_u32 v11, v12, 23, 1
; %bb.10575:                            ;   in Loop: Header=BB6_9656 Depth=2
	s_or_b32 exec_lo, exec_lo, s10
	v_lshrrev_b32_e32 v12, 20, v12
	s_delay_alu instid0(VALU_DEP_2) | instskip(SKIP_2) | instid1(VALU_DEP_4)
	v_cmp_gt_i32_e32 vcc_lo, 16, v11
	v_lshrrev_b32_e32 v10, 24, v10
	v_min_i32_e32 v66, 15, v11
	v_cndmask_b32_e32 v12, 7, v12, vcc_lo
	s_delay_alu instid0(VALU_DEP_3) | instskip(NEXT) | instid1(VALU_DEP_3)
	v_and_b32_e32 v10, 0x80, v10
	v_lshlrev_b32_e32 v66, 3, v66
	s_delay_alu instid0(VALU_DEP_3) | instskip(SKIP_1) | instid1(VALU_DEP_2)
	v_and_b32_e32 v82, 7, v12
	v_or_b32_e32 v11, v11, v12
	v_or3_b32 v10, v66, v10, v82
	s_delay_alu instid0(VALU_DEP_2) | instskip(NEXT) | instid1(VALU_DEP_2)
	v_cmp_ne_u32_e32 vcc_lo, 0, v11
	v_cndmask_b32_e32 v90, 0, v10, vcc_lo
.LBB6_10576:                            ;   in Loop: Header=BB6_9656 Depth=2
	s_or_b32 exec_lo, exec_lo, s24
.LBB6_10577:                            ;   in Loop: Header=BB6_9656 Depth=2
	s_delay_alu instid0(SALU_CYCLE_1) | instskip(SKIP_3) | instid1(VALU_DEP_1)
	s_or_b32 exec_lo, exec_lo, s23
	v_and_b32_e32 v11, 0xff, v13
	s_mov_b32 s10, 0
	s_mov_b32 s24, exec_lo
                                        ; implicit-def: $sgpr23
	v_cmpx_lt_i16_e32 0x7f, v11
	s_xor_b32 s24, exec_lo, s24
	s_cbranch_execnz .LBB6_11503
; %bb.10578:                            ;   in Loop: Header=BB6_9656 Depth=2
	s_or_saveexec_b32 s24, s24
	v_mov_b32_e32 v10, s23
	s_xor_b32 exec_lo, exec_lo, s24
	s_cbranch_execnz .LBB6_11506
.LBB6_10579:                            ;   in Loop: Header=BB6_9656 Depth=2
	s_or_b32 exec_lo, exec_lo, s24
	s_and_saveexec_b32 s23, s10
	s_cbranch_execz .LBB6_10581
.LBB6_10580:                            ;   in Loop: Header=BB6_9656 Depth=2
	v_bfe_u32 v66, v13, 3, 4
	v_lshlrev_b32_e32 v82, 24, v13
	s_delay_alu instid0(VALU_DEP_2) | instskip(SKIP_1) | instid1(VALU_DEP_1)
	v_cmp_eq_u32_e32 vcc_lo, 0, v66
	v_and_b32_e32 v10, 7, v13
	v_clz_i32_u32_e32 v11, v10
	s_delay_alu instid0(VALU_DEP_1) | instskip(NEXT) | instid1(VALU_DEP_1)
	v_min_u32_e32 v11, 32, v11
	v_subrev_nc_u32_e32 v12, 28, v11
	v_sub_nc_u32_e32 v11, 29, v11
	s_delay_alu instid0(VALU_DEP_1) | instskip(NEXT) | instid1(VALU_DEP_1)
	v_dual_cndmask_b32 v11, v66, v11 :: v_dual_lshlrev_b32 v12, v12, v13
	v_and_b32_e32 v12, 7, v12
	s_delay_alu instid0(VALU_DEP_2) | instskip(NEXT) | instid1(VALU_DEP_2)
	v_lshl_add_u32 v11, v11, 23, 0x3b800000
	v_cndmask_b32_e32 v10, v10, v12, vcc_lo
	v_and_b32_e32 v12, 0x80000000, v82
	s_delay_alu instid0(VALU_DEP_2) | instskip(NEXT) | instid1(VALU_DEP_1)
	v_lshlrev_b32_e32 v10, 20, v10
	v_or3_b32 v10, v12, v11, v10
.LBB6_10581:                            ;   in Loop: Header=BB6_9656 Depth=2
	s_or_b32 exec_lo, exec_lo, s23
	s_delay_alu instid0(VALU_DEP_1) | instskip(SKIP_1) | instid1(VALU_DEP_1)
	v_dual_mul_f32 v10, s22, v10 :: v_dual_mov_b32 v91, 0x80
	s_mov_b32 s23, exec_lo
	v_and_b32_e32 v11, 0x7f800000, v10
	s_delay_alu instid0(VALU_DEP_1)
	v_cmpx_ne_u32_e32 0x7f800000, v11
	s_cbranch_execz .LBB6_10589
; %bb.10582:                            ;   in Loop: Header=BB6_9656 Depth=2
	v_mov_b32_e32 v91, 0
	s_mov_b32 s24, exec_lo
	v_cmpx_ne_u32_e32 0, v10
	s_cbranch_execz .LBB6_10588
; %bb.10583:                            ;   in Loop: Header=BB6_9656 Depth=2
	v_bfe_u32 v11, v10, 23, 8
	v_and_b32_e32 v12, 0x7fffff, v10
	s_delay_alu instid0(VALU_DEP_2) | instskip(SKIP_1) | instid1(VALU_DEP_3)
	v_sub_nc_u32_e32 v66, 0x78, v11
	v_cmp_gt_u32_e32 vcc_lo, 0x79, v11
	v_or_b32_e32 v82, 0x800000, v12
	s_delay_alu instid0(VALU_DEP_3) | instskip(SKIP_2) | instid1(VALU_DEP_3)
	v_cndmask_b32_e32 v66, 0, v66, vcc_lo
	v_cmp_eq_u32_e32 vcc_lo, 0, v11
	v_add_nc_u32_e32 v11, 0xffffff89, v11
	v_cndmask_b32_e64 v66, v66, 0x77, vcc_lo
	v_cndmask_b32_e32 v12, v82, v12, vcc_lo
	s_delay_alu instid0(VALU_DEP_3) | instskip(NEXT) | instid1(VALU_DEP_3)
	v_cndmask_b32_e64 v11, v11, 0xffffff8a, vcc_lo
	v_lshl_add_u32 v82, 0x100000, v66, -1
	s_delay_alu instid0(VALU_DEP_3) | instskip(SKIP_1) | instid1(VALU_DEP_4)
	v_lshrrev_b32_e32 v83, v66, v12
	v_lshlrev_b32_e64 v87, v66, 0x80000
	v_add_nc_u32_e32 v66, v66, v11
	s_delay_alu instid0(VALU_DEP_4) | instskip(NEXT) | instid1(VALU_DEP_4)
	v_and_b32_e32 v12, v82, v12
	v_bfe_u32 v86, v83, 20, 1
	s_delay_alu instid0(VALU_DEP_2) | instskip(NEXT) | instid1(VALU_DEP_2)
	v_cmp_eq_u32_e64 s10, v12, v87
	v_add_nc_u32_e32 v82, -1, v86
	s_delay_alu instid0(VALU_DEP_1) | instskip(SKIP_2) | instid1(VALU_DEP_2)
	v_cndmask_b32_e64 v12, 0, v82, s10
	v_lshrrev_b32_e32 v82, 23, v83
	s_mov_b32 s10, exec_lo
	v_add_nc_u32_e32 v12, v12, v83
	s_delay_alu instid0(VALU_DEP_2) | instskip(NEXT) | instid1(VALU_DEP_2)
	v_xor_b32_e32 v82, 1, v82
	v_and_b32_e32 v11, 0xfffff, v12
	s_delay_alu instid0(VALU_DEP_1) | instskip(NEXT) | instid1(VALU_DEP_3)
	v_add_nc_u32_e32 v12, v11, v83
                                        ; implicit-def: $vgpr11
	v_cmpx_ne_u32_e64 v66, v82
	s_xor_b32 s10, exec_lo, s10
; %bb.10584:                            ;   in Loop: Header=BB6_9656 Depth=2
	s_delay_alu instid0(VALU_DEP_2) | instskip(SKIP_2) | instid1(VALU_DEP_2)
	v_cmp_lt_u32_e32 vcc_lo, 0xffffff, v12
	v_sub_nc_u32_e32 v11, v66, v82
	v_cndmask_b32_e64 v66, 0, 1, vcc_lo
	v_add_co_ci_u32_e32 v11, vcc_lo, 0, v11, vcc_lo
	s_delay_alu instid0(VALU_DEP_2)
	v_lshrrev_b32_e32 v12, v66, v12
; %bb.10585:                            ;   in Loop: Header=BB6_9656 Depth=2
	s_and_not1_saveexec_b32 s10, s10
; %bb.10586:                            ;   in Loop: Header=BB6_9656 Depth=2
	s_delay_alu instid0(VALU_DEP_1)
	v_bfe_u32 v11, v12, 23, 1
; %bb.10587:                            ;   in Loop: Header=BB6_9656 Depth=2
	s_or_b32 exec_lo, exec_lo, s10
	v_lshrrev_b32_e32 v12, 20, v12
	s_delay_alu instid0(VALU_DEP_2) | instskip(SKIP_2) | instid1(VALU_DEP_3)
	v_min_i32_e32 v66, 15, v11
	v_cmp_gt_i32_e32 vcc_lo, 16, v11
	v_lshrrev_b32_e32 v10, 24, v10
	v_lshlrev_b32_e32 v66, 3, v66
	v_cndmask_b32_e32 v12, 7, v12, vcc_lo
	s_delay_alu instid0(VALU_DEP_3) | instskip(NEXT) | instid1(VALU_DEP_3)
	v_and_b32_e32 v10, 0x80, v10
	v_and_b32_e32 v66, 0xf8, v66
	s_delay_alu instid0(VALU_DEP_3) | instskip(SKIP_1) | instid1(VALU_DEP_2)
	v_and_b32_e32 v82, 7, v12
	v_or_b32_e32 v11, v11, v12
	v_or3_b32 v10, v66, v10, v82
	s_delay_alu instid0(VALU_DEP_2) | instskip(NEXT) | instid1(VALU_DEP_2)
	v_cmp_ne_u32_e32 vcc_lo, 0, v11
	v_cndmask_b32_e32 v91, 0, v10, vcc_lo
.LBB6_10588:                            ;   in Loop: Header=BB6_9656 Depth=2
	s_or_b32 exec_lo, exec_lo, s24
.LBB6_10589:                            ;   in Loop: Header=BB6_9656 Depth=2
	s_delay_alu instid0(SALU_CYCLE_1) | instskip(SKIP_3) | instid1(VALU_DEP_1)
	s_or_b32 exec_lo, exec_lo, s23
	v_lshrrev_b16 v10, 8, v13
	s_mov_b32 s10, 0
	s_mov_b32 s24, exec_lo
                                        ; implicit-def: $sgpr23
	v_cmpx_lt_i16_e32 0x7f, v10
	s_xor_b32 s24, exec_lo, s24
	s_cbranch_execnz .LBB6_11507
; %bb.10590:                            ;   in Loop: Header=BB6_9656 Depth=2
	s_or_saveexec_b32 s24, s24
	v_mov_b32_e32 v11, s23
	s_xor_b32 exec_lo, exec_lo, s24
	s_cbranch_execnz .LBB6_11510
.LBB6_10591:                            ;   in Loop: Header=BB6_9656 Depth=2
	s_or_b32 exec_lo, exec_lo, s24
	s_and_saveexec_b32 s23, s10
	s_cbranch_execz .LBB6_10593
.LBB6_10592:                            ;   in Loop: Header=BB6_9656 Depth=2
	v_and_b32_e32 v11, 0xffff, v10
	v_lshlrev_b32_e32 v10, 24, v10
	s_delay_alu instid0(VALU_DEP_2) | instskip(NEXT) | instid1(VALU_DEP_2)
	v_and_b32_e32 v12, 7, v11
	v_and_b32_e32 v10, 0x80000000, v10
	s_delay_alu instid0(VALU_DEP_2) | instskip(NEXT) | instid1(VALU_DEP_1)
	v_clz_i32_u32_e32 v66, v12
	v_min_u32_e32 v66, 32, v66
	s_delay_alu instid0(VALU_DEP_1) | instskip(SKIP_1) | instid1(VALU_DEP_2)
	v_subrev_nc_u32_e32 v82, 28, v66
	v_sub_nc_u32_e32 v66, 29, v66
	v_lshlrev_b32_e32 v82, v82, v11
	v_bfe_u32 v11, v11, 3, 4
	s_delay_alu instid0(VALU_DEP_2) | instskip(NEXT) | instid1(VALU_DEP_2)
	v_and_b32_e32 v82, 7, v82
	v_cmp_eq_u32_e32 vcc_lo, 0, v11
	v_cndmask_b32_e32 v11, v11, v66, vcc_lo
	s_delay_alu instid0(VALU_DEP_3) | instskip(NEXT) | instid1(VALU_DEP_2)
	v_cndmask_b32_e32 v12, v12, v82, vcc_lo
	v_lshl_add_u32 v11, v11, 23, 0x3b800000
	s_delay_alu instid0(VALU_DEP_2) | instskip(NEXT) | instid1(VALU_DEP_1)
	v_lshlrev_b32_e32 v12, 20, v12
	v_or3_b32 v11, v10, v11, v12
.LBB6_10593:                            ;   in Loop: Header=BB6_9656 Depth=2
	s_or_b32 exec_lo, exec_lo, s23
	s_delay_alu instid0(VALU_DEP_1) | instskip(SKIP_2) | instid1(VALU_DEP_2)
	v_mul_f32_e32 v10, s22, v11
	v_mov_b32_e32 v40, 0x8000
	s_mov_b32 s23, exec_lo
	v_and_b32_e32 v11, 0x7f800000, v10
	s_delay_alu instid0(VALU_DEP_1)
	v_cmpx_ne_u32_e32 0x7f800000, v11
	s_cbranch_execz .LBB6_10601
; %bb.10594:                            ;   in Loop: Header=BB6_9656 Depth=2
	v_mov_b32_e32 v40, 0
	s_mov_b32 s24, exec_lo
	v_cmpx_ne_u32_e32 0, v10
	s_cbranch_execz .LBB6_10600
; %bb.10595:                            ;   in Loop: Header=BB6_9656 Depth=2
	v_bfe_u32 v11, v10, 23, 8
	v_and_b32_e32 v12, 0x7fffff, v10
	s_delay_alu instid0(VALU_DEP_2) | instskip(SKIP_1) | instid1(VALU_DEP_3)
	v_sub_nc_u32_e32 v66, 0x78, v11
	v_cmp_gt_u32_e32 vcc_lo, 0x79, v11
	v_or_b32_e32 v82, 0x800000, v12
	s_delay_alu instid0(VALU_DEP_3) | instskip(SKIP_2) | instid1(VALU_DEP_3)
	v_cndmask_b32_e32 v66, 0, v66, vcc_lo
	v_cmp_eq_u32_e32 vcc_lo, 0, v11
	v_add_nc_u32_e32 v11, 0xffffff89, v11
	v_cndmask_b32_e64 v66, v66, 0x77, vcc_lo
	v_cndmask_b32_e32 v12, v82, v12, vcc_lo
	s_delay_alu instid0(VALU_DEP_3) | instskip(NEXT) | instid1(VALU_DEP_3)
	v_cndmask_b32_e64 v11, v11, 0xffffff8a, vcc_lo
	v_lshl_add_u32 v82, 0x100000, v66, -1
	s_delay_alu instid0(VALU_DEP_3) | instskip(SKIP_1) | instid1(VALU_DEP_4)
	v_lshrrev_b32_e32 v83, v66, v12
	v_lshlrev_b32_e64 v87, v66, 0x80000
	v_add_nc_u32_e32 v66, v66, v11
	s_delay_alu instid0(VALU_DEP_4) | instskip(NEXT) | instid1(VALU_DEP_4)
	v_and_b32_e32 v12, v82, v12
	v_bfe_u32 v86, v83, 20, 1
	s_delay_alu instid0(VALU_DEP_2) | instskip(NEXT) | instid1(VALU_DEP_2)
	v_cmp_eq_u32_e64 s10, v12, v87
	v_add_nc_u32_e32 v82, -1, v86
	s_delay_alu instid0(VALU_DEP_1) | instskip(SKIP_2) | instid1(VALU_DEP_2)
	v_cndmask_b32_e64 v12, 0, v82, s10
	v_lshrrev_b32_e32 v82, 23, v83
	s_mov_b32 s10, exec_lo
	v_add_nc_u32_e32 v12, v12, v83
	s_delay_alu instid0(VALU_DEP_2) | instskip(NEXT) | instid1(VALU_DEP_2)
	v_xor_b32_e32 v82, 1, v82
	v_and_b32_e32 v11, 0xfffff, v12
	s_delay_alu instid0(VALU_DEP_1) | instskip(NEXT) | instid1(VALU_DEP_3)
	v_add_nc_u32_e32 v12, v11, v83
                                        ; implicit-def: $vgpr11
	v_cmpx_ne_u32_e64 v66, v82
	s_xor_b32 s10, exec_lo, s10
; %bb.10596:                            ;   in Loop: Header=BB6_9656 Depth=2
	s_delay_alu instid0(VALU_DEP_2) | instskip(SKIP_2) | instid1(VALU_DEP_2)
	v_cmp_lt_u32_e32 vcc_lo, 0xffffff, v12
	v_sub_nc_u32_e32 v11, v66, v82
	v_cndmask_b32_e64 v66, 0, 1, vcc_lo
	v_add_co_ci_u32_e32 v11, vcc_lo, 0, v11, vcc_lo
	s_delay_alu instid0(VALU_DEP_2)
	v_lshrrev_b32_e32 v12, v66, v12
; %bb.10597:                            ;   in Loop: Header=BB6_9656 Depth=2
	s_and_not1_saveexec_b32 s10, s10
; %bb.10598:                            ;   in Loop: Header=BB6_9656 Depth=2
	s_delay_alu instid0(VALU_DEP_1)
	v_bfe_u32 v11, v12, 23, 1
; %bb.10599:                            ;   in Loop: Header=BB6_9656 Depth=2
	s_or_b32 exec_lo, exec_lo, s10
	v_lshrrev_b32_e32 v12, 20, v12
	s_delay_alu instid0(VALU_DEP_2) | instskip(SKIP_2) | instid1(VALU_DEP_3)
	v_min_i32_e32 v66, 15, v11
	v_cmp_gt_i32_e32 vcc_lo, 16, v11
	v_lshrrev_b32_e32 v10, 24, v10
	v_lshlrev_b32_e32 v66, 3, v66
	v_cndmask_b32_e32 v12, 7, v12, vcc_lo
	s_delay_alu instid0(VALU_DEP_3) | instskip(NEXT) | instid1(VALU_DEP_3)
	v_and_b32_e32 v10, 0x80, v10
	v_and_b32_e32 v66, 0xf8, v66
	s_delay_alu instid0(VALU_DEP_3) | instskip(SKIP_1) | instid1(VALU_DEP_2)
	v_and_b32_e32 v82, 7, v12
	v_or_b32_e32 v11, v11, v12
	v_or3_b32 v10, v10, v66, v82
	s_delay_alu instid0(VALU_DEP_2) | instskip(NEXT) | instid1(VALU_DEP_2)
	v_cmp_ne_u32_e32 vcc_lo, 0, v11
	v_lshlrev_b32_e32 v10, 8, v10
	s_delay_alu instid0(VALU_DEP_1)
	v_cndmask_b32_e32 v40, 0, v10, vcc_lo
.LBB6_10600:                            ;   in Loop: Header=BB6_9656 Depth=2
	s_or_b32 exec_lo, exec_lo, s24
.LBB6_10601:                            ;   in Loop: Header=BB6_9656 Depth=2
	s_delay_alu instid0(SALU_CYCLE_1) | instskip(SKIP_3) | instid1(VALU_DEP_1)
	s_or_b32 exec_lo, exec_lo, s23
	v_lshrrev_b32_e32 v10, 16, v13
	s_mov_b32 s10, 0
	s_mov_b32 s24, exec_lo
                                        ; implicit-def: $sgpr23
	v_and_b32_e32 v12, 0xff, v10
	s_delay_alu instid0(VALU_DEP_1)
	v_cmpx_lt_i16_e32 0x7f, v12
	s_xor_b32 s24, exec_lo, s24
	s_cbranch_execnz .LBB6_11511
; %bb.10602:                            ;   in Loop: Header=BB6_9656 Depth=2
	s_or_saveexec_b32 s24, s24
	v_mov_b32_e32 v11, s23
	s_xor_b32 exec_lo, exec_lo, s24
	s_cbranch_execnz .LBB6_11514
.LBB6_10603:                            ;   in Loop: Header=BB6_9656 Depth=2
	s_or_b32 exec_lo, exec_lo, s24
	s_and_saveexec_b32 s23, s10
	s_cbranch_execz .LBB6_10605
.LBB6_10604:                            ;   in Loop: Header=BB6_9656 Depth=2
	v_bfe_u32 v11, v13, 16, 3
	v_lshlrev_b32_e32 v82, 8, v13
	s_delay_alu instid0(VALU_DEP_2) | instskip(NEXT) | instid1(VALU_DEP_1)
	v_clz_i32_u32_e32 v12, v11
	v_min_u32_e32 v12, 32, v12
	s_delay_alu instid0(VALU_DEP_1) | instskip(SKIP_1) | instid1(VALU_DEP_2)
	v_subrev_nc_u32_e32 v66, 28, v12
	v_sub_nc_u32_e32 v12, 29, v12
	v_lshlrev_b32_e32 v10, v66, v10
	v_bfe_u32 v66, v13, 19, 4
	s_delay_alu instid0(VALU_DEP_2) | instskip(NEXT) | instid1(VALU_DEP_2)
	v_and_b32_e32 v10, 7, v10
	v_cmp_eq_u32_e32 vcc_lo, 0, v66
	v_cndmask_b32_e32 v12, v66, v12, vcc_lo
	s_delay_alu instid0(VALU_DEP_3) | instskip(SKIP_1) | instid1(VALU_DEP_3)
	v_cndmask_b32_e32 v10, v11, v10, vcc_lo
	v_and_b32_e32 v11, 0x80000000, v82
	v_lshl_add_u32 v12, v12, 23, 0x3b800000
	s_delay_alu instid0(VALU_DEP_3) | instskip(NEXT) | instid1(VALU_DEP_1)
	v_lshlrev_b32_e32 v10, 20, v10
	v_or3_b32 v11, v11, v12, v10
.LBB6_10605:                            ;   in Loop: Header=BB6_9656 Depth=2
	s_or_b32 exec_lo, exec_lo, s23
	s_delay_alu instid0(VALU_DEP_1) | instskip(SKIP_2) | instid1(VALU_DEP_2)
	v_mul_f32_e32 v10, s22, v11
	v_mov_b32_e32 v92, 0x80
	s_mov_b32 s23, exec_lo
	v_and_b32_e32 v11, 0x7f800000, v10
	s_delay_alu instid0(VALU_DEP_1)
	v_cmpx_ne_u32_e32 0x7f800000, v11
	s_cbranch_execz .LBB6_10613
; %bb.10606:                            ;   in Loop: Header=BB6_9656 Depth=2
	v_mov_b32_e32 v92, 0
	s_mov_b32 s24, exec_lo
	v_cmpx_ne_u32_e32 0, v10
	s_cbranch_execz .LBB6_10612
; %bb.10607:                            ;   in Loop: Header=BB6_9656 Depth=2
	v_bfe_u32 v11, v10, 23, 8
	v_and_b32_e32 v12, 0x7fffff, v10
	s_delay_alu instid0(VALU_DEP_2) | instskip(SKIP_1) | instid1(VALU_DEP_3)
	v_sub_nc_u32_e32 v66, 0x78, v11
	v_cmp_gt_u32_e32 vcc_lo, 0x79, v11
	v_or_b32_e32 v82, 0x800000, v12
	s_delay_alu instid0(VALU_DEP_3) | instskip(SKIP_2) | instid1(VALU_DEP_3)
	v_cndmask_b32_e32 v66, 0, v66, vcc_lo
	v_cmp_eq_u32_e32 vcc_lo, 0, v11
	v_add_nc_u32_e32 v11, 0xffffff89, v11
	v_cndmask_b32_e64 v66, v66, 0x77, vcc_lo
	v_cndmask_b32_e32 v12, v82, v12, vcc_lo
	s_delay_alu instid0(VALU_DEP_3) | instskip(NEXT) | instid1(VALU_DEP_3)
	v_cndmask_b32_e64 v11, v11, 0xffffff8a, vcc_lo
	v_lshl_add_u32 v82, 0x100000, v66, -1
	s_delay_alu instid0(VALU_DEP_3) | instskip(SKIP_1) | instid1(VALU_DEP_4)
	v_lshrrev_b32_e32 v83, v66, v12
	v_lshlrev_b32_e64 v87, v66, 0x80000
	v_add_nc_u32_e32 v66, v66, v11
	s_delay_alu instid0(VALU_DEP_4) | instskip(NEXT) | instid1(VALU_DEP_4)
	v_and_b32_e32 v12, v82, v12
	v_bfe_u32 v86, v83, 20, 1
	s_delay_alu instid0(VALU_DEP_2) | instskip(NEXT) | instid1(VALU_DEP_2)
	v_cmp_eq_u32_e64 s10, v12, v87
	v_add_nc_u32_e32 v82, -1, v86
	s_delay_alu instid0(VALU_DEP_1) | instskip(SKIP_2) | instid1(VALU_DEP_2)
	v_cndmask_b32_e64 v12, 0, v82, s10
	v_lshrrev_b32_e32 v82, 23, v83
	s_mov_b32 s10, exec_lo
	v_add_nc_u32_e32 v12, v12, v83
	s_delay_alu instid0(VALU_DEP_2) | instskip(NEXT) | instid1(VALU_DEP_2)
	v_xor_b32_e32 v82, 1, v82
	v_and_b32_e32 v11, 0xfffff, v12
	s_delay_alu instid0(VALU_DEP_1) | instskip(NEXT) | instid1(VALU_DEP_3)
	v_add_nc_u32_e32 v12, v11, v83
                                        ; implicit-def: $vgpr11
	v_cmpx_ne_u32_e64 v66, v82
	s_xor_b32 s10, exec_lo, s10
; %bb.10608:                            ;   in Loop: Header=BB6_9656 Depth=2
	s_delay_alu instid0(VALU_DEP_2) | instskip(SKIP_2) | instid1(VALU_DEP_2)
	v_cmp_lt_u32_e32 vcc_lo, 0xffffff, v12
	v_sub_nc_u32_e32 v11, v66, v82
	v_cndmask_b32_e64 v66, 0, 1, vcc_lo
	v_add_co_ci_u32_e32 v11, vcc_lo, 0, v11, vcc_lo
	s_delay_alu instid0(VALU_DEP_2)
	v_lshrrev_b32_e32 v12, v66, v12
; %bb.10609:                            ;   in Loop: Header=BB6_9656 Depth=2
	s_and_not1_saveexec_b32 s10, s10
; %bb.10610:                            ;   in Loop: Header=BB6_9656 Depth=2
	s_delay_alu instid0(VALU_DEP_1)
	v_bfe_u32 v11, v12, 23, 1
; %bb.10611:                            ;   in Loop: Header=BB6_9656 Depth=2
	s_or_b32 exec_lo, exec_lo, s10
	v_lshrrev_b32_e32 v12, 20, v12
	s_delay_alu instid0(VALU_DEP_2) | instskip(SKIP_2) | instid1(VALU_DEP_3)
	v_min_i32_e32 v66, 15, v11
	v_cmp_gt_i32_e32 vcc_lo, 16, v11
	v_lshrrev_b32_e32 v10, 24, v10
	v_lshlrev_b32_e32 v66, 3, v66
	v_cndmask_b32_e32 v12, 7, v12, vcc_lo
	s_delay_alu instid0(VALU_DEP_3) | instskip(NEXT) | instid1(VALU_DEP_3)
	v_and_b32_e32 v10, 0x80, v10
	v_and_b32_e32 v66, 0xf8, v66
	s_delay_alu instid0(VALU_DEP_3) | instskip(SKIP_1) | instid1(VALU_DEP_2)
	v_and_b32_e32 v82, 7, v12
	v_or_b32_e32 v11, v11, v12
	v_or3_b32 v10, v66, v10, v82
	s_delay_alu instid0(VALU_DEP_2) | instskip(NEXT) | instid1(VALU_DEP_2)
	v_cmp_ne_u32_e32 vcc_lo, 0, v11
	v_cndmask_b32_e32 v92, 0, v10, vcc_lo
.LBB6_10612:                            ;   in Loop: Header=BB6_9656 Depth=2
	s_or_b32 exec_lo, exec_lo, s24
.LBB6_10613:                            ;   in Loop: Header=BB6_9656 Depth=2
	s_delay_alu instid0(SALU_CYCLE_1) | instskip(SKIP_3) | instid1(VALU_DEP_1)
	s_or_b32 exec_lo, exec_lo, s23
	v_lshrrev_b32_e32 v10, 24, v13
	s_mov_b32 s10, 0
	s_mov_b32 s24, exec_lo
                                        ; implicit-def: $sgpr23
	v_cmpx_lt_i16_e32 0x7f, v10
	s_xor_b32 s24, exec_lo, s24
	s_cbranch_execnz .LBB6_11515
; %bb.10614:                            ;   in Loop: Header=BB6_9656 Depth=2
	s_or_saveexec_b32 s24, s24
	v_mov_b32_e32 v11, s23
	s_xor_b32 exec_lo, exec_lo, s24
	s_cbranch_execnz .LBB6_11518
.LBB6_10615:                            ;   in Loop: Header=BB6_9656 Depth=2
	s_or_b32 exec_lo, exec_lo, s24
	s_and_saveexec_b32 s23, s10
	s_cbranch_execz .LBB6_10617
.LBB6_10616:                            ;   in Loop: Header=BB6_9656 Depth=2
	v_bfe_u32 v11, v13, 24, 3
	s_delay_alu instid0(VALU_DEP_1) | instskip(NEXT) | instid1(VALU_DEP_1)
	v_clz_i32_u32_e32 v12, v11
	v_min_u32_e32 v12, 32, v12
	s_delay_alu instid0(VALU_DEP_1) | instskip(SKIP_1) | instid1(VALU_DEP_2)
	v_subrev_nc_u32_e32 v66, 28, v12
	v_sub_nc_u32_e32 v12, 29, v12
	v_lshlrev_b32_e32 v10, v66, v10
	v_bfe_u32 v66, v13, 27, 4
	s_delay_alu instid0(VALU_DEP_2) | instskip(NEXT) | instid1(VALU_DEP_2)
	v_and_b32_e32 v10, 7, v10
	v_cmp_eq_u32_e32 vcc_lo, 0, v66
	v_cndmask_b32_e32 v12, v66, v12, vcc_lo
	s_delay_alu instid0(VALU_DEP_3) | instskip(NEXT) | instid1(VALU_DEP_2)
	v_dual_cndmask_b32 v10, v11, v10 :: v_dual_and_b32 v11, 0x80000000, v13
	v_lshl_add_u32 v12, v12, 23, 0x3b800000
	s_delay_alu instid0(VALU_DEP_2) | instskip(NEXT) | instid1(VALU_DEP_1)
	v_lshlrev_b32_e32 v10, 20, v10
	v_or3_b32 v11, v11, v12, v10
.LBB6_10617:                            ;   in Loop: Header=BB6_9656 Depth=2
	s_or_b32 exec_lo, exec_lo, s23
	s_delay_alu instid0(VALU_DEP_1) | instskip(SKIP_1) | instid1(VALU_DEP_1)
	v_dual_mul_f32 v10, s22, v11 :: v_dual_mov_b32 v93, 0x8000
	s_mov_b32 s23, exec_lo
	v_and_b32_e32 v11, 0x7f800000, v10
	s_delay_alu instid0(VALU_DEP_1)
	v_cmpx_ne_u32_e32 0x7f800000, v11
	s_cbranch_execz .LBB6_10625
; %bb.10618:                            ;   in Loop: Header=BB6_9656 Depth=2
	v_mov_b32_e32 v93, 0
	s_mov_b32 s24, exec_lo
	v_cmpx_ne_u32_e32 0, v10
	s_cbranch_execz .LBB6_10624
; %bb.10619:                            ;   in Loop: Header=BB6_9656 Depth=2
	v_bfe_u32 v11, v10, 23, 8
	s_delay_alu instid0(VALU_DEP_1) | instskip(SKIP_1) | instid1(VALU_DEP_2)
	v_sub_nc_u32_e32 v13, 0x78, v11
	v_cmp_gt_u32_e32 vcc_lo, 0x79, v11
	v_dual_cndmask_b32 v13, 0, v13 :: v_dual_and_b32 v12, 0x7fffff, v10
	s_delay_alu instid0(VALU_DEP_1) | instskip(SKIP_2) | instid1(VALU_DEP_4)
	v_or_b32_e32 v66, 0x800000, v12
	v_cmp_eq_u32_e32 vcc_lo, 0, v11
	v_add_nc_u32_e32 v11, 0xffffff89, v11
	v_cndmask_b32_e64 v13, v13, 0x77, vcc_lo
	s_delay_alu instid0(VALU_DEP_4) | instskip(NEXT) | instid1(VALU_DEP_3)
	v_cndmask_b32_e32 v12, v66, v12, vcc_lo
	v_cndmask_b32_e64 v11, v11, 0xffffff8a, vcc_lo
	s_delay_alu instid0(VALU_DEP_3) | instskip(NEXT) | instid1(VALU_DEP_3)
	v_lshl_add_u32 v66, 0x100000, v13, -1
	v_lshrrev_b32_e32 v82, v13, v12
	v_lshlrev_b32_e64 v86, v13, 0x80000
	s_delay_alu instid0(VALU_DEP_4) | instskip(NEXT) | instid1(VALU_DEP_4)
	v_add_nc_u32_e32 v13, v13, v11
	v_and_b32_e32 v12, v66, v12
	s_delay_alu instid0(VALU_DEP_4) | instskip(NEXT) | instid1(VALU_DEP_2)
	v_bfe_u32 v83, v82, 20, 1
	v_cmp_eq_u32_e64 s10, v12, v86
	s_delay_alu instid0(VALU_DEP_2) | instskip(NEXT) | instid1(VALU_DEP_1)
	v_add_nc_u32_e32 v66, -1, v83
	v_cndmask_b32_e64 v12, 0, v66, s10
	v_lshrrev_b32_e32 v66, 23, v82
	s_mov_b32 s10, exec_lo
	s_delay_alu instid0(VALU_DEP_2) | instskip(NEXT) | instid1(VALU_DEP_2)
	v_add_nc_u32_e32 v12, v12, v82
	v_xor_b32_e32 v66, 1, v66
	s_delay_alu instid0(VALU_DEP_2) | instskip(NEXT) | instid1(VALU_DEP_1)
	v_and_b32_e32 v11, 0xfffff, v12
	v_add_nc_u32_e32 v12, v11, v82
                                        ; implicit-def: $vgpr11
	s_delay_alu instid0(VALU_DEP_3)
	v_cmpx_ne_u32_e64 v13, v66
	s_xor_b32 s10, exec_lo, s10
; %bb.10620:                            ;   in Loop: Header=BB6_9656 Depth=2
	s_delay_alu instid0(VALU_DEP_2) | instskip(SKIP_2) | instid1(VALU_DEP_2)
	v_cmp_lt_u32_e32 vcc_lo, 0xffffff, v12
	v_sub_nc_u32_e32 v11, v13, v66
	v_cndmask_b32_e64 v13, 0, 1, vcc_lo
	v_add_co_ci_u32_e32 v11, vcc_lo, 0, v11, vcc_lo
	s_delay_alu instid0(VALU_DEP_2)
	v_lshrrev_b32_e32 v12, v13, v12
; %bb.10621:                            ;   in Loop: Header=BB6_9656 Depth=2
	s_and_not1_saveexec_b32 s10, s10
; %bb.10622:                            ;   in Loop: Header=BB6_9656 Depth=2
	s_delay_alu instid0(VALU_DEP_1)
	v_bfe_u32 v11, v12, 23, 1
; %bb.10623:                            ;   in Loop: Header=BB6_9656 Depth=2
	s_or_b32 exec_lo, exec_lo, s10
	v_lshrrev_b32_e32 v12, 20, v12
	s_delay_alu instid0(VALU_DEP_2) | instskip(SKIP_2) | instid1(VALU_DEP_2)
	v_cmp_gt_i32_e32 vcc_lo, 16, v11
	v_min_i32_e32 v13, 15, v11
	v_lshrrev_b32_e32 v10, 24, v10
	v_dual_cndmask_b32 v12, 7, v12 :: v_dual_lshlrev_b32 v13, 3, v13
	s_delay_alu instid0(VALU_DEP_2) | instskip(NEXT) | instid1(VALU_DEP_2)
	v_and_b32_e32 v10, 0x80, v10
	v_or_b32_e32 v11, v11, v12
	s_delay_alu instid0(VALU_DEP_3) | instskip(NEXT) | instid1(VALU_DEP_2)
	v_and_b32_e32 v13, 0xf8, v13
	v_cmp_ne_u32_e32 vcc_lo, 0, v11
	v_and_b32_e32 v66, 7, v12
	s_delay_alu instid0(VALU_DEP_1) | instskip(NEXT) | instid1(VALU_DEP_1)
	v_or3_b32 v10, v10, v13, v66
	v_lshlrev_b32_e32 v10, 8, v10
	s_delay_alu instid0(VALU_DEP_1)
	v_cndmask_b32_e32 v93, 0, v10, vcc_lo
.LBB6_10624:                            ;   in Loop: Header=BB6_9656 Depth=2
	s_or_b32 exec_lo, exec_lo, s24
.LBB6_10625:                            ;   in Loop: Header=BB6_9656 Depth=2
	s_delay_alu instid0(SALU_CYCLE_1)
	s_or_b32 exec_lo, exec_lo, s23
	global_load_b128 v[10:13], v[23:24], off offset:2560 slc dlc
	s_mov_b32 s10, 0
	s_mov_b32 s24, exec_lo
                                        ; implicit-def: $sgpr23
	s_waitcnt vmcnt(0)
	v_and_b32_e32 v82, 0xff, v10
	s_delay_alu instid0(VALU_DEP_1)
	v_cmpx_lt_i16_e32 0x7f, v82
	s_xor_b32 s24, exec_lo, s24
	s_cbranch_execnz .LBB6_11519
; %bb.10626:                            ;   in Loop: Header=BB6_9656 Depth=2
	s_or_saveexec_b32 s24, s24
	v_mov_b32_e32 v66, s23
	s_xor_b32 exec_lo, exec_lo, s24
	s_cbranch_execnz .LBB6_11522
.LBB6_10627:                            ;   in Loop: Header=BB6_9656 Depth=2
	s_or_b32 exec_lo, exec_lo, s24
	s_and_saveexec_b32 s23, s10
	s_cbranch_execz .LBB6_10629
.LBB6_10628:                            ;   in Loop: Header=BB6_9656 Depth=2
	v_and_b32_e32 v66, 7, v10
	v_bfe_u32 v86, v10, 3, 4
	s_delay_alu instid0(VALU_DEP_2) | instskip(NEXT) | instid1(VALU_DEP_2)
	v_clz_i32_u32_e32 v82, v66
	v_cmp_eq_u32_e32 vcc_lo, 0, v86
	s_delay_alu instid0(VALU_DEP_2) | instskip(NEXT) | instid1(VALU_DEP_1)
	v_min_u32_e32 v82, 32, v82
	v_subrev_nc_u32_e32 v83, 28, v82
	v_sub_nc_u32_e32 v82, 29, v82
	s_delay_alu instid0(VALU_DEP_2) | instskip(NEXT) | instid1(VALU_DEP_1)
	v_lshlrev_b32_e32 v83, v83, v10
	v_dual_cndmask_b32 v82, v86, v82 :: v_dual_and_b32 v83, 7, v83
	v_lshlrev_b32_e32 v87, 24, v10
	s_delay_alu instid0(VALU_DEP_2) | instskip(NEXT) | instid1(VALU_DEP_3)
	v_lshl_add_u32 v82, v82, 23, 0x3b800000
	v_cndmask_b32_e32 v66, v66, v83, vcc_lo
	s_delay_alu instid0(VALU_DEP_3) | instskip(NEXT) | instid1(VALU_DEP_2)
	v_and_b32_e32 v83, 0x80000000, v87
	v_lshlrev_b32_e32 v66, 20, v66
	s_delay_alu instid0(VALU_DEP_1)
	v_or3_b32 v66, v83, v82, v66
.LBB6_10629:                            ;   in Loop: Header=BB6_9656 Depth=2
	s_or_b32 exec_lo, exec_lo, s23
	s_delay_alu instid0(VALU_DEP_1) | instskip(SKIP_2) | instid1(VALU_DEP_2)
	v_mul_f32_e32 v66, s22, v66
	v_mov_b32_e32 v94, 0x80
	s_mov_b32 s23, exec_lo
	v_and_b32_e32 v82, 0x7f800000, v66
	s_delay_alu instid0(VALU_DEP_1)
	v_cmpx_ne_u32_e32 0x7f800000, v82
	s_cbranch_execz .LBB6_10637
; %bb.10630:                            ;   in Loop: Header=BB6_9656 Depth=2
	v_mov_b32_e32 v94, 0
	s_mov_b32 s24, exec_lo
	v_cmpx_ne_u32_e32 0, v66
	s_cbranch_execz .LBB6_10636
; %bb.10631:                            ;   in Loop: Header=BB6_9656 Depth=2
	v_bfe_u32 v82, v66, 23, 8
	v_and_b32_e32 v83, 0x7fffff, v66
	s_delay_alu instid0(VALU_DEP_2) | instskip(SKIP_1) | instid1(VALU_DEP_3)
	v_sub_nc_u32_e32 v86, 0x78, v82
	v_cmp_gt_u32_e32 vcc_lo, 0x79, v82
	v_or_b32_e32 v87, 0x800000, v83
	s_delay_alu instid0(VALU_DEP_3) | instskip(SKIP_1) | instid1(VALU_DEP_3)
	v_cndmask_b32_e32 v86, 0, v86, vcc_lo
	v_cmp_eq_u32_e32 vcc_lo, 0, v82
	v_dual_cndmask_b32 v83, v87, v83 :: v_dual_add_nc_u32 v82, 0xffffff89, v82
	s_delay_alu instid0(VALU_DEP_3) | instskip(NEXT) | instid1(VALU_DEP_2)
	v_cndmask_b32_e64 v86, v86, 0x77, vcc_lo
	v_cndmask_b32_e64 v82, v82, 0xffffff8a, vcc_lo
	s_delay_alu instid0(VALU_DEP_2) | instskip(SKIP_2) | instid1(VALU_DEP_4)
	v_lshrrev_b32_e32 v96, v86, v83
	v_lshl_add_u32 v87, 0x100000, v86, -1
	v_lshlrev_b32_e64 v98, v86, 0x80000
	v_add_nc_u32_e32 v86, v86, v82
	s_delay_alu instid0(VALU_DEP_4) | instskip(NEXT) | instid1(VALU_DEP_4)
	v_bfe_u32 v97, v96, 20, 1
	v_and_b32_e32 v83, v87, v83
	s_delay_alu instid0(VALU_DEP_2) | instskip(NEXT) | instid1(VALU_DEP_2)
	v_add_nc_u32_e32 v87, -1, v97
	v_cmp_eq_u32_e64 s10, v83, v98
	s_delay_alu instid0(VALU_DEP_1) | instskip(SKIP_2) | instid1(VALU_DEP_2)
	v_cndmask_b32_e64 v83, 0, v87, s10
	v_lshrrev_b32_e32 v87, 23, v96
	s_mov_b32 s10, exec_lo
	v_add_nc_u32_e32 v83, v83, v96
	s_delay_alu instid0(VALU_DEP_2) | instskip(NEXT) | instid1(VALU_DEP_2)
	v_xor_b32_e32 v87, 1, v87
	v_and_b32_e32 v82, 0xfffff, v83
	s_delay_alu instid0(VALU_DEP_1) | instskip(NEXT) | instid1(VALU_DEP_3)
	v_add_nc_u32_e32 v83, v82, v96
                                        ; implicit-def: $vgpr82
	v_cmpx_ne_u32_e64 v86, v87
	s_xor_b32 s10, exec_lo, s10
; %bb.10632:                            ;   in Loop: Header=BB6_9656 Depth=2
	s_delay_alu instid0(VALU_DEP_2) | instskip(SKIP_2) | instid1(VALU_DEP_2)
	v_cmp_lt_u32_e32 vcc_lo, 0xffffff, v83
	v_sub_nc_u32_e32 v82, v86, v87
	v_cndmask_b32_e64 v86, 0, 1, vcc_lo
	v_add_co_ci_u32_e32 v82, vcc_lo, 0, v82, vcc_lo
	s_delay_alu instid0(VALU_DEP_2)
	v_lshrrev_b32_e32 v83, v86, v83
; %bb.10633:                            ;   in Loop: Header=BB6_9656 Depth=2
	s_and_not1_saveexec_b32 s10, s10
; %bb.10634:                            ;   in Loop: Header=BB6_9656 Depth=2
	s_delay_alu instid0(VALU_DEP_1)
	v_bfe_u32 v82, v83, 23, 1
; %bb.10635:                            ;   in Loop: Header=BB6_9656 Depth=2
	s_or_b32 exec_lo, exec_lo, s10
	v_lshrrev_b32_e32 v83, 20, v83
	s_delay_alu instid0(VALU_DEP_2) | instskip(SKIP_2) | instid1(VALU_DEP_2)
	v_cmp_gt_i32_e32 vcc_lo, 16, v82
	v_lshrrev_b32_e32 v66, 24, v66
	v_min_i32_e32 v86, 15, v82
	v_dual_cndmask_b32 v83, 7, v83 :: v_dual_and_b32 v66, 0x80, v66
	s_delay_alu instid0(VALU_DEP_2) | instskip(NEXT) | instid1(VALU_DEP_2)
	v_lshlrev_b32_e32 v86, 3, v86
	v_or_b32_e32 v82, v82, v83
	s_delay_alu instid0(VALU_DEP_1) | instskip(SKIP_1) | instid1(VALU_DEP_1)
	v_cmp_ne_u32_e32 vcc_lo, 0, v82
	v_and_b32_e32 v87, 7, v83
	v_or3_b32 v66, v86, v66, v87
	s_delay_alu instid0(VALU_DEP_1)
	v_cndmask_b32_e32 v94, 0, v66, vcc_lo
.LBB6_10636:                            ;   in Loop: Header=BB6_9656 Depth=2
	s_or_b32 exec_lo, exec_lo, s24
.LBB6_10637:                            ;   in Loop: Header=BB6_9656 Depth=2
	s_delay_alu instid0(SALU_CYCLE_1) | instskip(SKIP_3) | instid1(VALU_DEP_1)
	s_or_b32 exec_lo, exec_lo, s23
	v_lshrrev_b16 v66, 8, v10
	s_mov_b32 s10, 0
	s_mov_b32 s24, exec_lo
                                        ; implicit-def: $sgpr23
	v_cmpx_lt_i16_e32 0x7f, v66
	s_xor_b32 s24, exec_lo, s24
	s_cbranch_execnz .LBB6_11523
; %bb.10638:                            ;   in Loop: Header=BB6_9656 Depth=2
	s_or_saveexec_b32 s24, s24
	v_mov_b32_e32 v82, s23
	s_xor_b32 exec_lo, exec_lo, s24
	s_cbranch_execnz .LBB6_11526
.LBB6_10639:                            ;   in Loop: Header=BB6_9656 Depth=2
	s_or_b32 exec_lo, exec_lo, s24
	s_and_saveexec_b32 s23, s10
	s_cbranch_execz .LBB6_10641
.LBB6_10640:                            ;   in Loop: Header=BB6_9656 Depth=2
	v_and_b32_e32 v82, 0xffff, v66
	v_lshlrev_b32_e32 v66, 24, v66
	s_delay_alu instid0(VALU_DEP_2) | instskip(NEXT) | instid1(VALU_DEP_2)
	v_and_b32_e32 v83, 7, v82
	v_and_b32_e32 v66, 0x80000000, v66
	s_delay_alu instid0(VALU_DEP_2) | instskip(NEXT) | instid1(VALU_DEP_1)
	v_clz_i32_u32_e32 v86, v83
	v_min_u32_e32 v86, 32, v86
	s_delay_alu instid0(VALU_DEP_1) | instskip(SKIP_1) | instid1(VALU_DEP_2)
	v_subrev_nc_u32_e32 v87, 28, v86
	v_sub_nc_u32_e32 v86, 29, v86
	v_lshlrev_b32_e32 v87, v87, v82
	v_bfe_u32 v82, v82, 3, 4
	s_delay_alu instid0(VALU_DEP_1) | instskip(NEXT) | instid1(VALU_DEP_3)
	v_cmp_eq_u32_e32 vcc_lo, 0, v82
	v_dual_cndmask_b32 v82, v82, v86 :: v_dual_and_b32 v87, 7, v87
	s_delay_alu instid0(VALU_DEP_1) | instskip(NEXT) | instid1(VALU_DEP_2)
	v_cndmask_b32_e32 v83, v83, v87, vcc_lo
	v_lshl_add_u32 v82, v82, 23, 0x3b800000
	s_delay_alu instid0(VALU_DEP_2) | instskip(NEXT) | instid1(VALU_DEP_1)
	v_lshlrev_b32_e32 v83, 20, v83
	v_or3_b32 v82, v66, v82, v83
.LBB6_10641:                            ;   in Loop: Header=BB6_9656 Depth=2
	s_or_b32 exec_lo, exec_lo, s23
	s_delay_alu instid0(VALU_DEP_1) | instskip(SKIP_1) | instid1(VALU_DEP_1)
	v_dual_mul_f32 v66, s22, v82 :: v_dual_mov_b32 v95, 0x80
	s_mov_b32 s23, exec_lo
	v_and_b32_e32 v82, 0x7f800000, v66
	s_delay_alu instid0(VALU_DEP_1)
	v_cmpx_ne_u32_e32 0x7f800000, v82
	s_cbranch_execz .LBB6_10649
; %bb.10642:                            ;   in Loop: Header=BB6_9656 Depth=2
	v_mov_b32_e32 v95, 0
	s_mov_b32 s24, exec_lo
	v_cmpx_ne_u32_e32 0, v66
	s_cbranch_execz .LBB6_10648
; %bb.10643:                            ;   in Loop: Header=BB6_9656 Depth=2
	v_bfe_u32 v82, v66, 23, 8
	v_and_b32_e32 v83, 0x7fffff, v66
	s_delay_alu instid0(VALU_DEP_2) | instskip(SKIP_1) | instid1(VALU_DEP_3)
	v_sub_nc_u32_e32 v86, 0x78, v82
	v_cmp_gt_u32_e32 vcc_lo, 0x79, v82
	v_or_b32_e32 v87, 0x800000, v83
	s_delay_alu instid0(VALU_DEP_3) | instskip(SKIP_1) | instid1(VALU_DEP_3)
	v_cndmask_b32_e32 v86, 0, v86, vcc_lo
	v_cmp_eq_u32_e32 vcc_lo, 0, v82
	v_dual_cndmask_b32 v83, v87, v83 :: v_dual_add_nc_u32 v82, 0xffffff89, v82
	s_delay_alu instid0(VALU_DEP_3) | instskip(NEXT) | instid1(VALU_DEP_2)
	v_cndmask_b32_e64 v86, v86, 0x77, vcc_lo
	v_cndmask_b32_e64 v82, v82, 0xffffff8a, vcc_lo
	s_delay_alu instid0(VALU_DEP_2) | instskip(SKIP_2) | instid1(VALU_DEP_4)
	v_lshrrev_b32_e32 v96, v86, v83
	v_lshl_add_u32 v87, 0x100000, v86, -1
	v_lshlrev_b32_e64 v98, v86, 0x80000
	v_add_nc_u32_e32 v86, v86, v82
	s_delay_alu instid0(VALU_DEP_4) | instskip(NEXT) | instid1(VALU_DEP_4)
	v_bfe_u32 v97, v96, 20, 1
	v_and_b32_e32 v83, v87, v83
	s_delay_alu instid0(VALU_DEP_2) | instskip(NEXT) | instid1(VALU_DEP_2)
	v_add_nc_u32_e32 v87, -1, v97
	v_cmp_eq_u32_e64 s10, v83, v98
	s_delay_alu instid0(VALU_DEP_1) | instskip(SKIP_2) | instid1(VALU_DEP_2)
	v_cndmask_b32_e64 v83, 0, v87, s10
	v_lshrrev_b32_e32 v87, 23, v96
	s_mov_b32 s10, exec_lo
	v_add_nc_u32_e32 v83, v83, v96
	s_delay_alu instid0(VALU_DEP_2) | instskip(NEXT) | instid1(VALU_DEP_2)
	v_xor_b32_e32 v87, 1, v87
	v_and_b32_e32 v82, 0xfffff, v83
	s_delay_alu instid0(VALU_DEP_1) | instskip(NEXT) | instid1(VALU_DEP_3)
	v_add_nc_u32_e32 v83, v82, v96
                                        ; implicit-def: $vgpr82
	v_cmpx_ne_u32_e64 v86, v87
	s_xor_b32 s10, exec_lo, s10
; %bb.10644:                            ;   in Loop: Header=BB6_9656 Depth=2
	s_delay_alu instid0(VALU_DEP_2) | instskip(SKIP_2) | instid1(VALU_DEP_2)
	v_cmp_lt_u32_e32 vcc_lo, 0xffffff, v83
	v_sub_nc_u32_e32 v82, v86, v87
	v_cndmask_b32_e64 v86, 0, 1, vcc_lo
	v_add_co_ci_u32_e32 v82, vcc_lo, 0, v82, vcc_lo
	s_delay_alu instid0(VALU_DEP_2)
	v_lshrrev_b32_e32 v83, v86, v83
; %bb.10645:                            ;   in Loop: Header=BB6_9656 Depth=2
	s_and_not1_saveexec_b32 s10, s10
; %bb.10646:                            ;   in Loop: Header=BB6_9656 Depth=2
	s_delay_alu instid0(VALU_DEP_1)
	v_bfe_u32 v82, v83, 23, 1
; %bb.10647:                            ;   in Loop: Header=BB6_9656 Depth=2
	s_or_b32 exec_lo, exec_lo, s10
	v_lshrrev_b32_e32 v83, 20, v83
	s_delay_alu instid0(VALU_DEP_2) | instskip(SKIP_2) | instid1(VALU_DEP_2)
	v_cmp_gt_i32_e32 vcc_lo, 16, v82
	v_lshrrev_b32_e32 v66, 24, v66
	v_min_i32_e32 v86, 15, v82
	v_dual_cndmask_b32 v83, 7, v83 :: v_dual_and_b32 v66, 0x80, v66
	s_delay_alu instid0(VALU_DEP_2) | instskip(NEXT) | instid1(VALU_DEP_2)
	v_lshlrev_b32_e32 v86, 3, v86
	v_and_b32_e32 v87, 7, v83
	v_or_b32_e32 v82, v82, v83
	s_delay_alu instid0(VALU_DEP_2) | instskip(NEXT) | instid1(VALU_DEP_2)
	v_or3_b32 v66, v86, v66, v87
	v_cmp_ne_u32_e32 vcc_lo, 0, v82
	s_delay_alu instid0(VALU_DEP_2)
	v_cndmask_b32_e32 v95, 0, v66, vcc_lo
.LBB6_10648:                            ;   in Loop: Header=BB6_9656 Depth=2
	s_or_b32 exec_lo, exec_lo, s24
.LBB6_10649:                            ;   in Loop: Header=BB6_9656 Depth=2
	s_delay_alu instid0(SALU_CYCLE_1) | instskip(SKIP_3) | instid1(VALU_DEP_1)
	s_or_b32 exec_lo, exec_lo, s23
	v_lshrrev_b32_e32 v66, 16, v10
	s_mov_b32 s10, 0
	s_mov_b32 s24, exec_lo
                                        ; implicit-def: $sgpr23
	v_and_b32_e32 v83, 0xff, v66
	s_delay_alu instid0(VALU_DEP_1)
	v_cmpx_lt_i16_e32 0x7f, v83
	s_xor_b32 s24, exec_lo, s24
	s_cbranch_execnz .LBB6_11527
; %bb.10650:                            ;   in Loop: Header=BB6_9656 Depth=2
	s_or_saveexec_b32 s24, s24
	v_mov_b32_e32 v82, s23
	s_xor_b32 exec_lo, exec_lo, s24
	s_cbranch_execnz .LBB6_11530
.LBB6_10651:                            ;   in Loop: Header=BB6_9656 Depth=2
	s_or_b32 exec_lo, exec_lo, s24
	s_and_saveexec_b32 s23, s10
	s_cbranch_execz .LBB6_10653
.LBB6_10652:                            ;   in Loop: Header=BB6_9656 Depth=2
	v_bfe_u32 v82, v10, 16, 3
	v_lshlrev_b32_e32 v87, 8, v10
	s_delay_alu instid0(VALU_DEP_2) | instskip(NEXT) | instid1(VALU_DEP_1)
	v_clz_i32_u32_e32 v83, v82
	v_min_u32_e32 v83, 32, v83
	s_delay_alu instid0(VALU_DEP_1) | instskip(SKIP_1) | instid1(VALU_DEP_2)
	v_subrev_nc_u32_e32 v86, 28, v83
	v_sub_nc_u32_e32 v83, 29, v83
	v_lshlrev_b32_e32 v66, v86, v66
	v_bfe_u32 v86, v10, 19, 4
	s_delay_alu instid0(VALU_DEP_1) | instskip(NEXT) | instid1(VALU_DEP_3)
	v_cmp_eq_u32_e32 vcc_lo, 0, v86
	v_dual_cndmask_b32 v83, v86, v83 :: v_dual_and_b32 v66, 7, v66
	s_delay_alu instid0(VALU_DEP_1) | instskip(SKIP_1) | instid1(VALU_DEP_3)
	v_cndmask_b32_e32 v66, v82, v66, vcc_lo
	v_and_b32_e32 v82, 0x80000000, v87
	v_lshl_add_u32 v83, v83, 23, 0x3b800000
	s_delay_alu instid0(VALU_DEP_3) | instskip(NEXT) | instid1(VALU_DEP_1)
	v_lshlrev_b32_e32 v66, 20, v66
	v_or3_b32 v82, v82, v83, v66
.LBB6_10653:                            ;   in Loop: Header=BB6_9656 Depth=2
	s_or_b32 exec_lo, exec_lo, s23
	s_delay_alu instid0(VALU_DEP_1) | instskip(SKIP_2) | instid1(VALU_DEP_2)
	v_mul_f32_e32 v66, s22, v82
	v_mov_b32_e32 v104, 0x80
	s_mov_b32 s23, exec_lo
	v_and_b32_e32 v82, 0x7f800000, v66
	s_delay_alu instid0(VALU_DEP_1)
	v_cmpx_ne_u32_e32 0x7f800000, v82
	s_cbranch_execz .LBB6_10661
; %bb.10654:                            ;   in Loop: Header=BB6_9656 Depth=2
	v_mov_b32_e32 v104, 0
	s_mov_b32 s24, exec_lo
	v_cmpx_ne_u32_e32 0, v66
	s_cbranch_execz .LBB6_10660
; %bb.10655:                            ;   in Loop: Header=BB6_9656 Depth=2
	v_bfe_u32 v82, v66, 23, 8
	v_and_b32_e32 v83, 0x7fffff, v66
	s_delay_alu instid0(VALU_DEP_2) | instskip(SKIP_1) | instid1(VALU_DEP_3)
	v_sub_nc_u32_e32 v86, 0x78, v82
	v_cmp_gt_u32_e32 vcc_lo, 0x79, v82
	v_or_b32_e32 v87, 0x800000, v83
	s_delay_alu instid0(VALU_DEP_3) | instskip(SKIP_1) | instid1(VALU_DEP_3)
	v_cndmask_b32_e32 v86, 0, v86, vcc_lo
	v_cmp_eq_u32_e32 vcc_lo, 0, v82
	v_dual_cndmask_b32 v83, v87, v83 :: v_dual_add_nc_u32 v82, 0xffffff89, v82
	s_delay_alu instid0(VALU_DEP_3) | instskip(NEXT) | instid1(VALU_DEP_2)
	v_cndmask_b32_e64 v86, v86, 0x77, vcc_lo
	v_cndmask_b32_e64 v82, v82, 0xffffff8a, vcc_lo
	s_delay_alu instid0(VALU_DEP_2) | instskip(SKIP_2) | instid1(VALU_DEP_4)
	v_lshrrev_b32_e32 v96, v86, v83
	v_lshl_add_u32 v87, 0x100000, v86, -1
	v_lshlrev_b32_e64 v98, v86, 0x80000
	v_add_nc_u32_e32 v86, v86, v82
	s_delay_alu instid0(VALU_DEP_4) | instskip(NEXT) | instid1(VALU_DEP_4)
	v_bfe_u32 v97, v96, 20, 1
	v_and_b32_e32 v83, v87, v83
	s_delay_alu instid0(VALU_DEP_2) | instskip(NEXT) | instid1(VALU_DEP_2)
	v_add_nc_u32_e32 v87, -1, v97
	v_cmp_eq_u32_e64 s10, v83, v98
	s_delay_alu instid0(VALU_DEP_1) | instskip(SKIP_2) | instid1(VALU_DEP_2)
	v_cndmask_b32_e64 v83, 0, v87, s10
	v_lshrrev_b32_e32 v87, 23, v96
	s_mov_b32 s10, exec_lo
	v_add_nc_u32_e32 v83, v83, v96
	s_delay_alu instid0(VALU_DEP_2) | instskip(NEXT) | instid1(VALU_DEP_2)
	v_xor_b32_e32 v87, 1, v87
	v_and_b32_e32 v82, 0xfffff, v83
	s_delay_alu instid0(VALU_DEP_1) | instskip(NEXT) | instid1(VALU_DEP_3)
	v_add_nc_u32_e32 v83, v82, v96
                                        ; implicit-def: $vgpr82
	v_cmpx_ne_u32_e64 v86, v87
	s_xor_b32 s10, exec_lo, s10
; %bb.10656:                            ;   in Loop: Header=BB6_9656 Depth=2
	s_delay_alu instid0(VALU_DEP_2) | instskip(SKIP_2) | instid1(VALU_DEP_2)
	v_cmp_lt_u32_e32 vcc_lo, 0xffffff, v83
	v_sub_nc_u32_e32 v82, v86, v87
	v_cndmask_b32_e64 v86, 0, 1, vcc_lo
	v_add_co_ci_u32_e32 v82, vcc_lo, 0, v82, vcc_lo
	s_delay_alu instid0(VALU_DEP_2)
	v_lshrrev_b32_e32 v83, v86, v83
; %bb.10657:                            ;   in Loop: Header=BB6_9656 Depth=2
	s_and_not1_saveexec_b32 s10, s10
; %bb.10658:                            ;   in Loop: Header=BB6_9656 Depth=2
	s_delay_alu instid0(VALU_DEP_1)
	v_bfe_u32 v82, v83, 23, 1
; %bb.10659:                            ;   in Loop: Header=BB6_9656 Depth=2
	s_or_b32 exec_lo, exec_lo, s10
	v_lshrrev_b32_e32 v83, 20, v83
	s_delay_alu instid0(VALU_DEP_2) | instskip(SKIP_2) | instid1(VALU_DEP_2)
	v_cmp_gt_i32_e32 vcc_lo, 16, v82
	v_lshrrev_b32_e32 v66, 24, v66
	v_min_i32_e32 v86, 15, v82
	v_dual_cndmask_b32 v83, 7, v83 :: v_dual_and_b32 v66, 0x80, v66
	s_delay_alu instid0(VALU_DEP_2) | instskip(NEXT) | instid1(VALU_DEP_2)
	v_lshlrev_b32_e32 v86, 3, v86
	v_or_b32_e32 v82, v82, v83
	s_delay_alu instid0(VALU_DEP_1) | instskip(SKIP_1) | instid1(VALU_DEP_1)
	v_cmp_ne_u32_e32 vcc_lo, 0, v82
	v_and_b32_e32 v87, 7, v83
	v_or3_b32 v66, v86, v66, v87
	s_delay_alu instid0(VALU_DEP_1)
	v_cndmask_b32_e32 v104, 0, v66, vcc_lo
.LBB6_10660:                            ;   in Loop: Header=BB6_9656 Depth=2
	s_or_b32 exec_lo, exec_lo, s24
.LBB6_10661:                            ;   in Loop: Header=BB6_9656 Depth=2
	s_delay_alu instid0(SALU_CYCLE_1) | instskip(SKIP_3) | instid1(VALU_DEP_1)
	s_or_b32 exec_lo, exec_lo, s23
	v_lshrrev_b32_e32 v66, 24, v10
	s_mov_b32 s10, 0
	s_mov_b32 s24, exec_lo
                                        ; implicit-def: $sgpr23
	v_cmpx_lt_i16_e32 0x7f, v66
	s_xor_b32 s24, exec_lo, s24
	s_cbranch_execnz .LBB6_11531
; %bb.10662:                            ;   in Loop: Header=BB6_9656 Depth=2
	s_or_saveexec_b32 s24, s24
	v_mov_b32_e32 v82, s23
	s_xor_b32 exec_lo, exec_lo, s24
	s_cbranch_execnz .LBB6_11534
.LBB6_10663:                            ;   in Loop: Header=BB6_9656 Depth=2
	s_or_b32 exec_lo, exec_lo, s24
	s_and_saveexec_b32 s23, s10
	s_cbranch_execz .LBB6_10665
.LBB6_10664:                            ;   in Loop: Header=BB6_9656 Depth=2
	v_bfe_u32 v82, v10, 24, 3
	s_delay_alu instid0(VALU_DEP_1) | instskip(NEXT) | instid1(VALU_DEP_1)
	v_clz_i32_u32_e32 v83, v82
	v_min_u32_e32 v83, 32, v83
	s_delay_alu instid0(VALU_DEP_1) | instskip(SKIP_1) | instid1(VALU_DEP_2)
	v_subrev_nc_u32_e32 v86, 28, v83
	v_sub_nc_u32_e32 v83, 29, v83
	v_lshlrev_b32_e32 v66, v86, v66
	v_bfe_u32 v86, v10, 27, 4
	v_and_b32_e32 v10, 0x80000000, v10
	s_delay_alu instid0(VALU_DEP_2) | instskip(NEXT) | instid1(VALU_DEP_4)
	v_cmp_eq_u32_e32 vcc_lo, 0, v86
	v_dual_cndmask_b32 v83, v86, v83 :: v_dual_and_b32 v66, 7, v66
	s_delay_alu instid0(VALU_DEP_1) | instskip(NEXT) | instid1(VALU_DEP_2)
	v_cndmask_b32_e32 v66, v82, v66, vcc_lo
	v_lshl_add_u32 v82, v83, 23, 0x3b800000
	s_delay_alu instid0(VALU_DEP_2) | instskip(NEXT) | instid1(VALU_DEP_1)
	v_lshlrev_b32_e32 v66, 20, v66
	v_or3_b32 v82, v10, v82, v66
.LBB6_10665:                            ;   in Loop: Header=BB6_9656 Depth=2
	s_or_b32 exec_lo, exec_lo, s23
	s_delay_alu instid0(VALU_DEP_1) | instskip(SKIP_1) | instid1(VALU_DEP_1)
	v_dual_mul_f32 v10, s22, v82 :: v_dual_mov_b32 v105, 0x80
	s_mov_b32 s23, exec_lo
	v_and_b32_e32 v66, 0x7f800000, v10
	s_delay_alu instid0(VALU_DEP_1)
	v_cmpx_ne_u32_e32 0x7f800000, v66
	s_cbranch_execz .LBB6_10673
; %bb.10666:                            ;   in Loop: Header=BB6_9656 Depth=2
	v_mov_b32_e32 v105, 0
	s_mov_b32 s24, exec_lo
	v_cmpx_ne_u32_e32 0, v10
	s_cbranch_execz .LBB6_10672
; %bb.10667:                            ;   in Loop: Header=BB6_9656 Depth=2
	v_bfe_u32 v66, v10, 23, 8
	s_delay_alu instid0(VALU_DEP_1) | instskip(SKIP_1) | instid1(VALU_DEP_2)
	v_sub_nc_u32_e32 v83, 0x78, v66
	v_cmp_gt_u32_e32 vcc_lo, 0x79, v66
	v_dual_cndmask_b32 v83, 0, v83 :: v_dual_and_b32 v82, 0x7fffff, v10
	s_delay_alu instid0(VALU_DEP_1) | instskip(SKIP_2) | instid1(VALU_DEP_4)
	v_or_b32_e32 v86, 0x800000, v82
	v_cmp_eq_u32_e32 vcc_lo, 0, v66
	v_add_nc_u32_e32 v66, 0xffffff89, v66
	v_cndmask_b32_e64 v83, v83, 0x77, vcc_lo
	s_delay_alu instid0(VALU_DEP_4) | instskip(NEXT) | instid1(VALU_DEP_3)
	v_cndmask_b32_e32 v82, v86, v82, vcc_lo
	v_cndmask_b32_e64 v66, v66, 0xffffff8a, vcc_lo
	s_delay_alu instid0(VALU_DEP_3) | instskip(NEXT) | instid1(VALU_DEP_3)
	v_lshl_add_u32 v86, 0x100000, v83, -1
	v_lshrrev_b32_e32 v87, v83, v82
	v_lshlrev_b32_e64 v97, v83, 0x80000
	s_delay_alu instid0(VALU_DEP_4) | instskip(NEXT) | instid1(VALU_DEP_4)
	v_add_nc_u32_e32 v83, v83, v66
	v_and_b32_e32 v82, v86, v82
	s_delay_alu instid0(VALU_DEP_4) | instskip(NEXT) | instid1(VALU_DEP_2)
	v_bfe_u32 v96, v87, 20, 1
	v_cmp_eq_u32_e64 s10, v82, v97
	s_delay_alu instid0(VALU_DEP_2) | instskip(NEXT) | instid1(VALU_DEP_1)
	v_add_nc_u32_e32 v86, -1, v96
	v_cndmask_b32_e64 v82, 0, v86, s10
	v_lshrrev_b32_e32 v86, 23, v87
	s_mov_b32 s10, exec_lo
	s_delay_alu instid0(VALU_DEP_2) | instskip(NEXT) | instid1(VALU_DEP_2)
	v_add_nc_u32_e32 v82, v82, v87
	v_xor_b32_e32 v86, 1, v86
	s_delay_alu instid0(VALU_DEP_2) | instskip(NEXT) | instid1(VALU_DEP_1)
	v_and_b32_e32 v66, 0xfffff, v82
	v_add_nc_u32_e32 v82, v66, v87
                                        ; implicit-def: $vgpr66
	s_delay_alu instid0(VALU_DEP_3)
	v_cmpx_ne_u32_e64 v83, v86
	s_xor_b32 s10, exec_lo, s10
; %bb.10668:                            ;   in Loop: Header=BB6_9656 Depth=2
	s_delay_alu instid0(VALU_DEP_2) | instskip(SKIP_2) | instid1(VALU_DEP_2)
	v_cmp_lt_u32_e32 vcc_lo, 0xffffff, v82
	v_sub_nc_u32_e32 v66, v83, v86
	v_cndmask_b32_e64 v83, 0, 1, vcc_lo
	v_add_co_ci_u32_e32 v66, vcc_lo, 0, v66, vcc_lo
	s_delay_alu instid0(VALU_DEP_2)
	v_lshrrev_b32_e32 v82, v83, v82
; %bb.10669:                            ;   in Loop: Header=BB6_9656 Depth=2
	s_and_not1_saveexec_b32 s10, s10
; %bb.10670:                            ;   in Loop: Header=BB6_9656 Depth=2
	s_delay_alu instid0(VALU_DEP_1)
	v_bfe_u32 v66, v82, 23, 1
; %bb.10671:                            ;   in Loop: Header=BB6_9656 Depth=2
	s_or_b32 exec_lo, exec_lo, s10
	v_lshrrev_b32_e32 v82, 20, v82
	s_delay_alu instid0(VALU_DEP_2) | instskip(SKIP_2) | instid1(VALU_DEP_4)
	v_cmp_gt_i32_e32 vcc_lo, 16, v66
	v_lshrrev_b32_e32 v10, 24, v10
	v_min_i32_e32 v83, 15, v66
	v_cndmask_b32_e32 v82, 7, v82, vcc_lo
	s_delay_alu instid0(VALU_DEP_3) | instskip(NEXT) | instid1(VALU_DEP_3)
	v_and_b32_e32 v10, 0x80, v10
	v_lshlrev_b32_e32 v83, 3, v83
	s_delay_alu instid0(VALU_DEP_3) | instskip(SKIP_1) | instid1(VALU_DEP_2)
	v_and_b32_e32 v86, 7, v82
	v_or_b32_e32 v66, v66, v82
	v_or3_b32 v10, v83, v10, v86
	s_delay_alu instid0(VALU_DEP_2) | instskip(NEXT) | instid1(VALU_DEP_2)
	v_cmp_ne_u32_e32 vcc_lo, 0, v66
	v_cndmask_b32_e32 v105, 0, v10, vcc_lo
.LBB6_10672:                            ;   in Loop: Header=BB6_9656 Depth=2
	s_or_b32 exec_lo, exec_lo, s24
.LBB6_10673:                            ;   in Loop: Header=BB6_9656 Depth=2
	s_delay_alu instid0(SALU_CYCLE_1) | instskip(SKIP_3) | instid1(VALU_DEP_1)
	s_or_b32 exec_lo, exec_lo, s23
	v_and_b32_e32 v66, 0xff, v11
	s_mov_b32 s10, 0
	s_mov_b32 s24, exec_lo
                                        ; implicit-def: $sgpr23
	v_cmpx_lt_i16_e32 0x7f, v66
	s_xor_b32 s24, exec_lo, s24
	s_cbranch_execnz .LBB6_11535
; %bb.10674:                            ;   in Loop: Header=BB6_9656 Depth=2
	s_or_saveexec_b32 s24, s24
	v_mov_b32_e32 v10, s23
	s_xor_b32 exec_lo, exec_lo, s24
	s_cbranch_execnz .LBB6_11538
.LBB6_10675:                            ;   in Loop: Header=BB6_9656 Depth=2
	s_or_b32 exec_lo, exec_lo, s24
	s_and_saveexec_b32 s23, s10
	s_cbranch_execz .LBB6_10677
.LBB6_10676:                            ;   in Loop: Header=BB6_9656 Depth=2
	v_and_b32_e32 v10, 7, v11
	v_bfe_u32 v83, v11, 3, 4
	v_lshlrev_b32_e32 v86, 24, v11
	s_delay_alu instid0(VALU_DEP_3) | instskip(NEXT) | instid1(VALU_DEP_3)
	v_clz_i32_u32_e32 v66, v10
	v_cmp_eq_u32_e32 vcc_lo, 0, v83
	s_delay_alu instid0(VALU_DEP_2) | instskip(NEXT) | instid1(VALU_DEP_1)
	v_min_u32_e32 v66, 32, v66
	v_subrev_nc_u32_e32 v82, 28, v66
	v_sub_nc_u32_e32 v66, 29, v66
	s_delay_alu instid0(VALU_DEP_2) | instskip(NEXT) | instid1(VALU_DEP_2)
	v_lshlrev_b32_e32 v82, v82, v11
	v_cndmask_b32_e32 v66, v83, v66, vcc_lo
	s_delay_alu instid0(VALU_DEP_2) | instskip(NEXT) | instid1(VALU_DEP_2)
	v_and_b32_e32 v82, 7, v82
	v_lshl_add_u32 v66, v66, 23, 0x3b800000
	s_delay_alu instid0(VALU_DEP_2) | instskip(SKIP_1) | instid1(VALU_DEP_2)
	v_cndmask_b32_e32 v10, v10, v82, vcc_lo
	v_and_b32_e32 v82, 0x80000000, v86
	v_lshlrev_b32_e32 v10, 20, v10
	s_delay_alu instid0(VALU_DEP_1)
	v_or3_b32 v10, v82, v66, v10
.LBB6_10677:                            ;   in Loop: Header=BB6_9656 Depth=2
	s_or_b32 exec_lo, exec_lo, s23
	s_delay_alu instid0(VALU_DEP_1) | instskip(SKIP_2) | instid1(VALU_DEP_2)
	v_mul_f32_e32 v10, s22, v10
	v_mov_b32_e32 v106, 0x80
	s_mov_b32 s23, exec_lo
	v_and_b32_e32 v66, 0x7f800000, v10
	s_delay_alu instid0(VALU_DEP_1)
	v_cmpx_ne_u32_e32 0x7f800000, v66
	s_cbranch_execz .LBB6_10685
; %bb.10678:                            ;   in Loop: Header=BB6_9656 Depth=2
	v_mov_b32_e32 v106, 0
	s_mov_b32 s24, exec_lo
	v_cmpx_ne_u32_e32 0, v10
	s_cbranch_execz .LBB6_10684
; %bb.10679:                            ;   in Loop: Header=BB6_9656 Depth=2
	v_bfe_u32 v66, v10, 23, 8
	s_delay_alu instid0(VALU_DEP_1) | instskip(SKIP_1) | instid1(VALU_DEP_2)
	v_sub_nc_u32_e32 v83, 0x78, v66
	v_cmp_gt_u32_e32 vcc_lo, 0x79, v66
	v_dual_cndmask_b32 v83, 0, v83 :: v_dual_and_b32 v82, 0x7fffff, v10
	s_delay_alu instid0(VALU_DEP_1) | instskip(SKIP_2) | instid1(VALU_DEP_4)
	v_or_b32_e32 v86, 0x800000, v82
	v_cmp_eq_u32_e32 vcc_lo, 0, v66
	v_add_nc_u32_e32 v66, 0xffffff89, v66
	v_cndmask_b32_e64 v83, v83, 0x77, vcc_lo
	s_delay_alu instid0(VALU_DEP_4) | instskip(NEXT) | instid1(VALU_DEP_3)
	v_cndmask_b32_e32 v82, v86, v82, vcc_lo
	v_cndmask_b32_e64 v66, v66, 0xffffff8a, vcc_lo
	s_delay_alu instid0(VALU_DEP_3) | instskip(NEXT) | instid1(VALU_DEP_3)
	v_lshl_add_u32 v86, 0x100000, v83, -1
	v_lshrrev_b32_e32 v87, v83, v82
	v_lshlrev_b32_e64 v97, v83, 0x80000
	s_delay_alu instid0(VALU_DEP_4) | instskip(NEXT) | instid1(VALU_DEP_4)
	v_add_nc_u32_e32 v83, v83, v66
	v_and_b32_e32 v82, v86, v82
	s_delay_alu instid0(VALU_DEP_4) | instskip(NEXT) | instid1(VALU_DEP_2)
	v_bfe_u32 v96, v87, 20, 1
	v_cmp_eq_u32_e64 s10, v82, v97
	s_delay_alu instid0(VALU_DEP_2) | instskip(NEXT) | instid1(VALU_DEP_1)
	v_add_nc_u32_e32 v86, -1, v96
	v_cndmask_b32_e64 v82, 0, v86, s10
	v_lshrrev_b32_e32 v86, 23, v87
	s_mov_b32 s10, exec_lo
	s_delay_alu instid0(VALU_DEP_2) | instskip(NEXT) | instid1(VALU_DEP_2)
	v_add_nc_u32_e32 v82, v82, v87
	v_xor_b32_e32 v86, 1, v86
	s_delay_alu instid0(VALU_DEP_2) | instskip(NEXT) | instid1(VALU_DEP_1)
	v_and_b32_e32 v66, 0xfffff, v82
	v_add_nc_u32_e32 v82, v66, v87
                                        ; implicit-def: $vgpr66
	s_delay_alu instid0(VALU_DEP_3)
	v_cmpx_ne_u32_e64 v83, v86
	s_xor_b32 s10, exec_lo, s10
; %bb.10680:                            ;   in Loop: Header=BB6_9656 Depth=2
	s_delay_alu instid0(VALU_DEP_2) | instskip(SKIP_2) | instid1(VALU_DEP_2)
	v_cmp_lt_u32_e32 vcc_lo, 0xffffff, v82
	v_sub_nc_u32_e32 v66, v83, v86
	v_cndmask_b32_e64 v83, 0, 1, vcc_lo
	v_add_co_ci_u32_e32 v66, vcc_lo, 0, v66, vcc_lo
	s_delay_alu instid0(VALU_DEP_2)
	v_lshrrev_b32_e32 v82, v83, v82
; %bb.10681:                            ;   in Loop: Header=BB6_9656 Depth=2
	s_and_not1_saveexec_b32 s10, s10
; %bb.10682:                            ;   in Loop: Header=BB6_9656 Depth=2
	s_delay_alu instid0(VALU_DEP_1)
	v_bfe_u32 v66, v82, 23, 1
; %bb.10683:                            ;   in Loop: Header=BB6_9656 Depth=2
	s_or_b32 exec_lo, exec_lo, s10
	v_lshrrev_b32_e32 v82, 20, v82
	s_delay_alu instid0(VALU_DEP_2) | instskip(SKIP_2) | instid1(VALU_DEP_2)
	v_cmp_gt_i32_e32 vcc_lo, 16, v66
	v_min_i32_e32 v83, 15, v66
	v_lshrrev_b32_e32 v10, 24, v10
	v_dual_cndmask_b32 v82, 7, v82 :: v_dual_lshlrev_b32 v83, 3, v83
	s_delay_alu instid0(VALU_DEP_2) | instskip(NEXT) | instid1(VALU_DEP_2)
	v_and_b32_e32 v10, 0x80, v10
	v_or_b32_e32 v66, v66, v82
	v_and_b32_e32 v86, 7, v82
	s_delay_alu instid0(VALU_DEP_2) | instskip(SKIP_1) | instid1(VALU_DEP_1)
	v_cmp_ne_u32_e32 vcc_lo, 0, v66
	v_and_b32_e32 v83, 0xf8, v83
	v_or3_b32 v10, v83, v10, v86
	s_delay_alu instid0(VALU_DEP_1)
	v_cndmask_b32_e32 v106, 0, v10, vcc_lo
.LBB6_10684:                            ;   in Loop: Header=BB6_9656 Depth=2
	s_or_b32 exec_lo, exec_lo, s24
.LBB6_10685:                            ;   in Loop: Header=BB6_9656 Depth=2
	s_delay_alu instid0(SALU_CYCLE_1) | instskip(SKIP_3) | instid1(VALU_DEP_1)
	s_or_b32 exec_lo, exec_lo, s23
	v_lshrrev_b16 v10, 8, v11
	s_mov_b32 s10, 0
	s_mov_b32 s24, exec_lo
                                        ; implicit-def: $sgpr23
	v_cmpx_lt_i16_e32 0x7f, v10
	s_xor_b32 s24, exec_lo, s24
	s_cbranch_execnz .LBB6_11539
; %bb.10686:                            ;   in Loop: Header=BB6_9656 Depth=2
	s_or_saveexec_b32 s24, s24
	v_mov_b32_e32 v66, s23
	s_xor_b32 exec_lo, exec_lo, s24
	s_cbranch_execnz .LBB6_11542
.LBB6_10687:                            ;   in Loop: Header=BB6_9656 Depth=2
	s_or_b32 exec_lo, exec_lo, s24
	s_and_saveexec_b32 s23, s10
	s_cbranch_execz .LBB6_10689
.LBB6_10688:                            ;   in Loop: Header=BB6_9656 Depth=2
	v_and_b32_e32 v66, 0xffff, v10
	v_lshlrev_b32_e32 v10, 24, v10
	s_delay_alu instid0(VALU_DEP_2) | instskip(NEXT) | instid1(VALU_DEP_2)
	v_and_b32_e32 v82, 7, v66
	v_and_b32_e32 v10, 0x80000000, v10
	s_delay_alu instid0(VALU_DEP_2) | instskip(NEXT) | instid1(VALU_DEP_1)
	v_clz_i32_u32_e32 v83, v82
	v_min_u32_e32 v83, 32, v83
	s_delay_alu instid0(VALU_DEP_1) | instskip(SKIP_1) | instid1(VALU_DEP_2)
	v_subrev_nc_u32_e32 v86, 28, v83
	v_sub_nc_u32_e32 v83, 29, v83
	v_lshlrev_b32_e32 v86, v86, v66
	v_bfe_u32 v66, v66, 3, 4
	s_delay_alu instid0(VALU_DEP_2) | instskip(NEXT) | instid1(VALU_DEP_2)
	v_and_b32_e32 v86, 7, v86
	v_cmp_eq_u32_e32 vcc_lo, 0, v66
	v_cndmask_b32_e32 v66, v66, v83, vcc_lo
	s_delay_alu instid0(VALU_DEP_3) | instskip(NEXT) | instid1(VALU_DEP_2)
	v_cndmask_b32_e32 v82, v82, v86, vcc_lo
	v_lshl_add_u32 v66, v66, 23, 0x3b800000
	s_delay_alu instid0(VALU_DEP_2) | instskip(NEXT) | instid1(VALU_DEP_1)
	v_lshlrev_b32_e32 v82, 20, v82
	v_or3_b32 v66, v10, v66, v82
.LBB6_10689:                            ;   in Loop: Header=BB6_9656 Depth=2
	s_or_b32 exec_lo, exec_lo, s23
	s_delay_alu instid0(VALU_DEP_1) | instskip(SKIP_1) | instid1(VALU_DEP_1)
	v_dual_mul_f32 v10, s22, v66 :: v_dual_mov_b32 v107, 0x8000
	s_mov_b32 s23, exec_lo
	v_and_b32_e32 v66, 0x7f800000, v10
	s_delay_alu instid0(VALU_DEP_1)
	v_cmpx_ne_u32_e32 0x7f800000, v66
	s_cbranch_execz .LBB6_10697
; %bb.10690:                            ;   in Loop: Header=BB6_9656 Depth=2
	v_mov_b32_e32 v107, 0
	s_mov_b32 s24, exec_lo
	v_cmpx_ne_u32_e32 0, v10
	s_cbranch_execz .LBB6_10696
; %bb.10691:                            ;   in Loop: Header=BB6_9656 Depth=2
	v_bfe_u32 v66, v10, 23, 8
	s_delay_alu instid0(VALU_DEP_1) | instskip(SKIP_1) | instid1(VALU_DEP_2)
	v_sub_nc_u32_e32 v83, 0x78, v66
	v_cmp_gt_u32_e32 vcc_lo, 0x79, v66
	v_dual_cndmask_b32 v83, 0, v83 :: v_dual_and_b32 v82, 0x7fffff, v10
	s_delay_alu instid0(VALU_DEP_1) | instskip(SKIP_2) | instid1(VALU_DEP_4)
	v_or_b32_e32 v86, 0x800000, v82
	v_cmp_eq_u32_e32 vcc_lo, 0, v66
	v_add_nc_u32_e32 v66, 0xffffff89, v66
	v_cndmask_b32_e64 v83, v83, 0x77, vcc_lo
	s_delay_alu instid0(VALU_DEP_4) | instskip(NEXT) | instid1(VALU_DEP_3)
	v_cndmask_b32_e32 v82, v86, v82, vcc_lo
	v_cndmask_b32_e64 v66, v66, 0xffffff8a, vcc_lo
	s_delay_alu instid0(VALU_DEP_3) | instskip(NEXT) | instid1(VALU_DEP_3)
	v_lshl_add_u32 v86, 0x100000, v83, -1
	v_lshrrev_b32_e32 v87, v83, v82
	v_lshlrev_b32_e64 v97, v83, 0x80000
	s_delay_alu instid0(VALU_DEP_4) | instskip(NEXT) | instid1(VALU_DEP_4)
	v_add_nc_u32_e32 v83, v83, v66
	v_and_b32_e32 v82, v86, v82
	s_delay_alu instid0(VALU_DEP_4) | instskip(NEXT) | instid1(VALU_DEP_2)
	v_bfe_u32 v96, v87, 20, 1
	v_cmp_eq_u32_e64 s10, v82, v97
	s_delay_alu instid0(VALU_DEP_2) | instskip(NEXT) | instid1(VALU_DEP_1)
	v_add_nc_u32_e32 v86, -1, v96
	v_cndmask_b32_e64 v82, 0, v86, s10
	v_lshrrev_b32_e32 v86, 23, v87
	s_mov_b32 s10, exec_lo
	s_delay_alu instid0(VALU_DEP_2) | instskip(NEXT) | instid1(VALU_DEP_2)
	v_add_nc_u32_e32 v82, v82, v87
	v_xor_b32_e32 v86, 1, v86
	s_delay_alu instid0(VALU_DEP_2) | instskip(NEXT) | instid1(VALU_DEP_1)
	v_and_b32_e32 v66, 0xfffff, v82
	v_add_nc_u32_e32 v82, v66, v87
                                        ; implicit-def: $vgpr66
	s_delay_alu instid0(VALU_DEP_3)
	v_cmpx_ne_u32_e64 v83, v86
	s_xor_b32 s10, exec_lo, s10
; %bb.10692:                            ;   in Loop: Header=BB6_9656 Depth=2
	s_delay_alu instid0(VALU_DEP_2) | instskip(SKIP_2) | instid1(VALU_DEP_2)
	v_cmp_lt_u32_e32 vcc_lo, 0xffffff, v82
	v_sub_nc_u32_e32 v66, v83, v86
	v_cndmask_b32_e64 v83, 0, 1, vcc_lo
	v_add_co_ci_u32_e32 v66, vcc_lo, 0, v66, vcc_lo
	s_delay_alu instid0(VALU_DEP_2)
	v_lshrrev_b32_e32 v82, v83, v82
; %bb.10693:                            ;   in Loop: Header=BB6_9656 Depth=2
	s_and_not1_saveexec_b32 s10, s10
; %bb.10694:                            ;   in Loop: Header=BB6_9656 Depth=2
	s_delay_alu instid0(VALU_DEP_1)
	v_bfe_u32 v66, v82, 23, 1
; %bb.10695:                            ;   in Loop: Header=BB6_9656 Depth=2
	s_or_b32 exec_lo, exec_lo, s10
	v_lshrrev_b32_e32 v82, 20, v82
	s_delay_alu instid0(VALU_DEP_2) | instskip(SKIP_2) | instid1(VALU_DEP_3)
	v_min_i32_e32 v83, 15, v66
	v_cmp_gt_i32_e32 vcc_lo, 16, v66
	v_lshrrev_b32_e32 v10, 24, v10
	v_dual_cndmask_b32 v82, 7, v82 :: v_dual_lshlrev_b32 v83, 3, v83
	s_delay_alu instid0(VALU_DEP_2) | instskip(NEXT) | instid1(VALU_DEP_2)
	v_and_b32_e32 v10, 0x80, v10
	v_and_b32_e32 v83, 0xf8, v83
	s_delay_alu instid0(VALU_DEP_3) | instskip(SKIP_1) | instid1(VALU_DEP_2)
	v_and_b32_e32 v86, 7, v82
	v_or_b32_e32 v66, v66, v82
	v_or3_b32 v10, v10, v83, v86
	s_delay_alu instid0(VALU_DEP_2) | instskip(NEXT) | instid1(VALU_DEP_2)
	v_cmp_ne_u32_e32 vcc_lo, 0, v66
	v_lshlrev_b32_e32 v10, 8, v10
	s_delay_alu instid0(VALU_DEP_1)
	v_cndmask_b32_e32 v107, 0, v10, vcc_lo
.LBB6_10696:                            ;   in Loop: Header=BB6_9656 Depth=2
	s_or_b32 exec_lo, exec_lo, s24
.LBB6_10697:                            ;   in Loop: Header=BB6_9656 Depth=2
	s_delay_alu instid0(SALU_CYCLE_1) | instskip(SKIP_3) | instid1(VALU_DEP_1)
	s_or_b32 exec_lo, exec_lo, s23
	v_lshrrev_b32_e32 v10, 16, v11
	s_mov_b32 s10, 0
	s_mov_b32 s24, exec_lo
                                        ; implicit-def: $sgpr23
	v_and_b32_e32 v82, 0xff, v10
	s_delay_alu instid0(VALU_DEP_1)
	v_cmpx_lt_i16_e32 0x7f, v82
	s_xor_b32 s24, exec_lo, s24
	s_cbranch_execnz .LBB6_11543
; %bb.10698:                            ;   in Loop: Header=BB6_9656 Depth=2
	s_or_saveexec_b32 s24, s24
	v_mov_b32_e32 v66, s23
	s_xor_b32 exec_lo, exec_lo, s24
	s_cbranch_execnz .LBB6_11546
.LBB6_10699:                            ;   in Loop: Header=BB6_9656 Depth=2
	s_or_b32 exec_lo, exec_lo, s24
	s_and_saveexec_b32 s23, s10
	s_cbranch_execz .LBB6_10701
.LBB6_10700:                            ;   in Loop: Header=BB6_9656 Depth=2
	v_bfe_u32 v66, v11, 16, 3
	v_lshlrev_b32_e32 v86, 8, v11
	s_delay_alu instid0(VALU_DEP_2) | instskip(NEXT) | instid1(VALU_DEP_1)
	v_clz_i32_u32_e32 v82, v66
	v_min_u32_e32 v82, 32, v82
	s_delay_alu instid0(VALU_DEP_1) | instskip(SKIP_1) | instid1(VALU_DEP_2)
	v_subrev_nc_u32_e32 v83, 28, v82
	v_sub_nc_u32_e32 v82, 29, v82
	v_lshlrev_b32_e32 v10, v83, v10
	v_bfe_u32 v83, v11, 19, 4
	s_delay_alu instid0(VALU_DEP_2) | instskip(NEXT) | instid1(VALU_DEP_2)
	v_and_b32_e32 v10, 7, v10
	v_cmp_eq_u32_e32 vcc_lo, 0, v83
	v_cndmask_b32_e32 v82, v83, v82, vcc_lo
	s_delay_alu instid0(VALU_DEP_3) | instskip(SKIP_1) | instid1(VALU_DEP_3)
	v_cndmask_b32_e32 v10, v66, v10, vcc_lo
	v_and_b32_e32 v66, 0x80000000, v86
	v_lshl_add_u32 v82, v82, 23, 0x3b800000
	s_delay_alu instid0(VALU_DEP_3) | instskip(NEXT) | instid1(VALU_DEP_1)
	v_lshlrev_b32_e32 v10, 20, v10
	v_or3_b32 v66, v66, v82, v10
.LBB6_10701:                            ;   in Loop: Header=BB6_9656 Depth=2
	s_or_b32 exec_lo, exec_lo, s23
	s_delay_alu instid0(VALU_DEP_1) | instskip(SKIP_2) | instid1(VALU_DEP_2)
	v_mul_f32_e32 v10, s22, v66
	v_mov_b32_e32 v158, 0x80
	s_mov_b32 s23, exec_lo
	v_and_b32_e32 v66, 0x7f800000, v10
	s_delay_alu instid0(VALU_DEP_1)
	v_cmpx_ne_u32_e32 0x7f800000, v66
	s_cbranch_execz .LBB6_10709
; %bb.10702:                            ;   in Loop: Header=BB6_9656 Depth=2
	v_mov_b32_e32 v158, 0
	s_mov_b32 s24, exec_lo
	v_cmpx_ne_u32_e32 0, v10
	s_cbranch_execz .LBB6_10708
; %bb.10703:                            ;   in Loop: Header=BB6_9656 Depth=2
	v_bfe_u32 v66, v10, 23, 8
	s_delay_alu instid0(VALU_DEP_1) | instskip(SKIP_1) | instid1(VALU_DEP_2)
	v_sub_nc_u32_e32 v83, 0x78, v66
	v_cmp_gt_u32_e32 vcc_lo, 0x79, v66
	v_dual_cndmask_b32 v83, 0, v83 :: v_dual_and_b32 v82, 0x7fffff, v10
	s_delay_alu instid0(VALU_DEP_1) | instskip(SKIP_2) | instid1(VALU_DEP_4)
	v_or_b32_e32 v86, 0x800000, v82
	v_cmp_eq_u32_e32 vcc_lo, 0, v66
	v_add_nc_u32_e32 v66, 0xffffff89, v66
	v_cndmask_b32_e64 v83, v83, 0x77, vcc_lo
	s_delay_alu instid0(VALU_DEP_4) | instskip(NEXT) | instid1(VALU_DEP_3)
	v_cndmask_b32_e32 v82, v86, v82, vcc_lo
	v_cndmask_b32_e64 v66, v66, 0xffffff8a, vcc_lo
	s_delay_alu instid0(VALU_DEP_3) | instskip(NEXT) | instid1(VALU_DEP_3)
	v_lshl_add_u32 v86, 0x100000, v83, -1
	v_lshrrev_b32_e32 v87, v83, v82
	v_lshlrev_b32_e64 v97, v83, 0x80000
	s_delay_alu instid0(VALU_DEP_4) | instskip(NEXT) | instid1(VALU_DEP_4)
	v_add_nc_u32_e32 v83, v83, v66
	v_and_b32_e32 v82, v86, v82
	s_delay_alu instid0(VALU_DEP_4) | instskip(NEXT) | instid1(VALU_DEP_2)
	v_bfe_u32 v96, v87, 20, 1
	v_cmp_eq_u32_e64 s10, v82, v97
	s_delay_alu instid0(VALU_DEP_2) | instskip(NEXT) | instid1(VALU_DEP_1)
	v_add_nc_u32_e32 v86, -1, v96
	v_cndmask_b32_e64 v82, 0, v86, s10
	v_lshrrev_b32_e32 v86, 23, v87
	s_mov_b32 s10, exec_lo
	s_delay_alu instid0(VALU_DEP_2) | instskip(NEXT) | instid1(VALU_DEP_2)
	v_add_nc_u32_e32 v82, v82, v87
	v_xor_b32_e32 v86, 1, v86
	s_delay_alu instid0(VALU_DEP_2) | instskip(NEXT) | instid1(VALU_DEP_1)
	v_and_b32_e32 v66, 0xfffff, v82
	v_add_nc_u32_e32 v82, v66, v87
                                        ; implicit-def: $vgpr66
	s_delay_alu instid0(VALU_DEP_3)
	v_cmpx_ne_u32_e64 v83, v86
	s_xor_b32 s10, exec_lo, s10
; %bb.10704:                            ;   in Loop: Header=BB6_9656 Depth=2
	s_delay_alu instid0(VALU_DEP_2) | instskip(SKIP_2) | instid1(VALU_DEP_2)
	v_cmp_lt_u32_e32 vcc_lo, 0xffffff, v82
	v_sub_nc_u32_e32 v66, v83, v86
	v_cndmask_b32_e64 v83, 0, 1, vcc_lo
	v_add_co_ci_u32_e32 v66, vcc_lo, 0, v66, vcc_lo
	s_delay_alu instid0(VALU_DEP_2)
	v_lshrrev_b32_e32 v82, v83, v82
; %bb.10705:                            ;   in Loop: Header=BB6_9656 Depth=2
	s_and_not1_saveexec_b32 s10, s10
; %bb.10706:                            ;   in Loop: Header=BB6_9656 Depth=2
	s_delay_alu instid0(VALU_DEP_1)
	v_bfe_u32 v66, v82, 23, 1
; %bb.10707:                            ;   in Loop: Header=BB6_9656 Depth=2
	s_or_b32 exec_lo, exec_lo, s10
	v_lshrrev_b32_e32 v82, 20, v82
	s_delay_alu instid0(VALU_DEP_2) | instskip(SKIP_2) | instid1(VALU_DEP_2)
	v_cmp_gt_i32_e32 vcc_lo, 16, v66
	v_min_i32_e32 v83, 15, v66
	v_lshrrev_b32_e32 v10, 24, v10
	v_dual_cndmask_b32 v82, 7, v82 :: v_dual_lshlrev_b32 v83, 3, v83
	s_delay_alu instid0(VALU_DEP_2) | instskip(NEXT) | instid1(VALU_DEP_2)
	v_and_b32_e32 v10, 0x80, v10
	v_or_b32_e32 v66, v66, v82
	v_and_b32_e32 v86, 7, v82
	s_delay_alu instid0(VALU_DEP_2) | instskip(SKIP_1) | instid1(VALU_DEP_1)
	v_cmp_ne_u32_e32 vcc_lo, 0, v66
	v_and_b32_e32 v83, 0xf8, v83
	v_or3_b32 v10, v83, v10, v86
	s_delay_alu instid0(VALU_DEP_1)
	v_cndmask_b32_e32 v158, 0, v10, vcc_lo
.LBB6_10708:                            ;   in Loop: Header=BB6_9656 Depth=2
	s_or_b32 exec_lo, exec_lo, s24
.LBB6_10709:                            ;   in Loop: Header=BB6_9656 Depth=2
	s_delay_alu instid0(SALU_CYCLE_1) | instskip(SKIP_3) | instid1(VALU_DEP_1)
	s_or_b32 exec_lo, exec_lo, s23
	v_lshrrev_b32_e32 v10, 24, v11
	s_mov_b32 s10, 0
	s_mov_b32 s24, exec_lo
                                        ; implicit-def: $sgpr23
	v_cmpx_lt_i16_e32 0x7f, v10
	s_xor_b32 s24, exec_lo, s24
	s_cbranch_execnz .LBB6_11547
; %bb.10710:                            ;   in Loop: Header=BB6_9656 Depth=2
	s_or_saveexec_b32 s24, s24
	v_mov_b32_e32 v66, s23
	s_xor_b32 exec_lo, exec_lo, s24
	s_cbranch_execnz .LBB6_11550
.LBB6_10711:                            ;   in Loop: Header=BB6_9656 Depth=2
	s_or_b32 exec_lo, exec_lo, s24
	s_and_saveexec_b32 s23, s10
	s_cbranch_execz .LBB6_10713
.LBB6_10712:                            ;   in Loop: Header=BB6_9656 Depth=2
	v_bfe_u32 v66, v11, 24, 3
	s_delay_alu instid0(VALU_DEP_1) | instskip(NEXT) | instid1(VALU_DEP_1)
	v_clz_i32_u32_e32 v82, v66
	v_min_u32_e32 v82, 32, v82
	s_delay_alu instid0(VALU_DEP_1) | instskip(SKIP_1) | instid1(VALU_DEP_2)
	v_subrev_nc_u32_e32 v83, 28, v82
	v_sub_nc_u32_e32 v82, 29, v82
	v_lshlrev_b32_e32 v10, v83, v10
	v_bfe_u32 v83, v11, 27, 4
	v_and_b32_e32 v11, 0x80000000, v11
	s_delay_alu instid0(VALU_DEP_3) | instskip(NEXT) | instid1(VALU_DEP_3)
	v_and_b32_e32 v10, 7, v10
	v_cmp_eq_u32_e32 vcc_lo, 0, v83
	v_cndmask_b32_e32 v82, v83, v82, vcc_lo
	s_delay_alu instid0(VALU_DEP_3) | instskip(NEXT) | instid1(VALU_DEP_2)
	v_cndmask_b32_e32 v10, v66, v10, vcc_lo
	v_lshl_add_u32 v66, v82, 23, 0x3b800000
	s_delay_alu instid0(VALU_DEP_2) | instskip(NEXT) | instid1(VALU_DEP_1)
	v_lshlrev_b32_e32 v10, 20, v10
	v_or3_b32 v66, v11, v66, v10
.LBB6_10713:                            ;   in Loop: Header=BB6_9656 Depth=2
	s_or_b32 exec_lo, exec_lo, s23
	s_delay_alu instid0(VALU_DEP_1) | instskip(SKIP_1) | instid1(VALU_DEP_1)
	v_dual_mul_f32 v10, s22, v66 :: v_dual_mov_b32 v83, 0x8000
	s_mov_b32 s23, exec_lo
	v_and_b32_e32 v11, 0x7f800000, v10
	s_delay_alu instid0(VALU_DEP_1)
	v_cmpx_ne_u32_e32 0x7f800000, v11
	s_cbranch_execz .LBB6_10721
; %bb.10714:                            ;   in Loop: Header=BB6_9656 Depth=2
	v_mov_b32_e32 v83, 0
	s_mov_b32 s24, exec_lo
	v_cmpx_ne_u32_e32 0, v10
	s_cbranch_execz .LBB6_10720
; %bb.10715:                            ;   in Loop: Header=BB6_9656 Depth=2
	v_bfe_u32 v11, v10, 23, 8
	v_and_b32_e32 v66, 0x7fffff, v10
	s_delay_alu instid0(VALU_DEP_2) | instskip(SKIP_1) | instid1(VALU_DEP_3)
	v_sub_nc_u32_e32 v82, 0x78, v11
	v_cmp_gt_u32_e32 vcc_lo, 0x79, v11
	v_or_b32_e32 v83, 0x800000, v66
	s_delay_alu instid0(VALU_DEP_3) | instskip(SKIP_2) | instid1(VALU_DEP_3)
	v_cndmask_b32_e32 v82, 0, v82, vcc_lo
	v_cmp_eq_u32_e32 vcc_lo, 0, v11
	v_add_nc_u32_e32 v11, 0xffffff89, v11
	v_cndmask_b32_e64 v82, v82, 0x77, vcc_lo
	v_cndmask_b32_e32 v66, v83, v66, vcc_lo
	s_delay_alu instid0(VALU_DEP_3) | instskip(NEXT) | instid1(VALU_DEP_3)
	v_cndmask_b32_e64 v11, v11, 0xffffff8a, vcc_lo
	v_lshl_add_u32 v83, 0x100000, v82, -1
	s_delay_alu instid0(VALU_DEP_3) | instskip(SKIP_1) | instid1(VALU_DEP_4)
	v_lshrrev_b32_e32 v86, v82, v66
	v_lshlrev_b32_e64 v96, v82, 0x80000
	v_add_nc_u32_e32 v82, v82, v11
	s_delay_alu instid0(VALU_DEP_4) | instskip(NEXT) | instid1(VALU_DEP_4)
	v_and_b32_e32 v66, v83, v66
	v_bfe_u32 v87, v86, 20, 1
	s_delay_alu instid0(VALU_DEP_2) | instskip(NEXT) | instid1(VALU_DEP_2)
	v_cmp_eq_u32_e64 s10, v66, v96
	v_add_nc_u32_e32 v83, -1, v87
	s_delay_alu instid0(VALU_DEP_1) | instskip(SKIP_2) | instid1(VALU_DEP_2)
	v_cndmask_b32_e64 v66, 0, v83, s10
	v_lshrrev_b32_e32 v83, 23, v86
	s_mov_b32 s10, exec_lo
	v_add_nc_u32_e32 v66, v66, v86
	s_delay_alu instid0(VALU_DEP_2) | instskip(NEXT) | instid1(VALU_DEP_2)
	v_xor_b32_e32 v83, 1, v83
	v_and_b32_e32 v11, 0xfffff, v66
	s_delay_alu instid0(VALU_DEP_1) | instskip(NEXT) | instid1(VALU_DEP_3)
	v_add_nc_u32_e32 v66, v11, v86
                                        ; implicit-def: $vgpr11
	v_cmpx_ne_u32_e64 v82, v83
	s_xor_b32 s10, exec_lo, s10
; %bb.10716:                            ;   in Loop: Header=BB6_9656 Depth=2
	s_delay_alu instid0(VALU_DEP_2) | instskip(SKIP_2) | instid1(VALU_DEP_2)
	v_cmp_lt_u32_e32 vcc_lo, 0xffffff, v66
	v_sub_nc_u32_e32 v11, v82, v83
	v_cndmask_b32_e64 v82, 0, 1, vcc_lo
	v_add_co_ci_u32_e32 v11, vcc_lo, 0, v11, vcc_lo
	s_delay_alu instid0(VALU_DEP_2)
	v_lshrrev_b32_e32 v66, v82, v66
; %bb.10717:                            ;   in Loop: Header=BB6_9656 Depth=2
	s_and_not1_saveexec_b32 s10, s10
; %bb.10718:                            ;   in Loop: Header=BB6_9656 Depth=2
	s_delay_alu instid0(VALU_DEP_1)
	v_bfe_u32 v11, v66, 23, 1
; %bb.10719:                            ;   in Loop: Header=BB6_9656 Depth=2
	s_or_b32 exec_lo, exec_lo, s10
	v_lshrrev_b32_e32 v66, 20, v66
	s_delay_alu instid0(VALU_DEP_2) | instskip(SKIP_2) | instid1(VALU_DEP_3)
	v_min_i32_e32 v82, 15, v11
	v_cmp_gt_i32_e32 vcc_lo, 16, v11
	v_lshrrev_b32_e32 v10, 24, v10
	v_lshlrev_b32_e32 v82, 3, v82
	v_cndmask_b32_e32 v66, 7, v66, vcc_lo
	s_delay_alu instid0(VALU_DEP_3) | instskip(NEXT) | instid1(VALU_DEP_3)
	v_and_b32_e32 v10, 0x80, v10
	v_and_b32_e32 v82, 0xf8, v82
	s_delay_alu instid0(VALU_DEP_3) | instskip(SKIP_1) | instid1(VALU_DEP_2)
	v_and_b32_e32 v83, 7, v66
	v_or_b32_e32 v11, v11, v66
	v_or3_b32 v10, v10, v82, v83
	s_delay_alu instid0(VALU_DEP_2) | instskip(NEXT) | instid1(VALU_DEP_2)
	v_cmp_ne_u32_e32 vcc_lo, 0, v11
	v_lshlrev_b32_e32 v10, 8, v10
	s_delay_alu instid0(VALU_DEP_1)
	v_cndmask_b32_e32 v83, 0, v10, vcc_lo
.LBB6_10720:                            ;   in Loop: Header=BB6_9656 Depth=2
	s_or_b32 exec_lo, exec_lo, s24
.LBB6_10721:                            ;   in Loop: Header=BB6_9656 Depth=2
	s_delay_alu instid0(SALU_CYCLE_1) | instskip(SKIP_3) | instid1(VALU_DEP_1)
	s_or_b32 exec_lo, exec_lo, s23
	v_and_b32_e32 v11, 0xff, v12
	s_mov_b32 s10, 0
	s_mov_b32 s24, exec_lo
                                        ; implicit-def: $sgpr23
	v_cmpx_lt_i16_e32 0x7f, v11
	s_xor_b32 s24, exec_lo, s24
	s_cbranch_execnz .LBB6_11551
; %bb.10722:                            ;   in Loop: Header=BB6_9656 Depth=2
	s_or_saveexec_b32 s24, s24
	v_mov_b32_e32 v10, s23
	s_xor_b32 exec_lo, exec_lo, s24
	s_cbranch_execnz .LBB6_11554
.LBB6_10723:                            ;   in Loop: Header=BB6_9656 Depth=2
	s_or_b32 exec_lo, exec_lo, s24
	s_and_saveexec_b32 s23, s10
	s_cbranch_execz .LBB6_10725
.LBB6_10724:                            ;   in Loop: Header=BB6_9656 Depth=2
	v_bfe_u32 v82, v12, 3, 4
	v_lshlrev_b32_e32 v86, 24, v12
	s_delay_alu instid0(VALU_DEP_2) | instskip(SKIP_1) | instid1(VALU_DEP_1)
	v_cmp_eq_u32_e32 vcc_lo, 0, v82
	v_and_b32_e32 v10, 7, v12
	v_clz_i32_u32_e32 v11, v10
	s_delay_alu instid0(VALU_DEP_1) | instskip(NEXT) | instid1(VALU_DEP_1)
	v_min_u32_e32 v11, 32, v11
	v_subrev_nc_u32_e32 v66, 28, v11
	v_sub_nc_u32_e32 v11, 29, v11
	s_delay_alu instid0(VALU_DEP_2) | instskip(NEXT) | instid1(VALU_DEP_1)
	v_lshlrev_b32_e32 v66, v66, v12
	v_dual_cndmask_b32 v11, v82, v11 :: v_dual_and_b32 v66, 7, v66
	s_delay_alu instid0(VALU_DEP_1) | instskip(NEXT) | instid1(VALU_DEP_2)
	v_lshl_add_u32 v11, v11, 23, 0x3b800000
	v_cndmask_b32_e32 v10, v10, v66, vcc_lo
	v_and_b32_e32 v66, 0x80000000, v86
	s_delay_alu instid0(VALU_DEP_2) | instskip(NEXT) | instid1(VALU_DEP_1)
	v_lshlrev_b32_e32 v10, 20, v10
	v_or3_b32 v10, v66, v11, v10
.LBB6_10725:                            ;   in Loop: Header=BB6_9656 Depth=2
	s_or_b32 exec_lo, exec_lo, s23
	s_delay_alu instid0(VALU_DEP_1) | instskip(SKIP_2) | instid1(VALU_DEP_2)
	v_mul_f32_e32 v10, s22, v10
	v_mov_b32_e32 v110, 0x80
	s_mov_b32 s23, exec_lo
	v_and_b32_e32 v11, 0x7f800000, v10
	s_delay_alu instid0(VALU_DEP_1)
	v_cmpx_ne_u32_e32 0x7f800000, v11
	s_cbranch_execz .LBB6_10733
; %bb.10726:                            ;   in Loop: Header=BB6_9656 Depth=2
	v_mov_b32_e32 v110, 0
	s_mov_b32 s24, exec_lo
	v_cmpx_ne_u32_e32 0, v10
	s_cbranch_execz .LBB6_10732
; %bb.10727:                            ;   in Loop: Header=BB6_9656 Depth=2
	v_bfe_u32 v11, v10, 23, 8
	v_and_b32_e32 v66, 0x7fffff, v10
	s_delay_alu instid0(VALU_DEP_2) | instskip(SKIP_1) | instid1(VALU_DEP_3)
	v_sub_nc_u32_e32 v82, 0x78, v11
	v_cmp_gt_u32_e32 vcc_lo, 0x79, v11
	v_or_b32_e32 v86, 0x800000, v66
	s_delay_alu instid0(VALU_DEP_3) | instskip(SKIP_2) | instid1(VALU_DEP_3)
	v_cndmask_b32_e32 v82, 0, v82, vcc_lo
	v_cmp_eq_u32_e32 vcc_lo, 0, v11
	v_add_nc_u32_e32 v11, 0xffffff89, v11
	v_cndmask_b32_e64 v82, v82, 0x77, vcc_lo
	v_cndmask_b32_e32 v66, v86, v66, vcc_lo
	s_delay_alu instid0(VALU_DEP_3) | instskip(NEXT) | instid1(VALU_DEP_3)
	v_cndmask_b32_e64 v11, v11, 0xffffff8a, vcc_lo
	v_lshl_add_u32 v86, 0x100000, v82, -1
	s_delay_alu instid0(VALU_DEP_3) | instskip(SKIP_1) | instid1(VALU_DEP_4)
	v_lshrrev_b32_e32 v87, v82, v66
	v_lshlrev_b32_e64 v97, v82, 0x80000
	v_add_nc_u32_e32 v82, v82, v11
	s_delay_alu instid0(VALU_DEP_4) | instskip(NEXT) | instid1(VALU_DEP_4)
	v_and_b32_e32 v66, v86, v66
	v_bfe_u32 v96, v87, 20, 1
	s_delay_alu instid0(VALU_DEP_2) | instskip(NEXT) | instid1(VALU_DEP_2)
	v_cmp_eq_u32_e64 s10, v66, v97
	v_add_nc_u32_e32 v86, -1, v96
	s_delay_alu instid0(VALU_DEP_1) | instskip(SKIP_2) | instid1(VALU_DEP_2)
	v_cndmask_b32_e64 v66, 0, v86, s10
	v_lshrrev_b32_e32 v86, 23, v87
	s_mov_b32 s10, exec_lo
	v_add_nc_u32_e32 v66, v66, v87
	s_delay_alu instid0(VALU_DEP_2) | instskip(NEXT) | instid1(VALU_DEP_2)
	v_xor_b32_e32 v86, 1, v86
	v_and_b32_e32 v11, 0xfffff, v66
	s_delay_alu instid0(VALU_DEP_1) | instskip(NEXT) | instid1(VALU_DEP_3)
	v_add_nc_u32_e32 v66, v11, v87
                                        ; implicit-def: $vgpr11
	v_cmpx_ne_u32_e64 v82, v86
	s_xor_b32 s10, exec_lo, s10
; %bb.10728:                            ;   in Loop: Header=BB6_9656 Depth=2
	s_delay_alu instid0(VALU_DEP_2) | instskip(SKIP_2) | instid1(VALU_DEP_2)
	v_cmp_lt_u32_e32 vcc_lo, 0xffffff, v66
	v_sub_nc_u32_e32 v11, v82, v86
	v_cndmask_b32_e64 v82, 0, 1, vcc_lo
	v_add_co_ci_u32_e32 v11, vcc_lo, 0, v11, vcc_lo
	s_delay_alu instid0(VALU_DEP_2)
	v_lshrrev_b32_e32 v66, v82, v66
; %bb.10729:                            ;   in Loop: Header=BB6_9656 Depth=2
	s_and_not1_saveexec_b32 s10, s10
; %bb.10730:                            ;   in Loop: Header=BB6_9656 Depth=2
	s_delay_alu instid0(VALU_DEP_1)
	v_bfe_u32 v11, v66, 23, 1
; %bb.10731:                            ;   in Loop: Header=BB6_9656 Depth=2
	s_or_b32 exec_lo, exec_lo, s10
	v_lshrrev_b32_e32 v66, 20, v66
	s_delay_alu instid0(VALU_DEP_2) | instskip(SKIP_2) | instid1(VALU_DEP_4)
	v_cmp_gt_i32_e32 vcc_lo, 16, v11
	v_lshrrev_b32_e32 v10, 24, v10
	v_min_i32_e32 v82, 15, v11
	v_cndmask_b32_e32 v66, 7, v66, vcc_lo
	s_delay_alu instid0(VALU_DEP_3) | instskip(NEXT) | instid1(VALU_DEP_3)
	v_and_b32_e32 v10, 0x80, v10
	v_lshlrev_b32_e32 v82, 3, v82
	s_delay_alu instid0(VALU_DEP_3) | instskip(SKIP_1) | instid1(VALU_DEP_2)
	v_and_b32_e32 v86, 7, v66
	v_or_b32_e32 v11, v11, v66
	v_or3_b32 v10, v82, v10, v86
	s_delay_alu instid0(VALU_DEP_2) | instskip(NEXT) | instid1(VALU_DEP_2)
	v_cmp_ne_u32_e32 vcc_lo, 0, v11
	v_cndmask_b32_e32 v110, 0, v10, vcc_lo
.LBB6_10732:                            ;   in Loop: Header=BB6_9656 Depth=2
	s_or_b32 exec_lo, exec_lo, s24
.LBB6_10733:                            ;   in Loop: Header=BB6_9656 Depth=2
	s_delay_alu instid0(SALU_CYCLE_1) | instskip(SKIP_3) | instid1(VALU_DEP_1)
	s_or_b32 exec_lo, exec_lo, s23
	v_lshrrev_b16 v10, 8, v12
	s_mov_b32 s10, 0
	s_mov_b32 s24, exec_lo
                                        ; implicit-def: $sgpr23
	v_cmpx_lt_i16_e32 0x7f, v10
	s_xor_b32 s24, exec_lo, s24
	s_cbranch_execnz .LBB6_11555
; %bb.10734:                            ;   in Loop: Header=BB6_9656 Depth=2
	s_or_saveexec_b32 s24, s24
	v_mov_b32_e32 v11, s23
	s_xor_b32 exec_lo, exec_lo, s24
	s_cbranch_execnz .LBB6_11558
.LBB6_10735:                            ;   in Loop: Header=BB6_9656 Depth=2
	s_or_b32 exec_lo, exec_lo, s24
	s_and_saveexec_b32 s23, s10
	s_cbranch_execz .LBB6_10737
.LBB6_10736:                            ;   in Loop: Header=BB6_9656 Depth=2
	v_and_b32_e32 v11, 0xffff, v10
	v_lshlrev_b32_e32 v10, 24, v10
	s_delay_alu instid0(VALU_DEP_2) | instskip(NEXT) | instid1(VALU_DEP_2)
	v_and_b32_e32 v66, 7, v11
	v_and_b32_e32 v10, 0x80000000, v10
	s_delay_alu instid0(VALU_DEP_2) | instskip(NEXT) | instid1(VALU_DEP_1)
	v_clz_i32_u32_e32 v82, v66
	v_min_u32_e32 v82, 32, v82
	s_delay_alu instid0(VALU_DEP_1) | instskip(SKIP_1) | instid1(VALU_DEP_2)
	v_subrev_nc_u32_e32 v86, 28, v82
	v_sub_nc_u32_e32 v82, 29, v82
	v_lshlrev_b32_e32 v86, v86, v11
	v_bfe_u32 v11, v11, 3, 4
	s_delay_alu instid0(VALU_DEP_2) | instskip(NEXT) | instid1(VALU_DEP_2)
	v_and_b32_e32 v86, 7, v86
	v_cmp_eq_u32_e32 vcc_lo, 0, v11
	v_cndmask_b32_e32 v11, v11, v82, vcc_lo
	s_delay_alu instid0(VALU_DEP_3) | instskip(NEXT) | instid1(VALU_DEP_2)
	v_cndmask_b32_e32 v66, v66, v86, vcc_lo
	v_lshl_add_u32 v11, v11, 23, 0x3b800000
	s_delay_alu instid0(VALU_DEP_2) | instskip(NEXT) | instid1(VALU_DEP_1)
	v_lshlrev_b32_e32 v66, 20, v66
	v_or3_b32 v11, v10, v11, v66
.LBB6_10737:                            ;   in Loop: Header=BB6_9656 Depth=2
	s_or_b32 exec_lo, exec_lo, s23
	s_delay_alu instid0(VALU_DEP_1) | instskip(SKIP_2) | instid1(VALU_DEP_2)
	v_mul_f32_e32 v10, s22, v11
	v_mov_b32_e32 v86, 0x80
	s_mov_b32 s23, exec_lo
	v_and_b32_e32 v11, 0x7f800000, v10
	s_delay_alu instid0(VALU_DEP_1)
	v_cmpx_ne_u32_e32 0x7f800000, v11
	s_cbranch_execz .LBB6_10745
; %bb.10738:                            ;   in Loop: Header=BB6_9656 Depth=2
	v_mov_b32_e32 v86, 0
	s_mov_b32 s24, exec_lo
	v_cmpx_ne_u32_e32 0, v10
	s_cbranch_execz .LBB6_10744
; %bb.10739:                            ;   in Loop: Header=BB6_9656 Depth=2
	v_bfe_u32 v11, v10, 23, 8
	v_and_b32_e32 v66, 0x7fffff, v10
	s_delay_alu instid0(VALU_DEP_2) | instskip(SKIP_1) | instid1(VALU_DEP_3)
	v_sub_nc_u32_e32 v82, 0x78, v11
	v_cmp_gt_u32_e32 vcc_lo, 0x79, v11
	v_or_b32_e32 v86, 0x800000, v66
	s_delay_alu instid0(VALU_DEP_3) | instskip(SKIP_2) | instid1(VALU_DEP_3)
	v_cndmask_b32_e32 v82, 0, v82, vcc_lo
	v_cmp_eq_u32_e32 vcc_lo, 0, v11
	v_add_nc_u32_e32 v11, 0xffffff89, v11
	v_cndmask_b32_e64 v82, v82, 0x77, vcc_lo
	v_cndmask_b32_e32 v66, v86, v66, vcc_lo
	s_delay_alu instid0(VALU_DEP_3) | instskip(NEXT) | instid1(VALU_DEP_3)
	v_cndmask_b32_e64 v11, v11, 0xffffff8a, vcc_lo
	v_lshl_add_u32 v86, 0x100000, v82, -1
	s_delay_alu instid0(VALU_DEP_3) | instskip(SKIP_1) | instid1(VALU_DEP_4)
	v_lshrrev_b32_e32 v87, v82, v66
	v_lshlrev_b32_e64 v97, v82, 0x80000
	v_add_nc_u32_e32 v82, v82, v11
	s_delay_alu instid0(VALU_DEP_4) | instskip(NEXT) | instid1(VALU_DEP_4)
	v_and_b32_e32 v66, v86, v66
	v_bfe_u32 v96, v87, 20, 1
	s_delay_alu instid0(VALU_DEP_2) | instskip(NEXT) | instid1(VALU_DEP_2)
	v_cmp_eq_u32_e64 s10, v66, v97
	v_add_nc_u32_e32 v86, -1, v96
	s_delay_alu instid0(VALU_DEP_1) | instskip(SKIP_2) | instid1(VALU_DEP_2)
	v_cndmask_b32_e64 v66, 0, v86, s10
	v_lshrrev_b32_e32 v86, 23, v87
	s_mov_b32 s10, exec_lo
	v_add_nc_u32_e32 v66, v66, v87
	s_delay_alu instid0(VALU_DEP_2) | instskip(NEXT) | instid1(VALU_DEP_2)
	v_xor_b32_e32 v86, 1, v86
	v_and_b32_e32 v11, 0xfffff, v66
	s_delay_alu instid0(VALU_DEP_1) | instskip(NEXT) | instid1(VALU_DEP_3)
	v_add_nc_u32_e32 v66, v11, v87
                                        ; implicit-def: $vgpr11
	v_cmpx_ne_u32_e64 v82, v86
	s_xor_b32 s10, exec_lo, s10
; %bb.10740:                            ;   in Loop: Header=BB6_9656 Depth=2
	s_delay_alu instid0(VALU_DEP_2) | instskip(SKIP_2) | instid1(VALU_DEP_2)
	v_cmp_lt_u32_e32 vcc_lo, 0xffffff, v66
	v_sub_nc_u32_e32 v11, v82, v86
	v_cndmask_b32_e64 v82, 0, 1, vcc_lo
	v_add_co_ci_u32_e32 v11, vcc_lo, 0, v11, vcc_lo
	s_delay_alu instid0(VALU_DEP_2)
	v_lshrrev_b32_e32 v66, v82, v66
; %bb.10741:                            ;   in Loop: Header=BB6_9656 Depth=2
	s_and_not1_saveexec_b32 s10, s10
; %bb.10742:                            ;   in Loop: Header=BB6_9656 Depth=2
	s_delay_alu instid0(VALU_DEP_1)
	v_bfe_u32 v11, v66, 23, 1
; %bb.10743:                            ;   in Loop: Header=BB6_9656 Depth=2
	s_or_b32 exec_lo, exec_lo, s10
	v_lshrrev_b32_e32 v66, 20, v66
	s_delay_alu instid0(VALU_DEP_2) | instskip(SKIP_2) | instid1(VALU_DEP_4)
	v_cmp_gt_i32_e32 vcc_lo, 16, v11
	v_lshrrev_b32_e32 v10, 24, v10
	v_min_i32_e32 v82, 15, v11
	v_cndmask_b32_e32 v66, 7, v66, vcc_lo
	s_delay_alu instid0(VALU_DEP_3) | instskip(NEXT) | instid1(VALU_DEP_3)
	v_and_b32_e32 v10, 0x80, v10
	v_lshlrev_b32_e32 v82, 3, v82
	s_delay_alu instid0(VALU_DEP_3) | instskip(SKIP_1) | instid1(VALU_DEP_2)
	v_and_b32_e32 v86, 7, v66
	v_or_b32_e32 v11, v11, v66
	v_or3_b32 v10, v82, v10, v86
	s_delay_alu instid0(VALU_DEP_2) | instskip(NEXT) | instid1(VALU_DEP_2)
	v_cmp_ne_u32_e32 vcc_lo, 0, v11
	v_cndmask_b32_e32 v86, 0, v10, vcc_lo
.LBB6_10744:                            ;   in Loop: Header=BB6_9656 Depth=2
	s_or_b32 exec_lo, exec_lo, s24
.LBB6_10745:                            ;   in Loop: Header=BB6_9656 Depth=2
	s_delay_alu instid0(SALU_CYCLE_1) | instskip(SKIP_3) | instid1(VALU_DEP_1)
	s_or_b32 exec_lo, exec_lo, s23
	v_lshrrev_b32_e32 v10, 16, v12
	s_mov_b32 s10, 0
	s_mov_b32 s24, exec_lo
                                        ; implicit-def: $sgpr23
	v_and_b32_e32 v66, 0xff, v10
	s_delay_alu instid0(VALU_DEP_1)
	v_cmpx_lt_i16_e32 0x7f, v66
	s_xor_b32 s24, exec_lo, s24
	s_cbranch_execnz .LBB6_11559
; %bb.10746:                            ;   in Loop: Header=BB6_9656 Depth=2
	s_or_saveexec_b32 s24, s24
	v_mov_b32_e32 v11, s23
	s_xor_b32 exec_lo, exec_lo, s24
	s_cbranch_execnz .LBB6_11562
.LBB6_10747:                            ;   in Loop: Header=BB6_9656 Depth=2
	s_or_b32 exec_lo, exec_lo, s24
	s_and_saveexec_b32 s23, s10
	s_cbranch_execz .LBB6_10749
.LBB6_10748:                            ;   in Loop: Header=BB6_9656 Depth=2
	v_bfe_u32 v11, v12, 16, 3
	s_delay_alu instid0(VALU_DEP_1) | instskip(NEXT) | instid1(VALU_DEP_1)
	v_clz_i32_u32_e32 v66, v11
	v_min_u32_e32 v66, 32, v66
	s_delay_alu instid0(VALU_DEP_1) | instskip(SKIP_1) | instid1(VALU_DEP_2)
	v_subrev_nc_u32_e32 v82, 28, v66
	v_sub_nc_u32_e32 v66, 29, v66
	v_lshlrev_b32_e32 v10, v82, v10
	v_bfe_u32 v82, v12, 19, 4
	s_delay_alu instid0(VALU_DEP_2) | instskip(NEXT) | instid1(VALU_DEP_2)
	v_and_b32_e32 v10, 7, v10
	v_cmp_eq_u32_e32 vcc_lo, 0, v82
	v_dual_cndmask_b32 v66, v82, v66 :: v_dual_lshlrev_b32 v87, 8, v12
	s_delay_alu instid0(VALU_DEP_1) | instskip(NEXT) | instid1(VALU_DEP_2)
	v_dual_cndmask_b32 v10, v11, v10 :: v_dual_and_b32 v11, 0x80000000, v87
	v_lshl_add_u32 v66, v66, 23, 0x3b800000
	s_delay_alu instid0(VALU_DEP_2) | instskip(NEXT) | instid1(VALU_DEP_1)
	v_lshlrev_b32_e32 v10, 20, v10
	v_or3_b32 v11, v11, v66, v10
.LBB6_10749:                            ;   in Loop: Header=BB6_9656 Depth=2
	s_or_b32 exec_lo, exec_lo, s23
	s_delay_alu instid0(VALU_DEP_1) | instskip(SKIP_1) | instid1(VALU_DEP_1)
	v_dual_mul_f32 v10, s22, v11 :: v_dual_mov_b32 v87, 0x80
	s_mov_b32 s23, exec_lo
	v_and_b32_e32 v11, 0x7f800000, v10
	s_delay_alu instid0(VALU_DEP_1)
	v_cmpx_ne_u32_e32 0x7f800000, v11
	s_cbranch_execz .LBB6_10757
; %bb.10750:                            ;   in Loop: Header=BB6_9656 Depth=2
	v_mov_b32_e32 v87, 0
	s_mov_b32 s24, exec_lo
	v_cmpx_ne_u32_e32 0, v10
	s_cbranch_execz .LBB6_10756
; %bb.10751:                            ;   in Loop: Header=BB6_9656 Depth=2
	v_bfe_u32 v11, v10, 23, 8
	v_and_b32_e32 v66, 0x7fffff, v10
	s_delay_alu instid0(VALU_DEP_2) | instskip(SKIP_1) | instid1(VALU_DEP_3)
	v_sub_nc_u32_e32 v82, 0x78, v11
	v_cmp_gt_u32_e32 vcc_lo, 0x79, v11
	v_or_b32_e32 v87, 0x800000, v66
	s_delay_alu instid0(VALU_DEP_3) | instskip(SKIP_2) | instid1(VALU_DEP_3)
	v_cndmask_b32_e32 v82, 0, v82, vcc_lo
	v_cmp_eq_u32_e32 vcc_lo, 0, v11
	v_add_nc_u32_e32 v11, 0xffffff89, v11
	v_cndmask_b32_e64 v82, v82, 0x77, vcc_lo
	v_cndmask_b32_e32 v66, v87, v66, vcc_lo
	s_delay_alu instid0(VALU_DEP_3) | instskip(NEXT) | instid1(VALU_DEP_3)
	v_cndmask_b32_e64 v11, v11, 0xffffff8a, vcc_lo
	v_lshl_add_u32 v87, 0x100000, v82, -1
	s_delay_alu instid0(VALU_DEP_3) | instskip(SKIP_1) | instid1(VALU_DEP_4)
	v_lshrrev_b32_e32 v96, v82, v66
	v_lshlrev_b32_e64 v98, v82, 0x80000
	v_add_nc_u32_e32 v82, v82, v11
	s_delay_alu instid0(VALU_DEP_4) | instskip(NEXT) | instid1(VALU_DEP_4)
	v_and_b32_e32 v66, v87, v66
	v_bfe_u32 v97, v96, 20, 1
	s_delay_alu instid0(VALU_DEP_2) | instskip(NEXT) | instid1(VALU_DEP_2)
	v_cmp_eq_u32_e64 s10, v66, v98
	v_add_nc_u32_e32 v87, -1, v97
	s_delay_alu instid0(VALU_DEP_1) | instskip(SKIP_2) | instid1(VALU_DEP_2)
	v_cndmask_b32_e64 v66, 0, v87, s10
	v_lshrrev_b32_e32 v87, 23, v96
	s_mov_b32 s10, exec_lo
	v_add_nc_u32_e32 v66, v66, v96
	s_delay_alu instid0(VALU_DEP_2) | instskip(NEXT) | instid1(VALU_DEP_2)
	v_xor_b32_e32 v87, 1, v87
	v_and_b32_e32 v11, 0xfffff, v66
	s_delay_alu instid0(VALU_DEP_1) | instskip(NEXT) | instid1(VALU_DEP_3)
	v_add_nc_u32_e32 v66, v11, v96
                                        ; implicit-def: $vgpr11
	v_cmpx_ne_u32_e64 v82, v87
	s_xor_b32 s10, exec_lo, s10
; %bb.10752:                            ;   in Loop: Header=BB6_9656 Depth=2
	s_delay_alu instid0(VALU_DEP_2) | instskip(SKIP_2) | instid1(VALU_DEP_2)
	v_cmp_lt_u32_e32 vcc_lo, 0xffffff, v66
	v_sub_nc_u32_e32 v11, v82, v87
	v_cndmask_b32_e64 v82, 0, 1, vcc_lo
	v_add_co_ci_u32_e32 v11, vcc_lo, 0, v11, vcc_lo
	s_delay_alu instid0(VALU_DEP_2)
	v_lshrrev_b32_e32 v66, v82, v66
; %bb.10753:                            ;   in Loop: Header=BB6_9656 Depth=2
	s_and_not1_saveexec_b32 s10, s10
; %bb.10754:                            ;   in Loop: Header=BB6_9656 Depth=2
	s_delay_alu instid0(VALU_DEP_1)
	v_bfe_u32 v11, v66, 23, 1
; %bb.10755:                            ;   in Loop: Header=BB6_9656 Depth=2
	s_or_b32 exec_lo, exec_lo, s10
	v_lshrrev_b32_e32 v66, 20, v66
	s_delay_alu instid0(VALU_DEP_2) | instskip(SKIP_2) | instid1(VALU_DEP_4)
	v_cmp_gt_i32_e32 vcc_lo, 16, v11
	v_lshrrev_b32_e32 v10, 24, v10
	v_min_i32_e32 v82, 15, v11
	v_cndmask_b32_e32 v66, 7, v66, vcc_lo
	s_delay_alu instid0(VALU_DEP_3) | instskip(NEXT) | instid1(VALU_DEP_3)
	v_and_b32_e32 v10, 0x80, v10
	v_lshlrev_b32_e32 v82, 3, v82
	s_delay_alu instid0(VALU_DEP_3) | instskip(SKIP_1) | instid1(VALU_DEP_2)
	v_and_b32_e32 v87, 7, v66
	v_or_b32_e32 v11, v11, v66
	v_or3_b32 v10, v82, v10, v87
	s_delay_alu instid0(VALU_DEP_2) | instskip(NEXT) | instid1(VALU_DEP_2)
	v_cmp_ne_u32_e32 vcc_lo, 0, v11
	v_cndmask_b32_e32 v87, 0, v10, vcc_lo
.LBB6_10756:                            ;   in Loop: Header=BB6_9656 Depth=2
	s_or_b32 exec_lo, exec_lo, s24
.LBB6_10757:                            ;   in Loop: Header=BB6_9656 Depth=2
	s_delay_alu instid0(SALU_CYCLE_1) | instskip(SKIP_3) | instid1(VALU_DEP_1)
	s_or_b32 exec_lo, exec_lo, s23
	v_lshrrev_b32_e32 v10, 24, v12
	s_mov_b32 s10, 0
	s_mov_b32 s24, exec_lo
                                        ; implicit-def: $sgpr23
	v_cmpx_lt_i16_e32 0x7f, v10
	s_xor_b32 s24, exec_lo, s24
	s_cbranch_execnz .LBB6_11563
; %bb.10758:                            ;   in Loop: Header=BB6_9656 Depth=2
	s_or_saveexec_b32 s24, s24
	v_mov_b32_e32 v11, s23
	s_xor_b32 exec_lo, exec_lo, s24
	s_cbranch_execnz .LBB6_11566
.LBB6_10759:                            ;   in Loop: Header=BB6_9656 Depth=2
	s_or_b32 exec_lo, exec_lo, s24
	s_and_saveexec_b32 s23, s10
	s_cbranch_execz .LBB6_10761
.LBB6_10760:                            ;   in Loop: Header=BB6_9656 Depth=2
	v_bfe_u32 v11, v12, 24, 3
	s_delay_alu instid0(VALU_DEP_1) | instskip(NEXT) | instid1(VALU_DEP_1)
	v_clz_i32_u32_e32 v66, v11
	v_min_u32_e32 v66, 32, v66
	s_delay_alu instid0(VALU_DEP_1) | instskip(SKIP_1) | instid1(VALU_DEP_2)
	v_subrev_nc_u32_e32 v82, 28, v66
	v_sub_nc_u32_e32 v66, 29, v66
	v_lshlrev_b32_e32 v10, v82, v10
	v_bfe_u32 v82, v12, 27, 4
	s_delay_alu instid0(VALU_DEP_2) | instskip(NEXT) | instid1(VALU_DEP_2)
	v_and_b32_e32 v10, 7, v10
	v_cmp_eq_u32_e32 vcc_lo, 0, v82
	v_cndmask_b32_e32 v66, v82, v66, vcc_lo
	s_delay_alu instid0(VALU_DEP_3) | instskip(NEXT) | instid1(VALU_DEP_2)
	v_dual_cndmask_b32 v10, v11, v10 :: v_dual_and_b32 v11, 0x80000000, v12
	v_lshl_add_u32 v12, v66, 23, 0x3b800000
	s_delay_alu instid0(VALU_DEP_2) | instskip(NEXT) | instid1(VALU_DEP_1)
	v_lshlrev_b32_e32 v10, 20, v10
	v_or3_b32 v11, v11, v12, v10
.LBB6_10761:                            ;   in Loop: Header=BB6_9656 Depth=2
	s_or_b32 exec_lo, exec_lo, s23
	s_delay_alu instid0(VALU_DEP_1) | instskip(SKIP_2) | instid1(VALU_DEP_2)
	v_mul_f32_e32 v10, s22, v11
	v_mov_b32_e32 v96, 0x80
	s_mov_b32 s23, exec_lo
	v_and_b32_e32 v11, 0x7f800000, v10
	s_delay_alu instid0(VALU_DEP_1)
	v_cmpx_ne_u32_e32 0x7f800000, v11
	s_cbranch_execz .LBB6_10769
; %bb.10762:                            ;   in Loop: Header=BB6_9656 Depth=2
	v_mov_b32_e32 v96, 0
	s_mov_b32 s24, exec_lo
	v_cmpx_ne_u32_e32 0, v10
	s_cbranch_execz .LBB6_10768
; %bb.10763:                            ;   in Loop: Header=BB6_9656 Depth=2
	v_bfe_u32 v11, v10, 23, 8
	v_and_b32_e32 v12, 0x7fffff, v10
	s_delay_alu instid0(VALU_DEP_2) | instskip(SKIP_1) | instid1(VALU_DEP_3)
	v_sub_nc_u32_e32 v66, 0x78, v11
	v_cmp_gt_u32_e32 vcc_lo, 0x79, v11
	v_or_b32_e32 v82, 0x800000, v12
	s_delay_alu instid0(VALU_DEP_3) | instskip(SKIP_2) | instid1(VALU_DEP_3)
	v_cndmask_b32_e32 v66, 0, v66, vcc_lo
	v_cmp_eq_u32_e32 vcc_lo, 0, v11
	v_add_nc_u32_e32 v11, 0xffffff89, v11
	v_cndmask_b32_e64 v66, v66, 0x77, vcc_lo
	v_cndmask_b32_e32 v12, v82, v12, vcc_lo
	s_delay_alu instid0(VALU_DEP_3) | instskip(NEXT) | instid1(VALU_DEP_3)
	v_cndmask_b32_e64 v11, v11, 0xffffff8a, vcc_lo
	v_lshl_add_u32 v82, 0x100000, v66, -1
	s_delay_alu instid0(VALU_DEP_3) | instskip(SKIP_1) | instid1(VALU_DEP_4)
	v_lshrrev_b32_e32 v96, v66, v12
	v_lshlrev_b32_e64 v98, v66, 0x80000
	v_add_nc_u32_e32 v66, v66, v11
	s_delay_alu instid0(VALU_DEP_4) | instskip(NEXT) | instid1(VALU_DEP_4)
	v_and_b32_e32 v12, v82, v12
	v_bfe_u32 v97, v96, 20, 1
	s_delay_alu instid0(VALU_DEP_2) | instskip(NEXT) | instid1(VALU_DEP_2)
	v_cmp_eq_u32_e64 s10, v12, v98
	v_add_nc_u32_e32 v82, -1, v97
	s_delay_alu instid0(VALU_DEP_1) | instskip(SKIP_2) | instid1(VALU_DEP_2)
	v_cndmask_b32_e64 v12, 0, v82, s10
	v_lshrrev_b32_e32 v82, 23, v96
	s_mov_b32 s10, exec_lo
	v_add_nc_u32_e32 v12, v12, v96
	s_delay_alu instid0(VALU_DEP_2) | instskip(NEXT) | instid1(VALU_DEP_2)
	v_xor_b32_e32 v82, 1, v82
	v_and_b32_e32 v11, 0xfffff, v12
	s_delay_alu instid0(VALU_DEP_1) | instskip(NEXT) | instid1(VALU_DEP_3)
	v_add_nc_u32_e32 v12, v11, v96
                                        ; implicit-def: $vgpr11
	v_cmpx_ne_u32_e64 v66, v82
	s_xor_b32 s10, exec_lo, s10
; %bb.10764:                            ;   in Loop: Header=BB6_9656 Depth=2
	s_delay_alu instid0(VALU_DEP_2) | instskip(SKIP_2) | instid1(VALU_DEP_2)
	v_cmp_lt_u32_e32 vcc_lo, 0xffffff, v12
	v_sub_nc_u32_e32 v11, v66, v82
	v_cndmask_b32_e64 v66, 0, 1, vcc_lo
	v_add_co_ci_u32_e32 v11, vcc_lo, 0, v11, vcc_lo
	s_delay_alu instid0(VALU_DEP_2)
	v_lshrrev_b32_e32 v12, v66, v12
; %bb.10765:                            ;   in Loop: Header=BB6_9656 Depth=2
	s_and_not1_saveexec_b32 s10, s10
; %bb.10766:                            ;   in Loop: Header=BB6_9656 Depth=2
	s_delay_alu instid0(VALU_DEP_1)
	v_bfe_u32 v11, v12, 23, 1
; %bb.10767:                            ;   in Loop: Header=BB6_9656 Depth=2
	s_or_b32 exec_lo, exec_lo, s10
	v_lshrrev_b32_e32 v12, 20, v12
	s_delay_alu instid0(VALU_DEP_2) | instskip(SKIP_2) | instid1(VALU_DEP_4)
	v_cmp_gt_i32_e32 vcc_lo, 16, v11
	v_lshrrev_b32_e32 v10, 24, v10
	v_min_i32_e32 v66, 15, v11
	v_cndmask_b32_e32 v12, 7, v12, vcc_lo
	s_delay_alu instid0(VALU_DEP_3) | instskip(NEXT) | instid1(VALU_DEP_3)
	v_and_b32_e32 v10, 0x80, v10
	v_lshlrev_b32_e32 v66, 3, v66
	s_delay_alu instid0(VALU_DEP_3) | instskip(SKIP_1) | instid1(VALU_DEP_2)
	v_and_b32_e32 v82, 7, v12
	v_or_b32_e32 v11, v11, v12
	v_or3_b32 v10, v66, v10, v82
	s_delay_alu instid0(VALU_DEP_2) | instskip(NEXT) | instid1(VALU_DEP_2)
	v_cmp_ne_u32_e32 vcc_lo, 0, v11
	v_cndmask_b32_e32 v96, 0, v10, vcc_lo
.LBB6_10768:                            ;   in Loop: Header=BB6_9656 Depth=2
	s_or_b32 exec_lo, exec_lo, s24
.LBB6_10769:                            ;   in Loop: Header=BB6_9656 Depth=2
	s_delay_alu instid0(SALU_CYCLE_1) | instskip(SKIP_3) | instid1(VALU_DEP_1)
	s_or_b32 exec_lo, exec_lo, s23
	v_and_b32_e32 v11, 0xff, v13
	s_mov_b32 s10, 0
	s_mov_b32 s24, exec_lo
                                        ; implicit-def: $sgpr23
	v_cmpx_lt_i16_e32 0x7f, v11
	s_xor_b32 s24, exec_lo, s24
	s_cbranch_execnz .LBB6_11567
; %bb.10770:                            ;   in Loop: Header=BB6_9656 Depth=2
	s_or_saveexec_b32 s24, s24
	v_mov_b32_e32 v10, s23
	s_xor_b32 exec_lo, exec_lo, s24
	s_cbranch_execnz .LBB6_11570
.LBB6_10771:                            ;   in Loop: Header=BB6_9656 Depth=2
	s_or_b32 exec_lo, exec_lo, s24
	s_and_saveexec_b32 s23, s10
	s_cbranch_execz .LBB6_10773
.LBB6_10772:                            ;   in Loop: Header=BB6_9656 Depth=2
	v_bfe_u32 v66, v13, 3, 4
	v_lshlrev_b32_e32 v82, 24, v13
	s_delay_alu instid0(VALU_DEP_2) | instskip(SKIP_1) | instid1(VALU_DEP_1)
	v_cmp_eq_u32_e32 vcc_lo, 0, v66
	v_and_b32_e32 v10, 7, v13
	v_clz_i32_u32_e32 v11, v10
	s_delay_alu instid0(VALU_DEP_1) | instskip(NEXT) | instid1(VALU_DEP_1)
	v_min_u32_e32 v11, 32, v11
	v_subrev_nc_u32_e32 v12, 28, v11
	v_sub_nc_u32_e32 v11, 29, v11
	s_delay_alu instid0(VALU_DEP_1) | instskip(NEXT) | instid1(VALU_DEP_1)
	v_dual_cndmask_b32 v11, v66, v11 :: v_dual_lshlrev_b32 v12, v12, v13
	v_and_b32_e32 v12, 7, v12
	s_delay_alu instid0(VALU_DEP_2) | instskip(NEXT) | instid1(VALU_DEP_2)
	v_lshl_add_u32 v11, v11, 23, 0x3b800000
	v_cndmask_b32_e32 v10, v10, v12, vcc_lo
	v_and_b32_e32 v12, 0x80000000, v82
	s_delay_alu instid0(VALU_DEP_2) | instskip(NEXT) | instid1(VALU_DEP_1)
	v_lshlrev_b32_e32 v10, 20, v10
	v_or3_b32 v10, v12, v11, v10
.LBB6_10773:                            ;   in Loop: Header=BB6_9656 Depth=2
	s_or_b32 exec_lo, exec_lo, s23
	s_delay_alu instid0(VALU_DEP_1) | instskip(SKIP_2) | instid1(VALU_DEP_2)
	v_mul_f32_e32 v10, s22, v10
	v_mov_b32_e32 v82, 0x80
	s_mov_b32 s23, exec_lo
	v_and_b32_e32 v11, 0x7f800000, v10
	s_delay_alu instid0(VALU_DEP_1)
	v_cmpx_ne_u32_e32 0x7f800000, v11
	s_cbranch_execz .LBB6_10781
; %bb.10774:                            ;   in Loop: Header=BB6_9656 Depth=2
	v_mov_b32_e32 v82, 0
	s_mov_b32 s24, exec_lo
	v_cmpx_ne_u32_e32 0, v10
	s_cbranch_execz .LBB6_10780
; %bb.10775:                            ;   in Loop: Header=BB6_9656 Depth=2
	v_bfe_u32 v11, v10, 23, 8
	v_and_b32_e32 v12, 0x7fffff, v10
	s_delay_alu instid0(VALU_DEP_2) | instskip(SKIP_1) | instid1(VALU_DEP_3)
	v_sub_nc_u32_e32 v66, 0x78, v11
	v_cmp_gt_u32_e32 vcc_lo, 0x79, v11
	v_or_b32_e32 v82, 0x800000, v12
	s_delay_alu instid0(VALU_DEP_3) | instskip(SKIP_2) | instid1(VALU_DEP_3)
	v_cndmask_b32_e32 v66, 0, v66, vcc_lo
	v_cmp_eq_u32_e32 vcc_lo, 0, v11
	v_add_nc_u32_e32 v11, 0xffffff89, v11
	v_cndmask_b32_e64 v66, v66, 0x77, vcc_lo
	v_cndmask_b32_e32 v12, v82, v12, vcc_lo
	s_delay_alu instid0(VALU_DEP_3) | instskip(NEXT) | instid1(VALU_DEP_3)
	v_cndmask_b32_e64 v11, v11, 0xffffff8a, vcc_lo
	v_lshl_add_u32 v82, 0x100000, v66, -1
	s_delay_alu instid0(VALU_DEP_3) | instskip(SKIP_1) | instid1(VALU_DEP_4)
	v_lshrrev_b32_e32 v97, v66, v12
	v_lshlrev_b32_e64 v99, v66, 0x80000
	v_add_nc_u32_e32 v66, v66, v11
	s_delay_alu instid0(VALU_DEP_4) | instskip(NEXT) | instid1(VALU_DEP_4)
	v_and_b32_e32 v12, v82, v12
	v_bfe_u32 v98, v97, 20, 1
	s_delay_alu instid0(VALU_DEP_2) | instskip(NEXT) | instid1(VALU_DEP_2)
	v_cmp_eq_u32_e64 s10, v12, v99
	v_add_nc_u32_e32 v82, -1, v98
	s_delay_alu instid0(VALU_DEP_1) | instskip(SKIP_2) | instid1(VALU_DEP_2)
	v_cndmask_b32_e64 v12, 0, v82, s10
	v_lshrrev_b32_e32 v82, 23, v97
	s_mov_b32 s10, exec_lo
	v_add_nc_u32_e32 v12, v12, v97
	s_delay_alu instid0(VALU_DEP_2) | instskip(NEXT) | instid1(VALU_DEP_2)
	v_xor_b32_e32 v82, 1, v82
	v_and_b32_e32 v11, 0xfffff, v12
	s_delay_alu instid0(VALU_DEP_1) | instskip(NEXT) | instid1(VALU_DEP_3)
	v_add_nc_u32_e32 v12, v11, v97
                                        ; implicit-def: $vgpr11
	v_cmpx_ne_u32_e64 v66, v82
	s_xor_b32 s10, exec_lo, s10
; %bb.10776:                            ;   in Loop: Header=BB6_9656 Depth=2
	s_delay_alu instid0(VALU_DEP_2) | instskip(SKIP_2) | instid1(VALU_DEP_2)
	v_cmp_lt_u32_e32 vcc_lo, 0xffffff, v12
	v_sub_nc_u32_e32 v11, v66, v82
	v_cndmask_b32_e64 v66, 0, 1, vcc_lo
	v_add_co_ci_u32_e32 v11, vcc_lo, 0, v11, vcc_lo
	s_delay_alu instid0(VALU_DEP_2)
	v_lshrrev_b32_e32 v12, v66, v12
; %bb.10777:                            ;   in Loop: Header=BB6_9656 Depth=2
	s_and_not1_saveexec_b32 s10, s10
; %bb.10778:                            ;   in Loop: Header=BB6_9656 Depth=2
	s_delay_alu instid0(VALU_DEP_1)
	v_bfe_u32 v11, v12, 23, 1
; %bb.10779:                            ;   in Loop: Header=BB6_9656 Depth=2
	s_or_b32 exec_lo, exec_lo, s10
	v_lshrrev_b32_e32 v12, 20, v12
	s_delay_alu instid0(VALU_DEP_2) | instskip(SKIP_2) | instid1(VALU_DEP_3)
	v_min_i32_e32 v66, 15, v11
	v_cmp_gt_i32_e32 vcc_lo, 16, v11
	v_lshrrev_b32_e32 v10, 24, v10
	v_lshlrev_b32_e32 v66, 3, v66
	v_cndmask_b32_e32 v12, 7, v12, vcc_lo
	s_delay_alu instid0(VALU_DEP_3) | instskip(NEXT) | instid1(VALU_DEP_3)
	v_and_b32_e32 v10, 0x80, v10
	v_and_b32_e32 v66, 0xf8, v66
	s_delay_alu instid0(VALU_DEP_3) | instskip(SKIP_1) | instid1(VALU_DEP_2)
	v_and_b32_e32 v82, 7, v12
	v_or_b32_e32 v11, v11, v12
	v_or3_b32 v10, v66, v10, v82
	s_delay_alu instid0(VALU_DEP_2) | instskip(NEXT) | instid1(VALU_DEP_2)
	v_cmp_ne_u32_e32 vcc_lo, 0, v11
	v_cndmask_b32_e32 v82, 0, v10, vcc_lo
.LBB6_10780:                            ;   in Loop: Header=BB6_9656 Depth=2
	s_or_b32 exec_lo, exec_lo, s24
.LBB6_10781:                            ;   in Loop: Header=BB6_9656 Depth=2
	s_delay_alu instid0(SALU_CYCLE_1) | instskip(SKIP_3) | instid1(VALU_DEP_1)
	s_or_b32 exec_lo, exec_lo, s23
	v_lshrrev_b16 v10, 8, v13
	s_mov_b32 s10, 0
	s_mov_b32 s24, exec_lo
                                        ; implicit-def: $sgpr23
	v_cmpx_lt_i16_e32 0x7f, v10
	s_xor_b32 s24, exec_lo, s24
	s_cbranch_execnz .LBB6_11571
; %bb.10782:                            ;   in Loop: Header=BB6_9656 Depth=2
	s_or_saveexec_b32 s24, s24
	v_mov_b32_e32 v11, s23
	s_xor_b32 exec_lo, exec_lo, s24
	s_cbranch_execnz .LBB6_11574
.LBB6_10783:                            ;   in Loop: Header=BB6_9656 Depth=2
	s_or_b32 exec_lo, exec_lo, s24
	s_and_saveexec_b32 s23, s10
	s_cbranch_execz .LBB6_10785
.LBB6_10784:                            ;   in Loop: Header=BB6_9656 Depth=2
	v_and_b32_e32 v11, 0xffff, v10
	v_lshlrev_b32_e32 v10, 24, v10
	s_delay_alu instid0(VALU_DEP_2) | instskip(NEXT) | instid1(VALU_DEP_2)
	v_and_b32_e32 v12, 7, v11
	v_and_b32_e32 v10, 0x80000000, v10
	s_delay_alu instid0(VALU_DEP_2) | instskip(NEXT) | instid1(VALU_DEP_1)
	v_clz_i32_u32_e32 v66, v12
	v_min_u32_e32 v66, 32, v66
	s_delay_alu instid0(VALU_DEP_1) | instskip(SKIP_1) | instid1(VALU_DEP_2)
	v_subrev_nc_u32_e32 v97, 28, v66
	v_sub_nc_u32_e32 v66, 29, v66
	v_lshlrev_b32_e32 v97, v97, v11
	v_bfe_u32 v11, v11, 3, 4
	s_delay_alu instid0(VALU_DEP_2) | instskip(NEXT) | instid1(VALU_DEP_2)
	v_and_b32_e32 v97, 7, v97
	v_cmp_eq_u32_e32 vcc_lo, 0, v11
	s_delay_alu instid0(VALU_DEP_2) | instskip(NEXT) | instid1(VALU_DEP_1)
	v_dual_cndmask_b32 v11, v11, v66 :: v_dual_cndmask_b32 v12, v12, v97
	v_lshl_add_u32 v11, v11, 23, 0x3b800000
	s_delay_alu instid0(VALU_DEP_2) | instskip(NEXT) | instid1(VALU_DEP_1)
	v_lshlrev_b32_e32 v12, 20, v12
	v_or3_b32 v11, v10, v11, v12
.LBB6_10785:                            ;   in Loop: Header=BB6_9656 Depth=2
	s_or_b32 exec_lo, exec_lo, s23
	s_delay_alu instid0(VALU_DEP_1) | instskip(SKIP_1) | instid1(VALU_DEP_1)
	v_dual_mul_f32 v10, s22, v11 :: v_dual_mov_b32 v97, 0x8000
	s_mov_b32 s23, exec_lo
	v_and_b32_e32 v11, 0x7f800000, v10
	s_delay_alu instid0(VALU_DEP_1)
	v_cmpx_ne_u32_e32 0x7f800000, v11
	s_cbranch_execz .LBB6_10793
; %bb.10786:                            ;   in Loop: Header=BB6_9656 Depth=2
	v_mov_b32_e32 v97, 0
	s_mov_b32 s24, exec_lo
	v_cmpx_ne_u32_e32 0, v10
	s_cbranch_execz .LBB6_10792
; %bb.10787:                            ;   in Loop: Header=BB6_9656 Depth=2
	v_bfe_u32 v11, v10, 23, 8
	v_and_b32_e32 v12, 0x7fffff, v10
	s_delay_alu instid0(VALU_DEP_2) | instskip(SKIP_1) | instid1(VALU_DEP_3)
	v_sub_nc_u32_e32 v66, 0x78, v11
	v_cmp_gt_u32_e32 vcc_lo, 0x79, v11
	v_or_b32_e32 v97, 0x800000, v12
	s_delay_alu instid0(VALU_DEP_3) | instskip(SKIP_2) | instid1(VALU_DEP_3)
	v_cndmask_b32_e32 v66, 0, v66, vcc_lo
	v_cmp_eq_u32_e32 vcc_lo, 0, v11
	v_add_nc_u32_e32 v11, 0xffffff89, v11
	v_cndmask_b32_e64 v66, v66, 0x77, vcc_lo
	v_cndmask_b32_e32 v12, v97, v12, vcc_lo
	s_delay_alu instid0(VALU_DEP_3) | instskip(NEXT) | instid1(VALU_DEP_3)
	v_cndmask_b32_e64 v11, v11, 0xffffff8a, vcc_lo
	v_lshl_add_u32 v97, 0x100000, v66, -1
	s_delay_alu instid0(VALU_DEP_3) | instskip(SKIP_1) | instid1(VALU_DEP_4)
	v_lshrrev_b32_e32 v98, v66, v12
	v_lshlrev_b32_e64 v100, v66, 0x80000
	v_add_nc_u32_e32 v66, v66, v11
	s_delay_alu instid0(VALU_DEP_4) | instskip(NEXT) | instid1(VALU_DEP_4)
	v_and_b32_e32 v12, v97, v12
	v_bfe_u32 v99, v98, 20, 1
	s_delay_alu instid0(VALU_DEP_2) | instskip(NEXT) | instid1(VALU_DEP_2)
	v_cmp_eq_u32_e64 s10, v12, v100
	v_add_nc_u32_e32 v97, -1, v99
	s_delay_alu instid0(VALU_DEP_1) | instskip(SKIP_2) | instid1(VALU_DEP_2)
	v_cndmask_b32_e64 v12, 0, v97, s10
	v_lshrrev_b32_e32 v97, 23, v98
	s_mov_b32 s10, exec_lo
	v_add_nc_u32_e32 v12, v12, v98
	s_delay_alu instid0(VALU_DEP_2) | instskip(NEXT) | instid1(VALU_DEP_2)
	v_xor_b32_e32 v97, 1, v97
	v_and_b32_e32 v11, 0xfffff, v12
	s_delay_alu instid0(VALU_DEP_1) | instskip(NEXT) | instid1(VALU_DEP_3)
	v_add_nc_u32_e32 v12, v11, v98
                                        ; implicit-def: $vgpr11
	v_cmpx_ne_u32_e64 v66, v97
	s_xor_b32 s10, exec_lo, s10
; %bb.10788:                            ;   in Loop: Header=BB6_9656 Depth=2
	s_delay_alu instid0(VALU_DEP_2) | instskip(SKIP_2) | instid1(VALU_DEP_2)
	v_cmp_lt_u32_e32 vcc_lo, 0xffffff, v12
	v_sub_nc_u32_e32 v11, v66, v97
	v_cndmask_b32_e64 v66, 0, 1, vcc_lo
	v_add_co_ci_u32_e32 v11, vcc_lo, 0, v11, vcc_lo
	s_delay_alu instid0(VALU_DEP_2)
	v_lshrrev_b32_e32 v12, v66, v12
; %bb.10789:                            ;   in Loop: Header=BB6_9656 Depth=2
	s_and_not1_saveexec_b32 s10, s10
; %bb.10790:                            ;   in Loop: Header=BB6_9656 Depth=2
	s_delay_alu instid0(VALU_DEP_1)
	v_bfe_u32 v11, v12, 23, 1
; %bb.10791:                            ;   in Loop: Header=BB6_9656 Depth=2
	s_or_b32 exec_lo, exec_lo, s10
	v_lshrrev_b32_e32 v12, 20, v12
	s_delay_alu instid0(VALU_DEP_2) | instskip(SKIP_2) | instid1(VALU_DEP_3)
	v_min_i32_e32 v66, 15, v11
	v_cmp_gt_i32_e32 vcc_lo, 16, v11
	v_lshrrev_b32_e32 v10, 24, v10
	v_lshlrev_b32_e32 v66, 3, v66
	v_cndmask_b32_e32 v12, 7, v12, vcc_lo
	s_delay_alu instid0(VALU_DEP_3) | instskip(NEXT) | instid1(VALU_DEP_3)
	v_and_b32_e32 v10, 0x80, v10
	v_and_b32_e32 v66, 0xf8, v66
	s_delay_alu instid0(VALU_DEP_3) | instskip(SKIP_1) | instid1(VALU_DEP_2)
	v_and_b32_e32 v97, 7, v12
	v_or_b32_e32 v11, v11, v12
	v_or3_b32 v10, v10, v66, v97
	s_delay_alu instid0(VALU_DEP_2) | instskip(NEXT) | instid1(VALU_DEP_2)
	v_cmp_ne_u32_e32 vcc_lo, 0, v11
	v_lshlrev_b32_e32 v10, 8, v10
	s_delay_alu instid0(VALU_DEP_1)
	v_cndmask_b32_e32 v97, 0, v10, vcc_lo
.LBB6_10792:                            ;   in Loop: Header=BB6_9656 Depth=2
	s_or_b32 exec_lo, exec_lo, s24
.LBB6_10793:                            ;   in Loop: Header=BB6_9656 Depth=2
	s_delay_alu instid0(SALU_CYCLE_1) | instskip(SKIP_3) | instid1(VALU_DEP_1)
	s_or_b32 exec_lo, exec_lo, s23
	v_lshrrev_b32_e32 v10, 16, v13
	s_mov_b32 s10, 0
	s_mov_b32 s24, exec_lo
                                        ; implicit-def: $sgpr23
	v_and_b32_e32 v12, 0xff, v10
	s_delay_alu instid0(VALU_DEP_1)
	v_cmpx_lt_i16_e32 0x7f, v12
	s_xor_b32 s24, exec_lo, s24
	s_cbranch_execnz .LBB6_11575
; %bb.10794:                            ;   in Loop: Header=BB6_9656 Depth=2
	s_or_saveexec_b32 s24, s24
	v_mov_b32_e32 v11, s23
	s_xor_b32 exec_lo, exec_lo, s24
	s_cbranch_execnz .LBB6_11578
.LBB6_10795:                            ;   in Loop: Header=BB6_9656 Depth=2
	s_or_b32 exec_lo, exec_lo, s24
	s_and_saveexec_b32 s23, s10
	s_cbranch_execz .LBB6_10797
.LBB6_10796:                            ;   in Loop: Header=BB6_9656 Depth=2
	v_bfe_u32 v11, v13, 16, 3
	v_lshlrev_b32_e32 v98, 8, v13
	s_delay_alu instid0(VALU_DEP_2) | instskip(NEXT) | instid1(VALU_DEP_1)
	v_clz_i32_u32_e32 v12, v11
	v_min_u32_e32 v12, 32, v12
	s_delay_alu instid0(VALU_DEP_1) | instskip(SKIP_1) | instid1(VALU_DEP_2)
	v_subrev_nc_u32_e32 v66, 28, v12
	v_sub_nc_u32_e32 v12, 29, v12
	v_lshlrev_b32_e32 v10, v66, v10
	v_bfe_u32 v66, v13, 19, 4
	s_delay_alu instid0(VALU_DEP_2) | instskip(NEXT) | instid1(VALU_DEP_2)
	v_and_b32_e32 v10, 7, v10
	v_cmp_eq_u32_e32 vcc_lo, 0, v66
	v_cndmask_b32_e32 v12, v66, v12, vcc_lo
	s_delay_alu instid0(VALU_DEP_3) | instskip(SKIP_1) | instid1(VALU_DEP_3)
	v_cndmask_b32_e32 v10, v11, v10, vcc_lo
	v_and_b32_e32 v11, 0x80000000, v98
	v_lshl_add_u32 v12, v12, 23, 0x3b800000
	s_delay_alu instid0(VALU_DEP_3) | instskip(NEXT) | instid1(VALU_DEP_1)
	v_lshlrev_b32_e32 v10, 20, v10
	v_or3_b32 v11, v11, v12, v10
.LBB6_10797:                            ;   in Loop: Header=BB6_9656 Depth=2
	s_or_b32 exec_lo, exec_lo, s23
	s_delay_alu instid0(VALU_DEP_1) | instskip(SKIP_1) | instid1(VALU_DEP_1)
	v_dual_mul_f32 v10, s22, v11 :: v_dual_mov_b32 v99, 0x80
	s_mov_b32 s23, exec_lo
	v_and_b32_e32 v11, 0x7f800000, v10
	s_delay_alu instid0(VALU_DEP_1)
	v_cmpx_ne_u32_e32 0x7f800000, v11
	s_cbranch_execz .LBB6_10805
; %bb.10798:                            ;   in Loop: Header=BB6_9656 Depth=2
	v_mov_b32_e32 v99, 0
	s_mov_b32 s24, exec_lo
	v_cmpx_ne_u32_e32 0, v10
	s_cbranch_execz .LBB6_10804
; %bb.10799:                            ;   in Loop: Header=BB6_9656 Depth=2
	v_bfe_u32 v11, v10, 23, 8
	v_and_b32_e32 v12, 0x7fffff, v10
	s_delay_alu instid0(VALU_DEP_2) | instskip(SKIP_1) | instid1(VALU_DEP_3)
	v_sub_nc_u32_e32 v66, 0x78, v11
	v_cmp_gt_u32_e32 vcc_lo, 0x79, v11
	v_or_b32_e32 v98, 0x800000, v12
	s_delay_alu instid0(VALU_DEP_3) | instskip(SKIP_2) | instid1(VALU_DEP_3)
	v_cndmask_b32_e32 v66, 0, v66, vcc_lo
	v_cmp_eq_u32_e32 vcc_lo, 0, v11
	v_add_nc_u32_e32 v11, 0xffffff89, v11
	v_cndmask_b32_e64 v66, v66, 0x77, vcc_lo
	v_cndmask_b32_e32 v12, v98, v12, vcc_lo
	s_delay_alu instid0(VALU_DEP_3) | instskip(NEXT) | instid1(VALU_DEP_3)
	v_cndmask_b32_e64 v11, v11, 0xffffff8a, vcc_lo
	v_lshl_add_u32 v98, 0x100000, v66, -1
	s_delay_alu instid0(VALU_DEP_3) | instskip(SKIP_1) | instid1(VALU_DEP_4)
	v_lshrrev_b32_e32 v99, v66, v12
	v_lshlrev_b32_e64 v101, v66, 0x80000
	v_add_nc_u32_e32 v66, v66, v11
	s_delay_alu instid0(VALU_DEP_4) | instskip(NEXT) | instid1(VALU_DEP_4)
	v_and_b32_e32 v12, v98, v12
	v_bfe_u32 v100, v99, 20, 1
	s_delay_alu instid0(VALU_DEP_2) | instskip(NEXT) | instid1(VALU_DEP_2)
	v_cmp_eq_u32_e64 s10, v12, v101
	v_add_nc_u32_e32 v98, -1, v100
	s_delay_alu instid0(VALU_DEP_1) | instskip(SKIP_2) | instid1(VALU_DEP_2)
	v_cndmask_b32_e64 v12, 0, v98, s10
	v_lshrrev_b32_e32 v98, 23, v99
	s_mov_b32 s10, exec_lo
	v_add_nc_u32_e32 v12, v12, v99
	s_delay_alu instid0(VALU_DEP_2) | instskip(NEXT) | instid1(VALU_DEP_2)
	v_xor_b32_e32 v98, 1, v98
	v_and_b32_e32 v11, 0xfffff, v12
	s_delay_alu instid0(VALU_DEP_1) | instskip(NEXT) | instid1(VALU_DEP_3)
	v_add_nc_u32_e32 v12, v11, v99
                                        ; implicit-def: $vgpr11
	v_cmpx_ne_u32_e64 v66, v98
	s_xor_b32 s10, exec_lo, s10
; %bb.10800:                            ;   in Loop: Header=BB6_9656 Depth=2
	s_delay_alu instid0(VALU_DEP_2) | instskip(SKIP_2) | instid1(VALU_DEP_2)
	v_cmp_lt_u32_e32 vcc_lo, 0xffffff, v12
	v_sub_nc_u32_e32 v11, v66, v98
	v_cndmask_b32_e64 v66, 0, 1, vcc_lo
	v_add_co_ci_u32_e32 v11, vcc_lo, 0, v11, vcc_lo
	s_delay_alu instid0(VALU_DEP_2)
	v_lshrrev_b32_e32 v12, v66, v12
; %bb.10801:                            ;   in Loop: Header=BB6_9656 Depth=2
	s_and_not1_saveexec_b32 s10, s10
; %bb.10802:                            ;   in Loop: Header=BB6_9656 Depth=2
	s_delay_alu instid0(VALU_DEP_1)
	v_bfe_u32 v11, v12, 23, 1
; %bb.10803:                            ;   in Loop: Header=BB6_9656 Depth=2
	s_or_b32 exec_lo, exec_lo, s10
	v_lshrrev_b32_e32 v12, 20, v12
	s_delay_alu instid0(VALU_DEP_2) | instskip(SKIP_2) | instid1(VALU_DEP_3)
	v_min_i32_e32 v66, 15, v11
	v_cmp_gt_i32_e32 vcc_lo, 16, v11
	v_lshrrev_b32_e32 v10, 24, v10
	v_lshlrev_b32_e32 v66, 3, v66
	v_cndmask_b32_e32 v12, 7, v12, vcc_lo
	s_delay_alu instid0(VALU_DEP_3) | instskip(NEXT) | instid1(VALU_DEP_3)
	v_and_b32_e32 v10, 0x80, v10
	v_and_b32_e32 v66, 0xf8, v66
	s_delay_alu instid0(VALU_DEP_3) | instskip(SKIP_1) | instid1(VALU_DEP_2)
	v_and_b32_e32 v98, 7, v12
	v_or_b32_e32 v11, v11, v12
	v_or3_b32 v10, v66, v10, v98
	s_delay_alu instid0(VALU_DEP_2) | instskip(NEXT) | instid1(VALU_DEP_2)
	v_cmp_ne_u32_e32 vcc_lo, 0, v11
	v_cndmask_b32_e32 v99, 0, v10, vcc_lo
.LBB6_10804:                            ;   in Loop: Header=BB6_9656 Depth=2
	s_or_b32 exec_lo, exec_lo, s24
.LBB6_10805:                            ;   in Loop: Header=BB6_9656 Depth=2
	s_delay_alu instid0(SALU_CYCLE_1) | instskip(SKIP_3) | instid1(VALU_DEP_1)
	s_or_b32 exec_lo, exec_lo, s23
	v_lshrrev_b32_e32 v10, 24, v13
	s_mov_b32 s10, 0
	s_mov_b32 s24, exec_lo
                                        ; implicit-def: $sgpr23
	v_cmpx_lt_i16_e32 0x7f, v10
	s_xor_b32 s24, exec_lo, s24
	s_cbranch_execnz .LBB6_11579
; %bb.10806:                            ;   in Loop: Header=BB6_9656 Depth=2
	s_or_saveexec_b32 s24, s24
	v_mov_b32_e32 v11, s23
	s_xor_b32 exec_lo, exec_lo, s24
	s_cbranch_execnz .LBB6_11582
.LBB6_10807:                            ;   in Loop: Header=BB6_9656 Depth=2
	s_or_b32 exec_lo, exec_lo, s24
	s_and_saveexec_b32 s23, s10
	s_cbranch_execz .LBB6_10809
.LBB6_10808:                            ;   in Loop: Header=BB6_9656 Depth=2
	v_bfe_u32 v11, v13, 24, 3
	s_delay_alu instid0(VALU_DEP_1) | instskip(NEXT) | instid1(VALU_DEP_1)
	v_clz_i32_u32_e32 v12, v11
	v_min_u32_e32 v12, 32, v12
	s_delay_alu instid0(VALU_DEP_1) | instskip(SKIP_1) | instid1(VALU_DEP_2)
	v_subrev_nc_u32_e32 v66, 28, v12
	v_sub_nc_u32_e32 v12, 29, v12
	v_lshlrev_b32_e32 v10, v66, v10
	v_bfe_u32 v66, v13, 27, 4
	s_delay_alu instid0(VALU_DEP_2) | instskip(NEXT) | instid1(VALU_DEP_2)
	v_and_b32_e32 v10, 7, v10
	v_cmp_eq_u32_e32 vcc_lo, 0, v66
	v_cndmask_b32_e32 v12, v66, v12, vcc_lo
	s_delay_alu instid0(VALU_DEP_3) | instskip(NEXT) | instid1(VALU_DEP_2)
	v_dual_cndmask_b32 v10, v11, v10 :: v_dual_and_b32 v11, 0x80000000, v13
	v_lshl_add_u32 v12, v12, 23, 0x3b800000
	s_delay_alu instid0(VALU_DEP_2) | instskip(NEXT) | instid1(VALU_DEP_1)
	v_lshlrev_b32_e32 v10, 20, v10
	v_or3_b32 v11, v11, v12, v10
.LBB6_10809:                            ;   in Loop: Header=BB6_9656 Depth=2
	s_or_b32 exec_lo, exec_lo, s23
	s_delay_alu instid0(VALU_DEP_1) | instskip(SKIP_2) | instid1(VALU_DEP_2)
	v_mul_f32_e32 v10, s22, v11
	v_mov_b32_e32 v100, 0x8000
	s_mov_b32 s23, exec_lo
	v_and_b32_e32 v11, 0x7f800000, v10
	s_delay_alu instid0(VALU_DEP_1)
	v_cmpx_ne_u32_e32 0x7f800000, v11
	s_cbranch_execz .LBB6_10817
; %bb.10810:                            ;   in Loop: Header=BB6_9656 Depth=2
	v_mov_b32_e32 v100, 0
	s_mov_b32 s24, exec_lo
	v_cmpx_ne_u32_e32 0, v10
	s_cbranch_execz .LBB6_10816
; %bb.10811:                            ;   in Loop: Header=BB6_9656 Depth=2
	v_bfe_u32 v11, v10, 23, 8
	s_delay_alu instid0(VALU_DEP_1) | instskip(SKIP_1) | instid1(VALU_DEP_2)
	v_sub_nc_u32_e32 v13, 0x78, v11
	v_cmp_gt_u32_e32 vcc_lo, 0x79, v11
	v_dual_cndmask_b32 v13, 0, v13 :: v_dual_and_b32 v12, 0x7fffff, v10
	s_delay_alu instid0(VALU_DEP_1) | instskip(SKIP_2) | instid1(VALU_DEP_4)
	v_or_b32_e32 v66, 0x800000, v12
	v_cmp_eq_u32_e32 vcc_lo, 0, v11
	v_add_nc_u32_e32 v11, 0xffffff89, v11
	v_cndmask_b32_e64 v13, v13, 0x77, vcc_lo
	s_delay_alu instid0(VALU_DEP_4) | instskip(NEXT) | instid1(VALU_DEP_3)
	v_cndmask_b32_e32 v12, v66, v12, vcc_lo
	v_cndmask_b32_e64 v11, v11, 0xffffff8a, vcc_lo
	s_delay_alu instid0(VALU_DEP_3) | instskip(NEXT) | instid1(VALU_DEP_3)
	v_lshl_add_u32 v66, 0x100000, v13, -1
	v_lshrrev_b32_e32 v98, v13, v12
	v_lshlrev_b32_e64 v101, v13, 0x80000
	s_delay_alu instid0(VALU_DEP_4) | instskip(NEXT) | instid1(VALU_DEP_4)
	v_add_nc_u32_e32 v13, v13, v11
	v_and_b32_e32 v12, v66, v12
	s_delay_alu instid0(VALU_DEP_4) | instskip(NEXT) | instid1(VALU_DEP_2)
	v_bfe_u32 v100, v98, 20, 1
	v_cmp_eq_u32_e64 s10, v12, v101
	s_delay_alu instid0(VALU_DEP_2) | instskip(NEXT) | instid1(VALU_DEP_1)
	v_add_nc_u32_e32 v66, -1, v100
	v_cndmask_b32_e64 v12, 0, v66, s10
	v_lshrrev_b32_e32 v66, 23, v98
	s_mov_b32 s10, exec_lo
	s_delay_alu instid0(VALU_DEP_2) | instskip(NEXT) | instid1(VALU_DEP_2)
	v_add_nc_u32_e32 v12, v12, v98
	v_xor_b32_e32 v66, 1, v66
	s_delay_alu instid0(VALU_DEP_2) | instskip(NEXT) | instid1(VALU_DEP_1)
	v_and_b32_e32 v11, 0xfffff, v12
	v_add_nc_u32_e32 v12, v11, v98
                                        ; implicit-def: $vgpr11
	s_delay_alu instid0(VALU_DEP_3)
	v_cmpx_ne_u32_e64 v13, v66
	s_xor_b32 s10, exec_lo, s10
; %bb.10812:                            ;   in Loop: Header=BB6_9656 Depth=2
	s_delay_alu instid0(VALU_DEP_2) | instskip(SKIP_2) | instid1(VALU_DEP_2)
	v_cmp_lt_u32_e32 vcc_lo, 0xffffff, v12
	v_sub_nc_u32_e32 v11, v13, v66
	v_cndmask_b32_e64 v13, 0, 1, vcc_lo
	v_add_co_ci_u32_e32 v11, vcc_lo, 0, v11, vcc_lo
	s_delay_alu instid0(VALU_DEP_2)
	v_lshrrev_b32_e32 v12, v13, v12
; %bb.10813:                            ;   in Loop: Header=BB6_9656 Depth=2
	s_and_not1_saveexec_b32 s10, s10
; %bb.10814:                            ;   in Loop: Header=BB6_9656 Depth=2
	s_delay_alu instid0(VALU_DEP_1)
	v_bfe_u32 v11, v12, 23, 1
; %bb.10815:                            ;   in Loop: Header=BB6_9656 Depth=2
	s_or_b32 exec_lo, exec_lo, s10
	v_lshrrev_b32_e32 v12, 20, v12
	s_delay_alu instid0(VALU_DEP_2) | instskip(SKIP_2) | instid1(VALU_DEP_2)
	v_cmp_gt_i32_e32 vcc_lo, 16, v11
	v_min_i32_e32 v13, 15, v11
	v_lshrrev_b32_e32 v10, 24, v10
	v_dual_cndmask_b32 v12, 7, v12 :: v_dual_lshlrev_b32 v13, 3, v13
	s_delay_alu instid0(VALU_DEP_2) | instskip(NEXT) | instid1(VALU_DEP_2)
	v_and_b32_e32 v10, 0x80, v10
	v_or_b32_e32 v11, v11, v12
	v_and_b32_e32 v66, 7, v12
	s_delay_alu instid0(VALU_DEP_2) | instskip(SKIP_1) | instid1(VALU_DEP_1)
	v_cmp_ne_u32_e32 vcc_lo, 0, v11
	v_and_b32_e32 v13, 0xf8, v13
	v_or3_b32 v10, v10, v13, v66
	s_delay_alu instid0(VALU_DEP_1) | instskip(NEXT) | instid1(VALU_DEP_1)
	v_lshlrev_b32_e32 v10, 8, v10
	v_cndmask_b32_e32 v100, 0, v10, vcc_lo
.LBB6_10816:                            ;   in Loop: Header=BB6_9656 Depth=2
	s_or_b32 exec_lo, exec_lo, s24
.LBB6_10817:                            ;   in Loop: Header=BB6_9656 Depth=2
	s_delay_alu instid0(SALU_CYCLE_1)
	s_or_b32 exec_lo, exec_lo, s23
	global_load_b128 v[10:13], v[23:24], off offset:3072 slc dlc
	s_mov_b32 s10, 0
	s_mov_b32 s24, exec_lo
                                        ; implicit-def: $sgpr23
	s_waitcnt vmcnt(0)
	v_and_b32_e32 v98, 0xff, v10
	s_delay_alu instid0(VALU_DEP_1)
	v_cmpx_lt_i16_e32 0x7f, v98
	s_xor_b32 s24, exec_lo, s24
	s_cbranch_execnz .LBB6_11583
; %bb.10818:                            ;   in Loop: Header=BB6_9656 Depth=2
	s_or_saveexec_b32 s24, s24
	v_mov_b32_e32 v66, s23
	s_xor_b32 exec_lo, exec_lo, s24
	s_cbranch_execnz .LBB6_11586
.LBB6_10819:                            ;   in Loop: Header=BB6_9656 Depth=2
	s_or_b32 exec_lo, exec_lo, s24
	s_and_saveexec_b32 s23, s10
	s_cbranch_execz .LBB6_10821
.LBB6_10820:                            ;   in Loop: Header=BB6_9656 Depth=2
	v_and_b32_e32 v66, 7, v10
	v_bfe_u32 v102, v10, 3, 4
	s_delay_alu instid0(VALU_DEP_2) | instskip(NEXT) | instid1(VALU_DEP_2)
	v_clz_i32_u32_e32 v98, v66
	v_cmp_eq_u32_e32 vcc_lo, 0, v102
	s_delay_alu instid0(VALU_DEP_2) | instskip(NEXT) | instid1(VALU_DEP_1)
	v_min_u32_e32 v98, 32, v98
	v_subrev_nc_u32_e32 v101, 28, v98
	v_sub_nc_u32_e32 v98, 29, v98
	s_delay_alu instid0(VALU_DEP_2) | instskip(NEXT) | instid1(VALU_DEP_1)
	v_lshlrev_b32_e32 v101, v101, v10
	v_dual_cndmask_b32 v98, v102, v98 :: v_dual_and_b32 v101, 7, v101
	v_lshlrev_b32_e32 v103, 24, v10
	s_delay_alu instid0(VALU_DEP_2) | instskip(NEXT) | instid1(VALU_DEP_2)
	v_lshl_add_u32 v98, v98, 23, 0x3b800000
	v_dual_cndmask_b32 v66, v66, v101 :: v_dual_and_b32 v101, 0x80000000, v103
	s_delay_alu instid0(VALU_DEP_1) | instskip(NEXT) | instid1(VALU_DEP_1)
	v_lshlrev_b32_e32 v66, 20, v66
	v_or3_b32 v66, v101, v98, v66
.LBB6_10821:                            ;   in Loop: Header=BB6_9656 Depth=2
	s_or_b32 exec_lo, exec_lo, s23
	s_delay_alu instid0(VALU_DEP_1) | instskip(SKIP_1) | instid1(VALU_DEP_1)
	v_dual_mul_f32 v66, s22, v66 :: v_dual_mov_b32 v101, 0x80
	s_mov_b32 s23, exec_lo
	v_and_b32_e32 v98, 0x7f800000, v66
	s_delay_alu instid0(VALU_DEP_1)
	v_cmpx_ne_u32_e32 0x7f800000, v98
	s_cbranch_execz .LBB6_10829
; %bb.10822:                            ;   in Loop: Header=BB6_9656 Depth=2
	v_mov_b32_e32 v101, 0
	s_mov_b32 s24, exec_lo
	v_cmpx_ne_u32_e32 0, v66
	s_cbranch_execz .LBB6_10828
; %bb.10823:                            ;   in Loop: Header=BB6_9656 Depth=2
	v_bfe_u32 v98, v66, 23, 8
	v_and_b32_e32 v101, 0x7fffff, v66
	s_delay_alu instid0(VALU_DEP_2) | instskip(SKIP_1) | instid1(VALU_DEP_3)
	v_sub_nc_u32_e32 v102, 0x78, v98
	v_cmp_gt_u32_e32 vcc_lo, 0x79, v98
	v_or_b32_e32 v103, 0x800000, v101
	s_delay_alu instid0(VALU_DEP_3) | instskip(SKIP_1) | instid1(VALU_DEP_3)
	v_cndmask_b32_e32 v102, 0, v102, vcc_lo
	v_cmp_eq_u32_e32 vcc_lo, 0, v98
	v_dual_cndmask_b32 v101, v103, v101 :: v_dual_add_nc_u32 v98, 0xffffff89, v98
	s_delay_alu instid0(VALU_DEP_3) | instskip(NEXT) | instid1(VALU_DEP_2)
	v_cndmask_b32_e64 v102, v102, 0x77, vcc_lo
	v_cndmask_b32_e64 v98, v98, 0xffffff8a, vcc_lo
	s_delay_alu instid0(VALU_DEP_2) | instskip(SKIP_2) | instid1(VALU_DEP_4)
	v_lshrrev_b32_e32 v112, v102, v101
	v_lshl_add_u32 v103, 0x100000, v102, -1
	v_lshlrev_b32_e64 v114, v102, 0x80000
	v_add_nc_u32_e32 v102, v102, v98
	s_delay_alu instid0(VALU_DEP_4) | instskip(NEXT) | instid1(VALU_DEP_4)
	v_bfe_u32 v113, v112, 20, 1
	v_and_b32_e32 v101, v103, v101
	s_delay_alu instid0(VALU_DEP_2) | instskip(NEXT) | instid1(VALU_DEP_2)
	v_add_nc_u32_e32 v103, -1, v113
	v_cmp_eq_u32_e64 s10, v101, v114
	s_delay_alu instid0(VALU_DEP_1) | instskip(SKIP_2) | instid1(VALU_DEP_2)
	v_cndmask_b32_e64 v101, 0, v103, s10
	v_lshrrev_b32_e32 v103, 23, v112
	s_mov_b32 s10, exec_lo
	v_add_nc_u32_e32 v101, v101, v112
	s_delay_alu instid0(VALU_DEP_2) | instskip(NEXT) | instid1(VALU_DEP_2)
	v_xor_b32_e32 v103, 1, v103
	v_and_b32_e32 v98, 0xfffff, v101
	s_delay_alu instid0(VALU_DEP_1) | instskip(NEXT) | instid1(VALU_DEP_3)
	v_add_nc_u32_e32 v101, v98, v112
                                        ; implicit-def: $vgpr98
	v_cmpx_ne_u32_e64 v102, v103
	s_xor_b32 s10, exec_lo, s10
; %bb.10824:                            ;   in Loop: Header=BB6_9656 Depth=2
	s_delay_alu instid0(VALU_DEP_2) | instskip(SKIP_2) | instid1(VALU_DEP_2)
	v_cmp_lt_u32_e32 vcc_lo, 0xffffff, v101
	v_sub_nc_u32_e32 v98, v102, v103
	v_cndmask_b32_e64 v102, 0, 1, vcc_lo
	v_add_co_ci_u32_e32 v98, vcc_lo, 0, v98, vcc_lo
	s_delay_alu instid0(VALU_DEP_2)
	v_lshrrev_b32_e32 v101, v102, v101
; %bb.10825:                            ;   in Loop: Header=BB6_9656 Depth=2
	s_and_not1_saveexec_b32 s10, s10
; %bb.10826:                            ;   in Loop: Header=BB6_9656 Depth=2
	s_delay_alu instid0(VALU_DEP_1)
	v_bfe_u32 v98, v101, 23, 1
; %bb.10827:                            ;   in Loop: Header=BB6_9656 Depth=2
	s_or_b32 exec_lo, exec_lo, s10
	v_lshrrev_b32_e32 v101, 20, v101
	s_delay_alu instid0(VALU_DEP_2) | instskip(SKIP_2) | instid1(VALU_DEP_2)
	v_cmp_gt_i32_e32 vcc_lo, 16, v98
	v_lshrrev_b32_e32 v66, 24, v66
	v_min_i32_e32 v102, 15, v98
	v_dual_cndmask_b32 v101, 7, v101 :: v_dual_and_b32 v66, 0x80, v66
	s_delay_alu instid0(VALU_DEP_2) | instskip(NEXT) | instid1(VALU_DEP_2)
	v_lshlrev_b32_e32 v102, 3, v102
	v_and_b32_e32 v103, 7, v101
	v_or_b32_e32 v98, v98, v101
	s_delay_alu instid0(VALU_DEP_2) | instskip(NEXT) | instid1(VALU_DEP_2)
	v_or3_b32 v66, v102, v66, v103
	v_cmp_ne_u32_e32 vcc_lo, 0, v98
	s_delay_alu instid0(VALU_DEP_2)
	v_cndmask_b32_e32 v101, 0, v66, vcc_lo
.LBB6_10828:                            ;   in Loop: Header=BB6_9656 Depth=2
	s_or_b32 exec_lo, exec_lo, s24
.LBB6_10829:                            ;   in Loop: Header=BB6_9656 Depth=2
	s_delay_alu instid0(SALU_CYCLE_1) | instskip(SKIP_3) | instid1(VALU_DEP_1)
	s_or_b32 exec_lo, exec_lo, s23
	v_lshrrev_b16 v66, 8, v10
	s_mov_b32 s10, 0
	s_mov_b32 s24, exec_lo
                                        ; implicit-def: $sgpr23
	v_cmpx_lt_i16_e32 0x7f, v66
	s_xor_b32 s24, exec_lo, s24
	s_cbranch_execnz .LBB6_11587
; %bb.10830:                            ;   in Loop: Header=BB6_9656 Depth=2
	s_or_saveexec_b32 s24, s24
	v_mov_b32_e32 v98, s23
	s_xor_b32 exec_lo, exec_lo, s24
	s_cbranch_execnz .LBB6_11590
.LBB6_10831:                            ;   in Loop: Header=BB6_9656 Depth=2
	s_or_b32 exec_lo, exec_lo, s24
	s_and_saveexec_b32 s23, s10
	s_cbranch_execz .LBB6_10833
.LBB6_10832:                            ;   in Loop: Header=BB6_9656 Depth=2
	v_and_b32_e32 v98, 0xffff, v66
	v_lshlrev_b32_e32 v66, 24, v66
	s_delay_alu instid0(VALU_DEP_2) | instskip(NEXT) | instid1(VALU_DEP_2)
	v_and_b32_e32 v102, 7, v98
	v_and_b32_e32 v66, 0x80000000, v66
	s_delay_alu instid0(VALU_DEP_2) | instskip(NEXT) | instid1(VALU_DEP_1)
	v_clz_i32_u32_e32 v103, v102
	v_min_u32_e32 v103, 32, v103
	s_delay_alu instid0(VALU_DEP_1) | instskip(SKIP_1) | instid1(VALU_DEP_2)
	v_subrev_nc_u32_e32 v112, 28, v103
	v_sub_nc_u32_e32 v103, 29, v103
	v_lshlrev_b32_e32 v112, v112, v98
	v_bfe_u32 v98, v98, 3, 4
	s_delay_alu instid0(VALU_DEP_2) | instskip(NEXT) | instid1(VALU_DEP_2)
	v_and_b32_e32 v112, 7, v112
	v_cmp_eq_u32_e32 vcc_lo, 0, v98
	v_cndmask_b32_e32 v98, v98, v103, vcc_lo
	s_delay_alu instid0(VALU_DEP_3) | instskip(NEXT) | instid1(VALU_DEP_2)
	v_cndmask_b32_e32 v102, v102, v112, vcc_lo
	v_lshl_add_u32 v98, v98, 23, 0x3b800000
	s_delay_alu instid0(VALU_DEP_2) | instskip(NEXT) | instid1(VALU_DEP_1)
	v_lshlrev_b32_e32 v102, 20, v102
	v_or3_b32 v98, v66, v98, v102
.LBB6_10833:                            ;   in Loop: Header=BB6_9656 Depth=2
	s_or_b32 exec_lo, exec_lo, s23
	s_delay_alu instid0(VALU_DEP_1) | instskip(SKIP_2) | instid1(VALU_DEP_2)
	v_mul_f32_e32 v66, s22, v98
	v_mov_b32_e32 v102, 0x80
	s_mov_b32 s23, exec_lo
	v_and_b32_e32 v98, 0x7f800000, v66
	s_delay_alu instid0(VALU_DEP_1)
	v_cmpx_ne_u32_e32 0x7f800000, v98
	s_cbranch_execz .LBB6_10841
; %bb.10834:                            ;   in Loop: Header=BB6_9656 Depth=2
	v_mov_b32_e32 v102, 0
	s_mov_b32 s24, exec_lo
	v_cmpx_ne_u32_e32 0, v66
	s_cbranch_execz .LBB6_10840
; %bb.10835:                            ;   in Loop: Header=BB6_9656 Depth=2
	v_bfe_u32 v98, v66, 23, 8
	s_delay_alu instid0(VALU_DEP_1) | instskip(SKIP_1) | instid1(VALU_DEP_2)
	v_sub_nc_u32_e32 v103, 0x78, v98
	v_cmp_gt_u32_e32 vcc_lo, 0x79, v98
	v_dual_cndmask_b32 v103, 0, v103 :: v_dual_and_b32 v102, 0x7fffff, v66
	s_delay_alu instid0(VALU_DEP_1) | instskip(SKIP_2) | instid1(VALU_DEP_4)
	v_or_b32_e32 v112, 0x800000, v102
	v_cmp_eq_u32_e32 vcc_lo, 0, v98
	v_add_nc_u32_e32 v98, 0xffffff89, v98
	v_cndmask_b32_e64 v103, v103, 0x77, vcc_lo
	s_delay_alu instid0(VALU_DEP_4) | instskip(NEXT) | instid1(VALU_DEP_3)
	v_cndmask_b32_e32 v102, v112, v102, vcc_lo
	v_cndmask_b32_e64 v98, v98, 0xffffff8a, vcc_lo
	s_delay_alu instid0(VALU_DEP_3) | instskip(NEXT) | instid1(VALU_DEP_3)
	v_lshl_add_u32 v112, 0x100000, v103, -1
	v_lshrrev_b32_e32 v113, v103, v102
	v_lshlrev_b32_e64 v115, v103, 0x80000
	s_delay_alu instid0(VALU_DEP_4) | instskip(NEXT) | instid1(VALU_DEP_4)
	v_add_nc_u32_e32 v103, v103, v98
	v_and_b32_e32 v102, v112, v102
	s_delay_alu instid0(VALU_DEP_4) | instskip(NEXT) | instid1(VALU_DEP_2)
	v_bfe_u32 v114, v113, 20, 1
	v_cmp_eq_u32_e64 s10, v102, v115
	s_delay_alu instid0(VALU_DEP_2) | instskip(NEXT) | instid1(VALU_DEP_1)
	v_add_nc_u32_e32 v112, -1, v114
	v_cndmask_b32_e64 v102, 0, v112, s10
	v_lshrrev_b32_e32 v112, 23, v113
	s_mov_b32 s10, exec_lo
	s_delay_alu instid0(VALU_DEP_2) | instskip(NEXT) | instid1(VALU_DEP_2)
	v_add_nc_u32_e32 v102, v102, v113
	v_xor_b32_e32 v112, 1, v112
	s_delay_alu instid0(VALU_DEP_2) | instskip(NEXT) | instid1(VALU_DEP_1)
	v_and_b32_e32 v98, 0xfffff, v102
	v_add_nc_u32_e32 v102, v98, v113
                                        ; implicit-def: $vgpr98
	s_delay_alu instid0(VALU_DEP_3)
	v_cmpx_ne_u32_e64 v103, v112
	s_xor_b32 s10, exec_lo, s10
; %bb.10836:                            ;   in Loop: Header=BB6_9656 Depth=2
	s_delay_alu instid0(VALU_DEP_2) | instskip(SKIP_2) | instid1(VALU_DEP_2)
	v_cmp_lt_u32_e32 vcc_lo, 0xffffff, v102
	v_sub_nc_u32_e32 v98, v103, v112
	v_cndmask_b32_e64 v103, 0, 1, vcc_lo
	v_add_co_ci_u32_e32 v98, vcc_lo, 0, v98, vcc_lo
	s_delay_alu instid0(VALU_DEP_2)
	v_lshrrev_b32_e32 v102, v103, v102
; %bb.10837:                            ;   in Loop: Header=BB6_9656 Depth=2
	s_and_not1_saveexec_b32 s10, s10
; %bb.10838:                            ;   in Loop: Header=BB6_9656 Depth=2
	s_delay_alu instid0(VALU_DEP_1)
	v_bfe_u32 v98, v102, 23, 1
; %bb.10839:                            ;   in Loop: Header=BB6_9656 Depth=2
	s_or_b32 exec_lo, exec_lo, s10
	v_lshrrev_b32_e32 v102, 20, v102
	s_delay_alu instid0(VALU_DEP_2) | instskip(SKIP_2) | instid1(VALU_DEP_4)
	v_cmp_gt_i32_e32 vcc_lo, 16, v98
	v_lshrrev_b32_e32 v66, 24, v66
	v_min_i32_e32 v103, 15, v98
	v_cndmask_b32_e32 v102, 7, v102, vcc_lo
	s_delay_alu instid0(VALU_DEP_3) | instskip(NEXT) | instid1(VALU_DEP_3)
	v_and_b32_e32 v66, 0x80, v66
	v_lshlrev_b32_e32 v103, 3, v103
	s_delay_alu instid0(VALU_DEP_3) | instskip(SKIP_1) | instid1(VALU_DEP_2)
	v_and_b32_e32 v112, 7, v102
	v_or_b32_e32 v98, v98, v102
	v_or3_b32 v66, v103, v66, v112
	s_delay_alu instid0(VALU_DEP_2) | instskip(NEXT) | instid1(VALU_DEP_2)
	v_cmp_ne_u32_e32 vcc_lo, 0, v98
	v_cndmask_b32_e32 v102, 0, v66, vcc_lo
.LBB6_10840:                            ;   in Loop: Header=BB6_9656 Depth=2
	s_or_b32 exec_lo, exec_lo, s24
.LBB6_10841:                            ;   in Loop: Header=BB6_9656 Depth=2
	s_delay_alu instid0(SALU_CYCLE_1) | instskip(SKIP_3) | instid1(VALU_DEP_1)
	s_or_b32 exec_lo, exec_lo, s23
	v_lshrrev_b32_e32 v66, 16, v10
	s_mov_b32 s10, 0
	s_mov_b32 s24, exec_lo
                                        ; implicit-def: $sgpr23
	v_and_b32_e32 v103, 0xff, v66
	s_delay_alu instid0(VALU_DEP_1)
	v_cmpx_lt_i16_e32 0x7f, v103
	s_xor_b32 s24, exec_lo, s24
	s_cbranch_execnz .LBB6_11591
; %bb.10842:                            ;   in Loop: Header=BB6_9656 Depth=2
	s_or_saveexec_b32 s24, s24
	v_mov_b32_e32 v98, s23
	s_xor_b32 exec_lo, exec_lo, s24
	s_cbranch_execnz .LBB6_11594
.LBB6_10843:                            ;   in Loop: Header=BB6_9656 Depth=2
	s_or_b32 exec_lo, exec_lo, s24
	s_and_saveexec_b32 s23, s10
	s_cbranch_execz .LBB6_10845
.LBB6_10844:                            ;   in Loop: Header=BB6_9656 Depth=2
	v_bfe_u32 v98, v10, 16, 3
	v_lshlrev_b32_e32 v113, 8, v10
	s_delay_alu instid0(VALU_DEP_2) | instskip(NEXT) | instid1(VALU_DEP_1)
	v_clz_i32_u32_e32 v103, v98
	v_min_u32_e32 v103, 32, v103
	s_delay_alu instid0(VALU_DEP_1) | instskip(SKIP_1) | instid1(VALU_DEP_2)
	v_subrev_nc_u32_e32 v112, 28, v103
	v_sub_nc_u32_e32 v103, 29, v103
	v_lshlrev_b32_e32 v66, v112, v66
	v_bfe_u32 v112, v10, 19, 4
	s_delay_alu instid0(VALU_DEP_1) | instskip(NEXT) | instid1(VALU_DEP_3)
	v_cmp_eq_u32_e32 vcc_lo, 0, v112
	v_dual_cndmask_b32 v103, v112, v103 :: v_dual_and_b32 v66, 7, v66
	s_delay_alu instid0(VALU_DEP_1) | instskip(SKIP_1) | instid1(VALU_DEP_3)
	v_cndmask_b32_e32 v66, v98, v66, vcc_lo
	v_and_b32_e32 v98, 0x80000000, v113
	v_lshl_add_u32 v103, v103, 23, 0x3b800000
	s_delay_alu instid0(VALU_DEP_3) | instskip(NEXT) | instid1(VALU_DEP_1)
	v_lshlrev_b32_e32 v66, 20, v66
	v_or3_b32 v98, v98, v103, v66
.LBB6_10845:                            ;   in Loop: Header=BB6_9656 Depth=2
	s_or_b32 exec_lo, exec_lo, s23
	s_delay_alu instid0(VALU_DEP_1) | instskip(SKIP_2) | instid1(VALU_DEP_2)
	v_mul_f32_e32 v66, s22, v98
	v_mov_b32_e32 v112, 0x80
	s_mov_b32 s23, exec_lo
	v_and_b32_e32 v98, 0x7f800000, v66
	s_delay_alu instid0(VALU_DEP_1)
	v_cmpx_ne_u32_e32 0x7f800000, v98
	s_cbranch_execz .LBB6_10853
; %bb.10846:                            ;   in Loop: Header=BB6_9656 Depth=2
	v_mov_b32_e32 v112, 0
	s_mov_b32 s24, exec_lo
	v_cmpx_ne_u32_e32 0, v66
	s_cbranch_execz .LBB6_10852
; %bb.10847:                            ;   in Loop: Header=BB6_9656 Depth=2
	v_bfe_u32 v98, v66, 23, 8
	s_delay_alu instid0(VALU_DEP_1) | instskip(SKIP_1) | instid1(VALU_DEP_2)
	v_sub_nc_u32_e32 v112, 0x78, v98
	v_cmp_gt_u32_e32 vcc_lo, 0x79, v98
	v_dual_cndmask_b32 v112, 0, v112 :: v_dual_and_b32 v103, 0x7fffff, v66
	s_delay_alu instid0(VALU_DEP_1) | instskip(SKIP_2) | instid1(VALU_DEP_4)
	v_or_b32_e32 v113, 0x800000, v103
	v_cmp_eq_u32_e32 vcc_lo, 0, v98
	v_add_nc_u32_e32 v98, 0xffffff89, v98
	v_cndmask_b32_e64 v112, v112, 0x77, vcc_lo
	s_delay_alu instid0(VALU_DEP_4) | instskip(NEXT) | instid1(VALU_DEP_3)
	v_cndmask_b32_e32 v103, v113, v103, vcc_lo
	v_cndmask_b32_e64 v98, v98, 0xffffff8a, vcc_lo
	s_delay_alu instid0(VALU_DEP_3) | instskip(NEXT) | instid1(VALU_DEP_3)
	v_lshl_add_u32 v113, 0x100000, v112, -1
	v_lshrrev_b32_e32 v114, v112, v103
	v_lshlrev_b32_e64 v116, v112, 0x80000
	s_delay_alu instid0(VALU_DEP_4) | instskip(NEXT) | instid1(VALU_DEP_4)
	v_add_nc_u32_e32 v112, v112, v98
	v_and_b32_e32 v103, v113, v103
	s_delay_alu instid0(VALU_DEP_4) | instskip(NEXT) | instid1(VALU_DEP_2)
	v_bfe_u32 v115, v114, 20, 1
	v_cmp_eq_u32_e64 s10, v103, v116
	s_delay_alu instid0(VALU_DEP_2) | instskip(NEXT) | instid1(VALU_DEP_1)
	v_add_nc_u32_e32 v113, -1, v115
	v_cndmask_b32_e64 v103, 0, v113, s10
	v_lshrrev_b32_e32 v113, 23, v114
	s_mov_b32 s10, exec_lo
	s_delay_alu instid0(VALU_DEP_2) | instskip(NEXT) | instid1(VALU_DEP_2)
	v_add_nc_u32_e32 v103, v103, v114
	v_xor_b32_e32 v113, 1, v113
	s_delay_alu instid0(VALU_DEP_2) | instskip(NEXT) | instid1(VALU_DEP_1)
	v_and_b32_e32 v98, 0xfffff, v103
	v_add_nc_u32_e32 v103, v98, v114
                                        ; implicit-def: $vgpr98
	s_delay_alu instid0(VALU_DEP_3)
	v_cmpx_ne_u32_e64 v112, v113
	s_xor_b32 s10, exec_lo, s10
; %bb.10848:                            ;   in Loop: Header=BB6_9656 Depth=2
	s_delay_alu instid0(VALU_DEP_2) | instskip(SKIP_2) | instid1(VALU_DEP_2)
	v_cmp_lt_u32_e32 vcc_lo, 0xffffff, v103
	v_sub_nc_u32_e32 v98, v112, v113
	v_cndmask_b32_e64 v112, 0, 1, vcc_lo
	v_add_co_ci_u32_e32 v98, vcc_lo, 0, v98, vcc_lo
	s_delay_alu instid0(VALU_DEP_2)
	v_lshrrev_b32_e32 v103, v112, v103
; %bb.10849:                            ;   in Loop: Header=BB6_9656 Depth=2
	s_and_not1_saveexec_b32 s10, s10
; %bb.10850:                            ;   in Loop: Header=BB6_9656 Depth=2
	s_delay_alu instid0(VALU_DEP_1)
	v_bfe_u32 v98, v103, 23, 1
; %bb.10851:                            ;   in Loop: Header=BB6_9656 Depth=2
	s_or_b32 exec_lo, exec_lo, s10
	v_lshrrev_b32_e32 v103, 20, v103
	s_delay_alu instid0(VALU_DEP_2) | instskip(SKIP_2) | instid1(VALU_DEP_2)
	v_cmp_gt_i32_e32 vcc_lo, 16, v98
	v_lshrrev_b32_e32 v66, 24, v66
	v_min_i32_e32 v112, 15, v98
	v_dual_cndmask_b32 v103, 7, v103 :: v_dual_and_b32 v66, 0x80, v66
	s_delay_alu instid0(VALU_DEP_2) | instskip(NEXT) | instid1(VALU_DEP_2)
	v_lshlrev_b32_e32 v112, 3, v112
	v_or_b32_e32 v98, v98, v103
	s_delay_alu instid0(VALU_DEP_1) | instskip(SKIP_1) | instid1(VALU_DEP_1)
	v_cmp_ne_u32_e32 vcc_lo, 0, v98
	v_and_b32_e32 v113, 7, v103
	v_or3_b32 v66, v112, v66, v113
	s_delay_alu instid0(VALU_DEP_1)
	v_cndmask_b32_e32 v112, 0, v66, vcc_lo
.LBB6_10852:                            ;   in Loop: Header=BB6_9656 Depth=2
	s_or_b32 exec_lo, exec_lo, s24
.LBB6_10853:                            ;   in Loop: Header=BB6_9656 Depth=2
	s_delay_alu instid0(SALU_CYCLE_1) | instskip(SKIP_3) | instid1(VALU_DEP_1)
	s_or_b32 exec_lo, exec_lo, s23
	v_lshrrev_b32_e32 v66, 24, v10
	s_mov_b32 s10, 0
	s_mov_b32 s24, exec_lo
                                        ; implicit-def: $sgpr23
	v_cmpx_lt_i16_e32 0x7f, v66
	s_xor_b32 s24, exec_lo, s24
	s_cbranch_execnz .LBB6_11595
; %bb.10854:                            ;   in Loop: Header=BB6_9656 Depth=2
	s_or_saveexec_b32 s24, s24
	v_mov_b32_e32 v98, s23
	s_xor_b32 exec_lo, exec_lo, s24
	s_cbranch_execnz .LBB6_11598
.LBB6_10855:                            ;   in Loop: Header=BB6_9656 Depth=2
	s_or_b32 exec_lo, exec_lo, s24
	s_and_saveexec_b32 s23, s10
	s_cbranch_execz .LBB6_10857
.LBB6_10856:                            ;   in Loop: Header=BB6_9656 Depth=2
	v_bfe_u32 v98, v10, 24, 3
	s_delay_alu instid0(VALU_DEP_1) | instskip(NEXT) | instid1(VALU_DEP_1)
	v_clz_i32_u32_e32 v103, v98
	v_min_u32_e32 v103, 32, v103
	s_delay_alu instid0(VALU_DEP_1) | instskip(SKIP_1) | instid1(VALU_DEP_2)
	v_subrev_nc_u32_e32 v113, 28, v103
	v_sub_nc_u32_e32 v103, 29, v103
	v_lshlrev_b32_e32 v66, v113, v66
	v_bfe_u32 v113, v10, 27, 4
	v_and_b32_e32 v10, 0x80000000, v10
	s_delay_alu instid0(VALU_DEP_2) | instskip(NEXT) | instid1(VALU_DEP_4)
	v_cmp_eq_u32_e32 vcc_lo, 0, v113
	v_dual_cndmask_b32 v103, v113, v103 :: v_dual_and_b32 v66, 7, v66
	s_delay_alu instid0(VALU_DEP_1) | instskip(NEXT) | instid1(VALU_DEP_2)
	v_cndmask_b32_e32 v66, v98, v66, vcc_lo
	v_lshl_add_u32 v98, v103, 23, 0x3b800000
	s_delay_alu instid0(VALU_DEP_2) | instskip(NEXT) | instid1(VALU_DEP_1)
	v_lshlrev_b32_e32 v66, 20, v66
	v_or3_b32 v98, v10, v98, v66
.LBB6_10857:                            ;   in Loop: Header=BB6_9656 Depth=2
	s_or_b32 exec_lo, exec_lo, s23
	s_delay_alu instid0(VALU_DEP_1) | instskip(SKIP_2) | instid1(VALU_DEP_2)
	v_mul_f32_e32 v10, s22, v98
	v_mov_b32_e32 v114, 0x80
	s_mov_b32 s23, exec_lo
	v_and_b32_e32 v66, 0x7f800000, v10
	s_delay_alu instid0(VALU_DEP_1)
	v_cmpx_ne_u32_e32 0x7f800000, v66
	s_cbranch_execz .LBB6_10865
; %bb.10858:                            ;   in Loop: Header=BB6_9656 Depth=2
	v_mov_b32_e32 v114, 0
	s_mov_b32 s24, exec_lo
	v_cmpx_ne_u32_e32 0, v10
	s_cbranch_execz .LBB6_10864
; %bb.10859:                            ;   in Loop: Header=BB6_9656 Depth=2
	v_bfe_u32 v66, v10, 23, 8
	s_delay_alu instid0(VALU_DEP_1) | instskip(SKIP_1) | instid1(VALU_DEP_2)
	v_sub_nc_u32_e32 v103, 0x78, v66
	v_cmp_gt_u32_e32 vcc_lo, 0x79, v66
	v_dual_cndmask_b32 v103, 0, v103 :: v_dual_and_b32 v98, 0x7fffff, v10
	s_delay_alu instid0(VALU_DEP_1) | instskip(SKIP_2) | instid1(VALU_DEP_4)
	v_or_b32_e32 v113, 0x800000, v98
	v_cmp_eq_u32_e32 vcc_lo, 0, v66
	v_add_nc_u32_e32 v66, 0xffffff89, v66
	v_cndmask_b32_e64 v103, v103, 0x77, vcc_lo
	s_delay_alu instid0(VALU_DEP_4) | instskip(NEXT) | instid1(VALU_DEP_3)
	v_cndmask_b32_e32 v98, v113, v98, vcc_lo
	v_cndmask_b32_e64 v66, v66, 0xffffff8a, vcc_lo
	s_delay_alu instid0(VALU_DEP_3) | instskip(NEXT) | instid1(VALU_DEP_3)
	v_lshl_add_u32 v113, 0x100000, v103, -1
	v_lshrrev_b32_e32 v114, v103, v98
	v_lshlrev_b32_e64 v116, v103, 0x80000
	s_delay_alu instid0(VALU_DEP_4) | instskip(NEXT) | instid1(VALU_DEP_4)
	v_add_nc_u32_e32 v103, v103, v66
	v_and_b32_e32 v98, v113, v98
	s_delay_alu instid0(VALU_DEP_4) | instskip(NEXT) | instid1(VALU_DEP_2)
	v_bfe_u32 v115, v114, 20, 1
	v_cmp_eq_u32_e64 s10, v98, v116
	s_delay_alu instid0(VALU_DEP_2) | instskip(NEXT) | instid1(VALU_DEP_1)
	v_add_nc_u32_e32 v113, -1, v115
	v_cndmask_b32_e64 v98, 0, v113, s10
	v_lshrrev_b32_e32 v113, 23, v114
	s_mov_b32 s10, exec_lo
	s_delay_alu instid0(VALU_DEP_2) | instskip(NEXT) | instid1(VALU_DEP_2)
	v_add_nc_u32_e32 v98, v98, v114
	v_xor_b32_e32 v113, 1, v113
	s_delay_alu instid0(VALU_DEP_2) | instskip(NEXT) | instid1(VALU_DEP_1)
	v_and_b32_e32 v66, 0xfffff, v98
	v_add_nc_u32_e32 v98, v66, v114
                                        ; implicit-def: $vgpr66
	s_delay_alu instid0(VALU_DEP_3)
	v_cmpx_ne_u32_e64 v103, v113
	s_xor_b32 s10, exec_lo, s10
; %bb.10860:                            ;   in Loop: Header=BB6_9656 Depth=2
	s_delay_alu instid0(VALU_DEP_2) | instskip(SKIP_2) | instid1(VALU_DEP_2)
	v_cmp_lt_u32_e32 vcc_lo, 0xffffff, v98
	v_sub_nc_u32_e32 v66, v103, v113
	v_cndmask_b32_e64 v103, 0, 1, vcc_lo
	v_add_co_ci_u32_e32 v66, vcc_lo, 0, v66, vcc_lo
	s_delay_alu instid0(VALU_DEP_2)
	v_lshrrev_b32_e32 v98, v103, v98
; %bb.10861:                            ;   in Loop: Header=BB6_9656 Depth=2
	s_and_not1_saveexec_b32 s10, s10
; %bb.10862:                            ;   in Loop: Header=BB6_9656 Depth=2
	s_delay_alu instid0(VALU_DEP_1)
	v_bfe_u32 v66, v98, 23, 1
; %bb.10863:                            ;   in Loop: Header=BB6_9656 Depth=2
	s_or_b32 exec_lo, exec_lo, s10
	v_lshrrev_b32_e32 v98, 20, v98
	s_delay_alu instid0(VALU_DEP_2) | instskip(SKIP_2) | instid1(VALU_DEP_4)
	v_cmp_gt_i32_e32 vcc_lo, 16, v66
	v_lshrrev_b32_e32 v10, 24, v10
	v_min_i32_e32 v103, 15, v66
	v_cndmask_b32_e32 v98, 7, v98, vcc_lo
	s_delay_alu instid0(VALU_DEP_3) | instskip(NEXT) | instid1(VALU_DEP_3)
	v_and_b32_e32 v10, 0x80, v10
	v_lshlrev_b32_e32 v103, 3, v103
	s_delay_alu instid0(VALU_DEP_3) | instskip(SKIP_1) | instid1(VALU_DEP_2)
	v_and_b32_e32 v113, 7, v98
	v_or_b32_e32 v66, v66, v98
	v_or3_b32 v10, v103, v10, v113
	s_delay_alu instid0(VALU_DEP_2) | instskip(NEXT) | instid1(VALU_DEP_2)
	v_cmp_ne_u32_e32 vcc_lo, 0, v66
	v_cndmask_b32_e32 v114, 0, v10, vcc_lo
.LBB6_10864:                            ;   in Loop: Header=BB6_9656 Depth=2
	s_or_b32 exec_lo, exec_lo, s24
.LBB6_10865:                            ;   in Loop: Header=BB6_9656 Depth=2
	s_delay_alu instid0(SALU_CYCLE_1) | instskip(SKIP_3) | instid1(VALU_DEP_1)
	s_or_b32 exec_lo, exec_lo, s23
	v_and_b32_e32 v66, 0xff, v11
	s_mov_b32 s10, 0
	s_mov_b32 s24, exec_lo
                                        ; implicit-def: $sgpr23
	v_cmpx_lt_i16_e32 0x7f, v66
	s_xor_b32 s24, exec_lo, s24
	s_cbranch_execnz .LBB6_11599
; %bb.10866:                            ;   in Loop: Header=BB6_9656 Depth=2
	s_or_saveexec_b32 s24, s24
	v_mov_b32_e32 v10, s23
	s_xor_b32 exec_lo, exec_lo, s24
	s_cbranch_execnz .LBB6_11602
.LBB6_10867:                            ;   in Loop: Header=BB6_9656 Depth=2
	s_or_b32 exec_lo, exec_lo, s24
	s_and_saveexec_b32 s23, s10
	s_cbranch_execz .LBB6_10869
.LBB6_10868:                            ;   in Loop: Header=BB6_9656 Depth=2
	v_and_b32_e32 v10, 7, v11
	v_bfe_u32 v103, v11, 3, 4
	s_delay_alu instid0(VALU_DEP_2) | instskip(NEXT) | instid1(VALU_DEP_2)
	v_clz_i32_u32_e32 v66, v10
	v_cmp_eq_u32_e32 vcc_lo, 0, v103
	s_delay_alu instid0(VALU_DEP_2) | instskip(NEXT) | instid1(VALU_DEP_1)
	v_min_u32_e32 v66, 32, v66
	v_subrev_nc_u32_e32 v98, 28, v66
	v_sub_nc_u32_e32 v66, 29, v66
	v_lshlrev_b32_e32 v113, 24, v11
	s_delay_alu instid0(VALU_DEP_3) | instskip(NEXT) | instid1(VALU_DEP_3)
	v_lshlrev_b32_e32 v98, v98, v11
	v_cndmask_b32_e32 v66, v103, v66, vcc_lo
	s_delay_alu instid0(VALU_DEP_2) | instskip(NEXT) | instid1(VALU_DEP_2)
	v_and_b32_e32 v98, 7, v98
	v_lshl_add_u32 v66, v66, 23, 0x3b800000
	s_delay_alu instid0(VALU_DEP_2) | instskip(SKIP_1) | instid1(VALU_DEP_2)
	v_cndmask_b32_e32 v10, v10, v98, vcc_lo
	v_and_b32_e32 v98, 0x80000000, v113
	v_lshlrev_b32_e32 v10, 20, v10
	s_delay_alu instid0(VALU_DEP_1)
	v_or3_b32 v10, v98, v66, v10
.LBB6_10869:                            ;   in Loop: Header=BB6_9656 Depth=2
	s_or_b32 exec_lo, exec_lo, s23
	s_delay_alu instid0(VALU_DEP_1) | instskip(SKIP_1) | instid1(VALU_DEP_1)
	v_dual_mul_f32 v10, s22, v10 :: v_dual_mov_b32 v103, 0x80
	s_mov_b32 s23, exec_lo
	v_and_b32_e32 v66, 0x7f800000, v10
	s_delay_alu instid0(VALU_DEP_1)
	v_cmpx_ne_u32_e32 0x7f800000, v66
	s_cbranch_execz .LBB6_10877
; %bb.10870:                            ;   in Loop: Header=BB6_9656 Depth=2
	v_mov_b32_e32 v103, 0
	s_mov_b32 s24, exec_lo
	v_cmpx_ne_u32_e32 0, v10
	s_cbranch_execz .LBB6_10876
; %bb.10871:                            ;   in Loop: Header=BB6_9656 Depth=2
	v_bfe_u32 v66, v10, 23, 8
	s_delay_alu instid0(VALU_DEP_1) | instskip(SKIP_1) | instid1(VALU_DEP_2)
	v_sub_nc_u32_e32 v103, 0x78, v66
	v_cmp_gt_u32_e32 vcc_lo, 0x79, v66
	v_dual_cndmask_b32 v103, 0, v103 :: v_dual_and_b32 v98, 0x7fffff, v10
	s_delay_alu instid0(VALU_DEP_1) | instskip(SKIP_2) | instid1(VALU_DEP_4)
	v_or_b32_e32 v113, 0x800000, v98
	v_cmp_eq_u32_e32 vcc_lo, 0, v66
	v_add_nc_u32_e32 v66, 0xffffff89, v66
	v_cndmask_b32_e64 v103, v103, 0x77, vcc_lo
	s_delay_alu instid0(VALU_DEP_4) | instskip(NEXT) | instid1(VALU_DEP_3)
	v_cndmask_b32_e32 v98, v113, v98, vcc_lo
	v_cndmask_b32_e64 v66, v66, 0xffffff8a, vcc_lo
	s_delay_alu instid0(VALU_DEP_3) | instskip(NEXT) | instid1(VALU_DEP_3)
	v_lshl_add_u32 v113, 0x100000, v103, -1
	v_lshrrev_b32_e32 v115, v103, v98
	v_lshlrev_b32_e64 v117, v103, 0x80000
	s_delay_alu instid0(VALU_DEP_4) | instskip(NEXT) | instid1(VALU_DEP_4)
	v_add_nc_u32_e32 v103, v103, v66
	v_and_b32_e32 v98, v113, v98
	s_delay_alu instid0(VALU_DEP_4) | instskip(NEXT) | instid1(VALU_DEP_2)
	v_bfe_u32 v116, v115, 20, 1
	v_cmp_eq_u32_e64 s10, v98, v117
	s_delay_alu instid0(VALU_DEP_2) | instskip(NEXT) | instid1(VALU_DEP_1)
	v_add_nc_u32_e32 v113, -1, v116
	v_cndmask_b32_e64 v98, 0, v113, s10
	v_lshrrev_b32_e32 v113, 23, v115
	s_mov_b32 s10, exec_lo
	s_delay_alu instid0(VALU_DEP_2) | instskip(NEXT) | instid1(VALU_DEP_2)
	v_add_nc_u32_e32 v98, v98, v115
	v_xor_b32_e32 v113, 1, v113
	s_delay_alu instid0(VALU_DEP_2) | instskip(NEXT) | instid1(VALU_DEP_1)
	v_and_b32_e32 v66, 0xfffff, v98
	v_add_nc_u32_e32 v98, v66, v115
                                        ; implicit-def: $vgpr66
	s_delay_alu instid0(VALU_DEP_3)
	v_cmpx_ne_u32_e64 v103, v113
	s_xor_b32 s10, exec_lo, s10
; %bb.10872:                            ;   in Loop: Header=BB6_9656 Depth=2
	s_delay_alu instid0(VALU_DEP_2) | instskip(SKIP_2) | instid1(VALU_DEP_2)
	v_cmp_lt_u32_e32 vcc_lo, 0xffffff, v98
	v_sub_nc_u32_e32 v66, v103, v113
	v_cndmask_b32_e64 v103, 0, 1, vcc_lo
	v_add_co_ci_u32_e32 v66, vcc_lo, 0, v66, vcc_lo
	s_delay_alu instid0(VALU_DEP_2)
	v_lshrrev_b32_e32 v98, v103, v98
; %bb.10873:                            ;   in Loop: Header=BB6_9656 Depth=2
	s_and_not1_saveexec_b32 s10, s10
; %bb.10874:                            ;   in Loop: Header=BB6_9656 Depth=2
	s_delay_alu instid0(VALU_DEP_1)
	v_bfe_u32 v66, v98, 23, 1
; %bb.10875:                            ;   in Loop: Header=BB6_9656 Depth=2
	s_or_b32 exec_lo, exec_lo, s10
	v_lshrrev_b32_e32 v98, 20, v98
	s_delay_alu instid0(VALU_DEP_2) | instskip(SKIP_2) | instid1(VALU_DEP_3)
	v_min_i32_e32 v103, 15, v66
	v_cmp_gt_i32_e32 vcc_lo, 16, v66
	v_lshrrev_b32_e32 v10, 24, v10
	v_dual_cndmask_b32 v98, 7, v98 :: v_dual_lshlrev_b32 v103, 3, v103
	s_delay_alu instid0(VALU_DEP_2) | instskip(NEXT) | instid1(VALU_DEP_2)
	v_and_b32_e32 v10, 0x80, v10
	v_and_b32_e32 v103, 0xf8, v103
	s_delay_alu instid0(VALU_DEP_3) | instskip(SKIP_1) | instid1(VALU_DEP_2)
	v_and_b32_e32 v113, 7, v98
	v_or_b32_e32 v66, v66, v98
	v_or3_b32 v10, v103, v10, v113
	s_delay_alu instid0(VALU_DEP_2) | instskip(NEXT) | instid1(VALU_DEP_2)
	v_cmp_ne_u32_e32 vcc_lo, 0, v66
	v_cndmask_b32_e32 v103, 0, v10, vcc_lo
.LBB6_10876:                            ;   in Loop: Header=BB6_9656 Depth=2
	s_or_b32 exec_lo, exec_lo, s24
.LBB6_10877:                            ;   in Loop: Header=BB6_9656 Depth=2
	s_delay_alu instid0(SALU_CYCLE_1) | instskip(SKIP_3) | instid1(VALU_DEP_1)
	s_or_b32 exec_lo, exec_lo, s23
	v_lshrrev_b16 v10, 8, v11
	s_mov_b32 s10, 0
	s_mov_b32 s24, exec_lo
                                        ; implicit-def: $sgpr23
	v_cmpx_lt_i16_e32 0x7f, v10
	s_xor_b32 s24, exec_lo, s24
	s_cbranch_execnz .LBB6_11603
; %bb.10878:                            ;   in Loop: Header=BB6_9656 Depth=2
	s_or_saveexec_b32 s24, s24
	v_mov_b32_e32 v66, s23
	s_xor_b32 exec_lo, exec_lo, s24
	s_cbranch_execnz .LBB6_11606
.LBB6_10879:                            ;   in Loop: Header=BB6_9656 Depth=2
	s_or_b32 exec_lo, exec_lo, s24
	s_and_saveexec_b32 s23, s10
	s_cbranch_execz .LBB6_10881
.LBB6_10880:                            ;   in Loop: Header=BB6_9656 Depth=2
	v_and_b32_e32 v66, 0xffff, v10
	v_lshlrev_b32_e32 v10, 24, v10
	s_delay_alu instid0(VALU_DEP_2) | instskip(NEXT) | instid1(VALU_DEP_2)
	v_and_b32_e32 v98, 7, v66
	v_and_b32_e32 v10, 0x80000000, v10
	s_delay_alu instid0(VALU_DEP_2) | instskip(NEXT) | instid1(VALU_DEP_1)
	v_clz_i32_u32_e32 v113, v98
	v_min_u32_e32 v113, 32, v113
	s_delay_alu instid0(VALU_DEP_1) | instskip(SKIP_1) | instid1(VALU_DEP_2)
	v_subrev_nc_u32_e32 v115, 28, v113
	v_sub_nc_u32_e32 v113, 29, v113
	v_lshlrev_b32_e32 v115, v115, v66
	v_bfe_u32 v66, v66, 3, 4
	s_delay_alu instid0(VALU_DEP_1) | instskip(NEXT) | instid1(VALU_DEP_3)
	v_cmp_eq_u32_e32 vcc_lo, 0, v66
	v_dual_cndmask_b32 v66, v66, v113 :: v_dual_and_b32 v115, 7, v115
	s_delay_alu instid0(VALU_DEP_1) | instskip(NEXT) | instid1(VALU_DEP_2)
	v_lshl_add_u32 v66, v66, 23, 0x3b800000
	v_cndmask_b32_e32 v98, v98, v115, vcc_lo
	s_delay_alu instid0(VALU_DEP_1) | instskip(NEXT) | instid1(VALU_DEP_1)
	v_lshlrev_b32_e32 v98, 20, v98
	v_or3_b32 v66, v10, v66, v98
.LBB6_10881:                            ;   in Loop: Header=BB6_9656 Depth=2
	s_or_b32 exec_lo, exec_lo, s23
	s_delay_alu instid0(VALU_DEP_1) | instskip(SKIP_1) | instid1(VALU_DEP_1)
	v_dual_mul_f32 v10, s22, v66 :: v_dual_mov_b32 v113, 0x8000
	s_mov_b32 s23, exec_lo
	v_and_b32_e32 v66, 0x7f800000, v10
	s_delay_alu instid0(VALU_DEP_1)
	v_cmpx_ne_u32_e32 0x7f800000, v66
	s_cbranch_execz .LBB6_10889
; %bb.10882:                            ;   in Loop: Header=BB6_9656 Depth=2
	v_mov_b32_e32 v113, 0
	s_mov_b32 s24, exec_lo
	v_cmpx_ne_u32_e32 0, v10
	s_cbranch_execz .LBB6_10888
; %bb.10883:                            ;   in Loop: Header=BB6_9656 Depth=2
	v_bfe_u32 v66, v10, 23, 8
	s_delay_alu instid0(VALU_DEP_1) | instskip(SKIP_1) | instid1(VALU_DEP_2)
	v_sub_nc_u32_e32 v113, 0x78, v66
	v_cmp_gt_u32_e32 vcc_lo, 0x79, v66
	v_dual_cndmask_b32 v113, 0, v113 :: v_dual_and_b32 v98, 0x7fffff, v10
	s_delay_alu instid0(VALU_DEP_1) | instskip(SKIP_2) | instid1(VALU_DEP_4)
	v_or_b32_e32 v115, 0x800000, v98
	v_cmp_eq_u32_e32 vcc_lo, 0, v66
	v_add_nc_u32_e32 v66, 0xffffff89, v66
	v_cndmask_b32_e64 v113, v113, 0x77, vcc_lo
	s_delay_alu instid0(VALU_DEP_4) | instskip(NEXT) | instid1(VALU_DEP_3)
	v_cndmask_b32_e32 v98, v115, v98, vcc_lo
	v_cndmask_b32_e64 v66, v66, 0xffffff8a, vcc_lo
	s_delay_alu instid0(VALU_DEP_3) | instskip(NEXT) | instid1(VALU_DEP_3)
	v_lshl_add_u32 v115, 0x100000, v113, -1
	v_lshrrev_b32_e32 v116, v113, v98
	v_lshlrev_b32_e64 v118, v113, 0x80000
	s_delay_alu instid0(VALU_DEP_4) | instskip(NEXT) | instid1(VALU_DEP_4)
	v_add_nc_u32_e32 v113, v113, v66
	v_and_b32_e32 v98, v115, v98
	s_delay_alu instid0(VALU_DEP_4) | instskip(NEXT) | instid1(VALU_DEP_2)
	v_bfe_u32 v117, v116, 20, 1
	v_cmp_eq_u32_e64 s10, v98, v118
	s_delay_alu instid0(VALU_DEP_2) | instskip(NEXT) | instid1(VALU_DEP_1)
	v_add_nc_u32_e32 v115, -1, v117
	v_cndmask_b32_e64 v98, 0, v115, s10
	v_lshrrev_b32_e32 v115, 23, v116
	s_mov_b32 s10, exec_lo
	s_delay_alu instid0(VALU_DEP_2) | instskip(NEXT) | instid1(VALU_DEP_2)
	v_add_nc_u32_e32 v98, v98, v116
	v_xor_b32_e32 v115, 1, v115
	s_delay_alu instid0(VALU_DEP_2) | instskip(NEXT) | instid1(VALU_DEP_1)
	v_and_b32_e32 v66, 0xfffff, v98
	v_add_nc_u32_e32 v98, v66, v116
                                        ; implicit-def: $vgpr66
	s_delay_alu instid0(VALU_DEP_3)
	v_cmpx_ne_u32_e64 v113, v115
	s_xor_b32 s10, exec_lo, s10
; %bb.10884:                            ;   in Loop: Header=BB6_9656 Depth=2
	s_delay_alu instid0(VALU_DEP_2) | instskip(SKIP_2) | instid1(VALU_DEP_2)
	v_cmp_lt_u32_e32 vcc_lo, 0xffffff, v98
	v_sub_nc_u32_e32 v66, v113, v115
	v_cndmask_b32_e64 v113, 0, 1, vcc_lo
	v_add_co_ci_u32_e32 v66, vcc_lo, 0, v66, vcc_lo
	s_delay_alu instid0(VALU_DEP_2)
	v_lshrrev_b32_e32 v98, v113, v98
; %bb.10885:                            ;   in Loop: Header=BB6_9656 Depth=2
	s_and_not1_saveexec_b32 s10, s10
; %bb.10886:                            ;   in Loop: Header=BB6_9656 Depth=2
	s_delay_alu instid0(VALU_DEP_1)
	v_bfe_u32 v66, v98, 23, 1
; %bb.10887:                            ;   in Loop: Header=BB6_9656 Depth=2
	s_or_b32 exec_lo, exec_lo, s10
	v_lshrrev_b32_e32 v98, 20, v98
	s_delay_alu instid0(VALU_DEP_2) | instskip(SKIP_2) | instid1(VALU_DEP_3)
	v_min_i32_e32 v113, 15, v66
	v_cmp_gt_i32_e32 vcc_lo, 16, v66
	v_lshrrev_b32_e32 v10, 24, v10
	v_dual_cndmask_b32 v98, 7, v98 :: v_dual_lshlrev_b32 v113, 3, v113
	s_delay_alu instid0(VALU_DEP_2) | instskip(NEXT) | instid1(VALU_DEP_2)
	v_and_b32_e32 v10, 0x80, v10
	v_and_b32_e32 v113, 0xf8, v113
	s_delay_alu instid0(VALU_DEP_3) | instskip(SKIP_1) | instid1(VALU_DEP_2)
	v_and_b32_e32 v115, 7, v98
	v_or_b32_e32 v66, v66, v98
	v_or3_b32 v10, v10, v113, v115
	s_delay_alu instid0(VALU_DEP_2) | instskip(NEXT) | instid1(VALU_DEP_2)
	v_cmp_ne_u32_e32 vcc_lo, 0, v66
	v_lshlrev_b32_e32 v10, 8, v10
	s_delay_alu instid0(VALU_DEP_1)
	v_cndmask_b32_e32 v113, 0, v10, vcc_lo
.LBB6_10888:                            ;   in Loop: Header=BB6_9656 Depth=2
	s_or_b32 exec_lo, exec_lo, s24
.LBB6_10889:                            ;   in Loop: Header=BB6_9656 Depth=2
	s_delay_alu instid0(SALU_CYCLE_1) | instskip(SKIP_3) | instid1(VALU_DEP_1)
	s_or_b32 exec_lo, exec_lo, s23
	v_lshrrev_b32_e32 v10, 16, v11
	s_mov_b32 s10, 0
	s_mov_b32 s24, exec_lo
                                        ; implicit-def: $sgpr23
	v_and_b32_e32 v98, 0xff, v10
	s_delay_alu instid0(VALU_DEP_1)
	v_cmpx_lt_i16_e32 0x7f, v98
	s_xor_b32 s24, exec_lo, s24
	s_cbranch_execnz .LBB6_11607
; %bb.10890:                            ;   in Loop: Header=BB6_9656 Depth=2
	s_or_saveexec_b32 s24, s24
	v_mov_b32_e32 v66, s23
	s_xor_b32 exec_lo, exec_lo, s24
	s_cbranch_execnz .LBB6_11610
.LBB6_10891:                            ;   in Loop: Header=BB6_9656 Depth=2
	s_or_b32 exec_lo, exec_lo, s24
	s_and_saveexec_b32 s23, s10
	s_cbranch_execz .LBB6_10893
.LBB6_10892:                            ;   in Loop: Header=BB6_9656 Depth=2
	v_bfe_u32 v66, v11, 16, 3
	v_lshlrev_b32_e32 v116, 8, v11
	s_delay_alu instid0(VALU_DEP_2) | instskip(NEXT) | instid1(VALU_DEP_1)
	v_clz_i32_u32_e32 v98, v66
	v_min_u32_e32 v98, 32, v98
	s_delay_alu instid0(VALU_DEP_1) | instskip(SKIP_1) | instid1(VALU_DEP_2)
	v_subrev_nc_u32_e32 v115, 28, v98
	v_sub_nc_u32_e32 v98, 29, v98
	v_lshlrev_b32_e32 v10, v115, v10
	v_bfe_u32 v115, v11, 19, 4
	s_delay_alu instid0(VALU_DEP_2) | instskip(NEXT) | instid1(VALU_DEP_2)
	v_and_b32_e32 v10, 7, v10
	v_cmp_eq_u32_e32 vcc_lo, 0, v115
	v_cndmask_b32_e32 v98, v115, v98, vcc_lo
	s_delay_alu instid0(VALU_DEP_3) | instskip(SKIP_1) | instid1(VALU_DEP_3)
	v_cndmask_b32_e32 v10, v66, v10, vcc_lo
	v_and_b32_e32 v66, 0x80000000, v116
	v_lshl_add_u32 v98, v98, 23, 0x3b800000
	s_delay_alu instid0(VALU_DEP_3) | instskip(NEXT) | instid1(VALU_DEP_1)
	v_lshlrev_b32_e32 v10, 20, v10
	v_or3_b32 v66, v66, v98, v10
.LBB6_10893:                            ;   in Loop: Header=BB6_9656 Depth=2
	s_or_b32 exec_lo, exec_lo, s23
	s_delay_alu instid0(VALU_DEP_1) | instskip(SKIP_2) | instid1(VALU_DEP_2)
	v_mul_f32_e32 v10, s22, v66
	v_mov_b32_e32 v116, 0x80
	s_mov_b32 s23, exec_lo
	v_and_b32_e32 v66, 0x7f800000, v10
	s_delay_alu instid0(VALU_DEP_1)
	v_cmpx_ne_u32_e32 0x7f800000, v66
	s_cbranch_execz .LBB6_10901
; %bb.10894:                            ;   in Loop: Header=BB6_9656 Depth=2
	v_mov_b32_e32 v116, 0
	s_mov_b32 s24, exec_lo
	v_cmpx_ne_u32_e32 0, v10
	s_cbranch_execz .LBB6_10900
; %bb.10895:                            ;   in Loop: Header=BB6_9656 Depth=2
	v_bfe_u32 v66, v10, 23, 8
	s_delay_alu instid0(VALU_DEP_1) | instskip(SKIP_1) | instid1(VALU_DEP_2)
	v_sub_nc_u32_e32 v115, 0x78, v66
	v_cmp_gt_u32_e32 vcc_lo, 0x79, v66
	v_dual_cndmask_b32 v115, 0, v115 :: v_dual_and_b32 v98, 0x7fffff, v10
	s_delay_alu instid0(VALU_DEP_1) | instskip(SKIP_2) | instid1(VALU_DEP_4)
	v_or_b32_e32 v116, 0x800000, v98
	v_cmp_eq_u32_e32 vcc_lo, 0, v66
	v_add_nc_u32_e32 v66, 0xffffff89, v66
	v_cndmask_b32_e64 v115, v115, 0x77, vcc_lo
	s_delay_alu instid0(VALU_DEP_4) | instskip(NEXT) | instid1(VALU_DEP_3)
	v_cndmask_b32_e32 v98, v116, v98, vcc_lo
	v_cndmask_b32_e64 v66, v66, 0xffffff8a, vcc_lo
	s_delay_alu instid0(VALU_DEP_3) | instskip(NEXT) | instid1(VALU_DEP_3)
	v_lshl_add_u32 v116, 0x100000, v115, -1
	v_lshrrev_b32_e32 v117, v115, v98
	v_lshlrev_b32_e64 v119, v115, 0x80000
	s_delay_alu instid0(VALU_DEP_4) | instskip(NEXT) | instid1(VALU_DEP_4)
	v_add_nc_u32_e32 v115, v115, v66
	v_and_b32_e32 v98, v116, v98
	s_delay_alu instid0(VALU_DEP_4) | instskip(NEXT) | instid1(VALU_DEP_2)
	v_bfe_u32 v118, v117, 20, 1
	v_cmp_eq_u32_e64 s10, v98, v119
	s_delay_alu instid0(VALU_DEP_2) | instskip(NEXT) | instid1(VALU_DEP_1)
	v_add_nc_u32_e32 v116, -1, v118
	v_cndmask_b32_e64 v98, 0, v116, s10
	v_lshrrev_b32_e32 v116, 23, v117
	s_mov_b32 s10, exec_lo
	s_delay_alu instid0(VALU_DEP_2) | instskip(NEXT) | instid1(VALU_DEP_2)
	v_add_nc_u32_e32 v98, v98, v117
	v_xor_b32_e32 v116, 1, v116
	s_delay_alu instid0(VALU_DEP_2) | instskip(NEXT) | instid1(VALU_DEP_1)
	v_and_b32_e32 v66, 0xfffff, v98
	v_add_nc_u32_e32 v98, v66, v117
                                        ; implicit-def: $vgpr66
	s_delay_alu instid0(VALU_DEP_3)
	v_cmpx_ne_u32_e64 v115, v116
	s_xor_b32 s10, exec_lo, s10
; %bb.10896:                            ;   in Loop: Header=BB6_9656 Depth=2
	s_delay_alu instid0(VALU_DEP_2) | instskip(SKIP_2) | instid1(VALU_DEP_2)
	v_cmp_lt_u32_e32 vcc_lo, 0xffffff, v98
	v_sub_nc_u32_e32 v66, v115, v116
	v_cndmask_b32_e64 v115, 0, 1, vcc_lo
	v_add_co_ci_u32_e32 v66, vcc_lo, 0, v66, vcc_lo
	s_delay_alu instid0(VALU_DEP_2)
	v_lshrrev_b32_e32 v98, v115, v98
; %bb.10897:                            ;   in Loop: Header=BB6_9656 Depth=2
	s_and_not1_saveexec_b32 s10, s10
; %bb.10898:                            ;   in Loop: Header=BB6_9656 Depth=2
	s_delay_alu instid0(VALU_DEP_1)
	v_bfe_u32 v66, v98, 23, 1
; %bb.10899:                            ;   in Loop: Header=BB6_9656 Depth=2
	s_or_b32 exec_lo, exec_lo, s10
	v_lshrrev_b32_e32 v98, 20, v98
	s_delay_alu instid0(VALU_DEP_2) | instskip(SKIP_2) | instid1(VALU_DEP_2)
	v_cmp_gt_i32_e32 vcc_lo, 16, v66
	v_min_i32_e32 v115, 15, v66
	v_lshrrev_b32_e32 v10, 24, v10
	v_dual_cndmask_b32 v98, 7, v98 :: v_dual_lshlrev_b32 v115, 3, v115
	s_delay_alu instid0(VALU_DEP_2) | instskip(NEXT) | instid1(VALU_DEP_2)
	v_and_b32_e32 v10, 0x80, v10
	v_or_b32_e32 v66, v66, v98
	v_and_b32_e32 v116, 7, v98
	s_delay_alu instid0(VALU_DEP_2) | instskip(SKIP_1) | instid1(VALU_DEP_1)
	v_cmp_ne_u32_e32 vcc_lo, 0, v66
	v_and_b32_e32 v115, 0xf8, v115
	v_or3_b32 v10, v115, v10, v116
	s_delay_alu instid0(VALU_DEP_1)
	v_cndmask_b32_e32 v116, 0, v10, vcc_lo
.LBB6_10900:                            ;   in Loop: Header=BB6_9656 Depth=2
	s_or_b32 exec_lo, exec_lo, s24
.LBB6_10901:                            ;   in Loop: Header=BB6_9656 Depth=2
	s_delay_alu instid0(SALU_CYCLE_1) | instskip(SKIP_3) | instid1(VALU_DEP_1)
	s_or_b32 exec_lo, exec_lo, s23
	v_lshrrev_b32_e32 v10, 24, v11
	s_mov_b32 s10, 0
	s_mov_b32 s24, exec_lo
                                        ; implicit-def: $sgpr23
	v_cmpx_lt_i16_e32 0x7f, v10
	s_xor_b32 s24, exec_lo, s24
	s_cbranch_execnz .LBB6_11611
; %bb.10902:                            ;   in Loop: Header=BB6_9656 Depth=2
	s_or_saveexec_b32 s24, s24
	v_mov_b32_e32 v66, s23
	s_xor_b32 exec_lo, exec_lo, s24
	s_cbranch_execnz .LBB6_11614
.LBB6_10903:                            ;   in Loop: Header=BB6_9656 Depth=2
	s_or_b32 exec_lo, exec_lo, s24
	s_and_saveexec_b32 s23, s10
	s_cbranch_execz .LBB6_10905
.LBB6_10904:                            ;   in Loop: Header=BB6_9656 Depth=2
	v_bfe_u32 v66, v11, 24, 3
	s_delay_alu instid0(VALU_DEP_1) | instskip(NEXT) | instid1(VALU_DEP_1)
	v_clz_i32_u32_e32 v98, v66
	v_min_u32_e32 v98, 32, v98
	s_delay_alu instid0(VALU_DEP_1) | instskip(SKIP_1) | instid1(VALU_DEP_2)
	v_subrev_nc_u32_e32 v115, 28, v98
	v_sub_nc_u32_e32 v98, 29, v98
	v_lshlrev_b32_e32 v10, v115, v10
	v_bfe_u32 v115, v11, 27, 4
	v_and_b32_e32 v11, 0x80000000, v11
	s_delay_alu instid0(VALU_DEP_3) | instskip(NEXT) | instid1(VALU_DEP_3)
	v_and_b32_e32 v10, 7, v10
	v_cmp_eq_u32_e32 vcc_lo, 0, v115
	v_cndmask_b32_e32 v98, v115, v98, vcc_lo
	s_delay_alu instid0(VALU_DEP_3) | instskip(NEXT) | instid1(VALU_DEP_2)
	v_cndmask_b32_e32 v10, v66, v10, vcc_lo
	v_lshl_add_u32 v66, v98, 23, 0x3b800000
	s_delay_alu instid0(VALU_DEP_2) | instskip(NEXT) | instid1(VALU_DEP_1)
	v_lshlrev_b32_e32 v10, 20, v10
	v_or3_b32 v66, v11, v66, v10
.LBB6_10905:                            ;   in Loop: Header=BB6_9656 Depth=2
	s_or_b32 exec_lo, exec_lo, s23
	s_delay_alu instid0(VALU_DEP_1) | instskip(SKIP_1) | instid1(VALU_DEP_1)
	v_dual_mul_f32 v10, s22, v66 :: v_dual_mov_b32 v117, 0x8000
	s_mov_b32 s23, exec_lo
	v_and_b32_e32 v11, 0x7f800000, v10
	s_delay_alu instid0(VALU_DEP_1)
	v_cmpx_ne_u32_e32 0x7f800000, v11
	s_cbranch_execz .LBB6_10913
; %bb.10906:                            ;   in Loop: Header=BB6_9656 Depth=2
	v_mov_b32_e32 v117, 0
	s_mov_b32 s24, exec_lo
	v_cmpx_ne_u32_e32 0, v10
	s_cbranch_execz .LBB6_10912
; %bb.10907:                            ;   in Loop: Header=BB6_9656 Depth=2
	v_bfe_u32 v11, v10, 23, 8
	v_and_b32_e32 v66, 0x7fffff, v10
	s_delay_alu instid0(VALU_DEP_2) | instskip(SKIP_1) | instid1(VALU_DEP_3)
	v_sub_nc_u32_e32 v98, 0x78, v11
	v_cmp_gt_u32_e32 vcc_lo, 0x79, v11
	v_or_b32_e32 v115, 0x800000, v66
	s_delay_alu instid0(VALU_DEP_3) | instskip(SKIP_2) | instid1(VALU_DEP_3)
	v_cndmask_b32_e32 v98, 0, v98, vcc_lo
	v_cmp_eq_u32_e32 vcc_lo, 0, v11
	v_add_nc_u32_e32 v11, 0xffffff89, v11
	v_cndmask_b32_e64 v98, v98, 0x77, vcc_lo
	v_cndmask_b32_e32 v66, v115, v66, vcc_lo
	s_delay_alu instid0(VALU_DEP_3) | instskip(NEXT) | instid1(VALU_DEP_3)
	v_cndmask_b32_e64 v11, v11, 0xffffff8a, vcc_lo
	v_lshl_add_u32 v115, 0x100000, v98, -1
	s_delay_alu instid0(VALU_DEP_3) | instskip(SKIP_1) | instid1(VALU_DEP_4)
	v_lshrrev_b32_e32 v117, v98, v66
	v_lshlrev_b32_e64 v119, v98, 0x80000
	v_add_nc_u32_e32 v98, v98, v11
	s_delay_alu instid0(VALU_DEP_4) | instskip(NEXT) | instid1(VALU_DEP_4)
	v_and_b32_e32 v66, v115, v66
	v_bfe_u32 v118, v117, 20, 1
	s_delay_alu instid0(VALU_DEP_2) | instskip(NEXT) | instid1(VALU_DEP_2)
	v_cmp_eq_u32_e64 s10, v66, v119
	v_add_nc_u32_e32 v115, -1, v118
	s_delay_alu instid0(VALU_DEP_1) | instskip(SKIP_2) | instid1(VALU_DEP_2)
	v_cndmask_b32_e64 v66, 0, v115, s10
	v_lshrrev_b32_e32 v115, 23, v117
	s_mov_b32 s10, exec_lo
	v_add_nc_u32_e32 v66, v66, v117
	s_delay_alu instid0(VALU_DEP_2) | instskip(NEXT) | instid1(VALU_DEP_2)
	v_xor_b32_e32 v115, 1, v115
	v_and_b32_e32 v11, 0xfffff, v66
	s_delay_alu instid0(VALU_DEP_1) | instskip(NEXT) | instid1(VALU_DEP_3)
	v_add_nc_u32_e32 v66, v11, v117
                                        ; implicit-def: $vgpr11
	v_cmpx_ne_u32_e64 v98, v115
	s_xor_b32 s10, exec_lo, s10
; %bb.10908:                            ;   in Loop: Header=BB6_9656 Depth=2
	s_delay_alu instid0(VALU_DEP_2) | instskip(SKIP_2) | instid1(VALU_DEP_2)
	v_cmp_lt_u32_e32 vcc_lo, 0xffffff, v66
	v_sub_nc_u32_e32 v11, v98, v115
	v_cndmask_b32_e64 v98, 0, 1, vcc_lo
	v_add_co_ci_u32_e32 v11, vcc_lo, 0, v11, vcc_lo
	s_delay_alu instid0(VALU_DEP_2)
	v_lshrrev_b32_e32 v66, v98, v66
; %bb.10909:                            ;   in Loop: Header=BB6_9656 Depth=2
	s_and_not1_saveexec_b32 s10, s10
; %bb.10910:                            ;   in Loop: Header=BB6_9656 Depth=2
	s_delay_alu instid0(VALU_DEP_1)
	v_bfe_u32 v11, v66, 23, 1
; %bb.10911:                            ;   in Loop: Header=BB6_9656 Depth=2
	s_or_b32 exec_lo, exec_lo, s10
	v_lshrrev_b32_e32 v66, 20, v66
	s_delay_alu instid0(VALU_DEP_2) | instskip(SKIP_2) | instid1(VALU_DEP_3)
	v_min_i32_e32 v98, 15, v11
	v_cmp_gt_i32_e32 vcc_lo, 16, v11
	v_lshrrev_b32_e32 v10, 24, v10
	v_lshlrev_b32_e32 v98, 3, v98
	v_cndmask_b32_e32 v66, 7, v66, vcc_lo
	s_delay_alu instid0(VALU_DEP_3) | instskip(NEXT) | instid1(VALU_DEP_3)
	v_and_b32_e32 v10, 0x80, v10
	v_and_b32_e32 v98, 0xf8, v98
	s_delay_alu instid0(VALU_DEP_3) | instskip(SKIP_1) | instid1(VALU_DEP_2)
	v_and_b32_e32 v115, 7, v66
	v_or_b32_e32 v11, v11, v66
	v_or3_b32 v10, v10, v98, v115
	s_delay_alu instid0(VALU_DEP_2) | instskip(NEXT) | instid1(VALU_DEP_2)
	v_cmp_ne_u32_e32 vcc_lo, 0, v11
	v_lshlrev_b32_e32 v10, 8, v10
	s_delay_alu instid0(VALU_DEP_1)
	v_cndmask_b32_e32 v117, 0, v10, vcc_lo
.LBB6_10912:                            ;   in Loop: Header=BB6_9656 Depth=2
	s_or_b32 exec_lo, exec_lo, s24
.LBB6_10913:                            ;   in Loop: Header=BB6_9656 Depth=2
	s_delay_alu instid0(SALU_CYCLE_1) | instskip(SKIP_3) | instid1(VALU_DEP_1)
	s_or_b32 exec_lo, exec_lo, s23
	v_and_b32_e32 v11, 0xff, v12
	s_mov_b32 s10, 0
	s_mov_b32 s24, exec_lo
                                        ; implicit-def: $sgpr23
	v_cmpx_lt_i16_e32 0x7f, v11
	s_xor_b32 s24, exec_lo, s24
	s_cbranch_execnz .LBB6_11615
; %bb.10914:                            ;   in Loop: Header=BB6_9656 Depth=2
	s_or_saveexec_b32 s24, s24
	v_mov_b32_e32 v10, s23
	s_xor_b32 exec_lo, exec_lo, s24
	s_cbranch_execnz .LBB6_11618
.LBB6_10915:                            ;   in Loop: Header=BB6_9656 Depth=2
	s_or_b32 exec_lo, exec_lo, s24
	s_and_saveexec_b32 s23, s10
	s_cbranch_execz .LBB6_10917
.LBB6_10916:                            ;   in Loop: Header=BB6_9656 Depth=2
	v_bfe_u32 v98, v12, 3, 4
	s_delay_alu instid0(VALU_DEP_1) | instskip(SKIP_1) | instid1(VALU_DEP_1)
	v_cmp_eq_u32_e32 vcc_lo, 0, v98
	v_and_b32_e32 v10, 7, v12
	v_clz_i32_u32_e32 v11, v10
	s_delay_alu instid0(VALU_DEP_1) | instskip(NEXT) | instid1(VALU_DEP_1)
	v_min_u32_e32 v11, 32, v11
	v_subrev_nc_u32_e32 v66, 28, v11
	v_sub_nc_u32_e32 v11, 29, v11
	s_delay_alu instid0(VALU_DEP_2) | instskip(NEXT) | instid1(VALU_DEP_1)
	v_lshlrev_b32_e32 v66, v66, v12
	v_dual_cndmask_b32 v11, v98, v11 :: v_dual_and_b32 v66, 7, v66
	v_lshlrev_b32_e32 v115, 24, v12
	s_delay_alu instid0(VALU_DEP_2) | instskip(NEXT) | instid1(VALU_DEP_3)
	v_lshl_add_u32 v11, v11, 23, 0x3b800000
	v_cndmask_b32_e32 v10, v10, v66, vcc_lo
	s_delay_alu instid0(VALU_DEP_3) | instskip(NEXT) | instid1(VALU_DEP_2)
	v_and_b32_e32 v66, 0x80000000, v115
	v_lshlrev_b32_e32 v10, 20, v10
	s_delay_alu instid0(VALU_DEP_1)
	v_or3_b32 v10, v66, v11, v10
.LBB6_10917:                            ;   in Loop: Header=BB6_9656 Depth=2
	s_or_b32 exec_lo, exec_lo, s23
	s_delay_alu instid0(VALU_DEP_1) | instskip(SKIP_1) | instid1(VALU_DEP_1)
	v_dual_mul_f32 v10, s22, v10 :: v_dual_mov_b32 v115, 0x80
	s_mov_b32 s23, exec_lo
	v_and_b32_e32 v11, 0x7f800000, v10
	s_delay_alu instid0(VALU_DEP_1)
	v_cmpx_ne_u32_e32 0x7f800000, v11
	s_cbranch_execz .LBB6_10925
; %bb.10918:                            ;   in Loop: Header=BB6_9656 Depth=2
	v_mov_b32_e32 v115, 0
	s_mov_b32 s24, exec_lo
	v_cmpx_ne_u32_e32 0, v10
	s_cbranch_execz .LBB6_10924
; %bb.10919:                            ;   in Loop: Header=BB6_9656 Depth=2
	v_bfe_u32 v11, v10, 23, 8
	v_and_b32_e32 v66, 0x7fffff, v10
	s_delay_alu instid0(VALU_DEP_2) | instskip(SKIP_1) | instid1(VALU_DEP_3)
	v_sub_nc_u32_e32 v98, 0x78, v11
	v_cmp_gt_u32_e32 vcc_lo, 0x79, v11
	v_or_b32_e32 v115, 0x800000, v66
	s_delay_alu instid0(VALU_DEP_3) | instskip(SKIP_2) | instid1(VALU_DEP_3)
	v_cndmask_b32_e32 v98, 0, v98, vcc_lo
	v_cmp_eq_u32_e32 vcc_lo, 0, v11
	v_add_nc_u32_e32 v11, 0xffffff89, v11
	v_cndmask_b32_e64 v98, v98, 0x77, vcc_lo
	v_cndmask_b32_e32 v66, v115, v66, vcc_lo
	s_delay_alu instid0(VALU_DEP_3) | instskip(NEXT) | instid1(VALU_DEP_3)
	v_cndmask_b32_e64 v11, v11, 0xffffff8a, vcc_lo
	v_lshl_add_u32 v115, 0x100000, v98, -1
	s_delay_alu instid0(VALU_DEP_3) | instskip(SKIP_1) | instid1(VALU_DEP_4)
	v_lshrrev_b32_e32 v118, v98, v66
	v_lshlrev_b32_e64 v128, v98, 0x80000
	v_add_nc_u32_e32 v98, v98, v11
	s_delay_alu instid0(VALU_DEP_4) | instskip(NEXT) | instid1(VALU_DEP_4)
	v_and_b32_e32 v66, v115, v66
	v_bfe_u32 v119, v118, 20, 1
	s_delay_alu instid0(VALU_DEP_2) | instskip(NEXT) | instid1(VALU_DEP_2)
	v_cmp_eq_u32_e64 s10, v66, v128
	v_add_nc_u32_e32 v115, -1, v119
	s_delay_alu instid0(VALU_DEP_1) | instskip(SKIP_2) | instid1(VALU_DEP_2)
	v_cndmask_b32_e64 v66, 0, v115, s10
	v_lshrrev_b32_e32 v115, 23, v118
	s_mov_b32 s10, exec_lo
	v_add_nc_u32_e32 v66, v66, v118
	s_delay_alu instid0(VALU_DEP_2) | instskip(NEXT) | instid1(VALU_DEP_2)
	v_xor_b32_e32 v115, 1, v115
	v_and_b32_e32 v11, 0xfffff, v66
	s_delay_alu instid0(VALU_DEP_1) | instskip(NEXT) | instid1(VALU_DEP_3)
	v_add_nc_u32_e32 v66, v11, v118
                                        ; implicit-def: $vgpr11
	v_cmpx_ne_u32_e64 v98, v115
	s_xor_b32 s10, exec_lo, s10
; %bb.10920:                            ;   in Loop: Header=BB6_9656 Depth=2
	s_delay_alu instid0(VALU_DEP_2) | instskip(SKIP_2) | instid1(VALU_DEP_2)
	v_cmp_lt_u32_e32 vcc_lo, 0xffffff, v66
	v_sub_nc_u32_e32 v11, v98, v115
	v_cndmask_b32_e64 v98, 0, 1, vcc_lo
	v_add_co_ci_u32_e32 v11, vcc_lo, 0, v11, vcc_lo
	s_delay_alu instid0(VALU_DEP_2)
	v_lshrrev_b32_e32 v66, v98, v66
; %bb.10921:                            ;   in Loop: Header=BB6_9656 Depth=2
	s_and_not1_saveexec_b32 s10, s10
; %bb.10922:                            ;   in Loop: Header=BB6_9656 Depth=2
	s_delay_alu instid0(VALU_DEP_1)
	v_bfe_u32 v11, v66, 23, 1
; %bb.10923:                            ;   in Loop: Header=BB6_9656 Depth=2
	s_or_b32 exec_lo, exec_lo, s10
	v_lshrrev_b32_e32 v66, 20, v66
	s_delay_alu instid0(VALU_DEP_2) | instskip(SKIP_2) | instid1(VALU_DEP_4)
	v_cmp_gt_i32_e32 vcc_lo, 16, v11
	v_lshrrev_b32_e32 v10, 24, v10
	v_min_i32_e32 v98, 15, v11
	v_cndmask_b32_e32 v66, 7, v66, vcc_lo
	s_delay_alu instid0(VALU_DEP_3) | instskip(NEXT) | instid1(VALU_DEP_3)
	v_and_b32_e32 v10, 0x80, v10
	v_lshlrev_b32_e32 v98, 3, v98
	s_delay_alu instid0(VALU_DEP_3) | instskip(SKIP_1) | instid1(VALU_DEP_2)
	v_and_b32_e32 v115, 7, v66
	v_or_b32_e32 v11, v11, v66
	v_or3_b32 v10, v98, v10, v115
	s_delay_alu instid0(VALU_DEP_2) | instskip(NEXT) | instid1(VALU_DEP_2)
	v_cmp_ne_u32_e32 vcc_lo, 0, v11
	v_cndmask_b32_e32 v115, 0, v10, vcc_lo
.LBB6_10924:                            ;   in Loop: Header=BB6_9656 Depth=2
	s_or_b32 exec_lo, exec_lo, s24
.LBB6_10925:                            ;   in Loop: Header=BB6_9656 Depth=2
	s_delay_alu instid0(SALU_CYCLE_1) | instskip(SKIP_3) | instid1(VALU_DEP_1)
	s_or_b32 exec_lo, exec_lo, s23
	v_lshrrev_b16 v10, 8, v12
	s_mov_b32 s10, 0
	s_mov_b32 s24, exec_lo
                                        ; implicit-def: $sgpr23
	v_cmpx_lt_i16_e32 0x7f, v10
	s_xor_b32 s24, exec_lo, s24
	s_cbranch_execnz .LBB6_11619
; %bb.10926:                            ;   in Loop: Header=BB6_9656 Depth=2
	s_or_saveexec_b32 s24, s24
	v_mov_b32_e32 v11, s23
	s_xor_b32 exec_lo, exec_lo, s24
	s_cbranch_execnz .LBB6_11622
.LBB6_10927:                            ;   in Loop: Header=BB6_9656 Depth=2
	s_or_b32 exec_lo, exec_lo, s24
	s_and_saveexec_b32 s23, s10
	s_cbranch_execz .LBB6_10929
.LBB6_10928:                            ;   in Loop: Header=BB6_9656 Depth=2
	v_and_b32_e32 v11, 0xffff, v10
	v_lshlrev_b32_e32 v10, 24, v10
	s_delay_alu instid0(VALU_DEP_2) | instskip(NEXT) | instid1(VALU_DEP_2)
	v_and_b32_e32 v66, 7, v11
	v_and_b32_e32 v10, 0x80000000, v10
	s_delay_alu instid0(VALU_DEP_2) | instskip(NEXT) | instid1(VALU_DEP_1)
	v_clz_i32_u32_e32 v98, v66
	v_min_u32_e32 v98, 32, v98
	s_delay_alu instid0(VALU_DEP_1) | instskip(SKIP_1) | instid1(VALU_DEP_2)
	v_subrev_nc_u32_e32 v118, 28, v98
	v_sub_nc_u32_e32 v98, 29, v98
	v_lshlrev_b32_e32 v118, v118, v11
	v_bfe_u32 v11, v11, 3, 4
	s_delay_alu instid0(VALU_DEP_2) | instskip(NEXT) | instid1(VALU_DEP_2)
	v_and_b32_e32 v118, 7, v118
	v_cmp_eq_u32_e32 vcc_lo, 0, v11
	v_cndmask_b32_e32 v11, v11, v98, vcc_lo
	s_delay_alu instid0(VALU_DEP_3) | instskip(NEXT) | instid1(VALU_DEP_2)
	v_cndmask_b32_e32 v66, v66, v118, vcc_lo
	v_lshl_add_u32 v11, v11, 23, 0x3b800000
	s_delay_alu instid0(VALU_DEP_2) | instskip(NEXT) | instid1(VALU_DEP_1)
	v_lshlrev_b32_e32 v66, 20, v66
	v_or3_b32 v11, v10, v11, v66
.LBB6_10929:                            ;   in Loop: Header=BB6_9656 Depth=2
	s_or_b32 exec_lo, exec_lo, s23
	s_delay_alu instid0(VALU_DEP_1) | instskip(SKIP_2) | instid1(VALU_DEP_2)
	v_mul_f32_e32 v10, s22, v11
	v_mov_b32_e32 v118, 0x80
	s_mov_b32 s23, exec_lo
	v_and_b32_e32 v11, 0x7f800000, v10
	s_delay_alu instid0(VALU_DEP_1)
	v_cmpx_ne_u32_e32 0x7f800000, v11
	s_cbranch_execz .LBB6_10937
; %bb.10930:                            ;   in Loop: Header=BB6_9656 Depth=2
	v_mov_b32_e32 v118, 0
	s_mov_b32 s24, exec_lo
	v_cmpx_ne_u32_e32 0, v10
	s_cbranch_execz .LBB6_10936
; %bb.10931:                            ;   in Loop: Header=BB6_9656 Depth=2
	v_bfe_u32 v11, v10, 23, 8
	v_and_b32_e32 v66, 0x7fffff, v10
	s_delay_alu instid0(VALU_DEP_2) | instskip(SKIP_1) | instid1(VALU_DEP_3)
	v_sub_nc_u32_e32 v98, 0x78, v11
	v_cmp_gt_u32_e32 vcc_lo, 0x79, v11
	v_or_b32_e32 v118, 0x800000, v66
	s_delay_alu instid0(VALU_DEP_3) | instskip(SKIP_2) | instid1(VALU_DEP_3)
	v_cndmask_b32_e32 v98, 0, v98, vcc_lo
	v_cmp_eq_u32_e32 vcc_lo, 0, v11
	v_add_nc_u32_e32 v11, 0xffffff89, v11
	v_cndmask_b32_e64 v98, v98, 0x77, vcc_lo
	v_cndmask_b32_e32 v66, v118, v66, vcc_lo
	s_delay_alu instid0(VALU_DEP_3) | instskip(NEXT) | instid1(VALU_DEP_3)
	v_cndmask_b32_e64 v11, v11, 0xffffff8a, vcc_lo
	v_lshl_add_u32 v118, 0x100000, v98, -1
	s_delay_alu instid0(VALU_DEP_3) | instskip(SKIP_1) | instid1(VALU_DEP_4)
	v_lshrrev_b32_e32 v119, v98, v66
	v_lshlrev_b32_e64 v129, v98, 0x80000
	v_add_nc_u32_e32 v98, v98, v11
	s_delay_alu instid0(VALU_DEP_4) | instskip(NEXT) | instid1(VALU_DEP_4)
	v_and_b32_e32 v66, v118, v66
	v_bfe_u32 v128, v119, 20, 1
	s_delay_alu instid0(VALU_DEP_2) | instskip(NEXT) | instid1(VALU_DEP_2)
	v_cmp_eq_u32_e64 s10, v66, v129
	v_add_nc_u32_e32 v118, -1, v128
	s_delay_alu instid0(VALU_DEP_1) | instskip(SKIP_2) | instid1(VALU_DEP_2)
	v_cndmask_b32_e64 v66, 0, v118, s10
	v_lshrrev_b32_e32 v118, 23, v119
	s_mov_b32 s10, exec_lo
	v_add_nc_u32_e32 v66, v66, v119
	s_delay_alu instid0(VALU_DEP_2) | instskip(NEXT) | instid1(VALU_DEP_2)
	v_xor_b32_e32 v118, 1, v118
	v_and_b32_e32 v11, 0xfffff, v66
	s_delay_alu instid0(VALU_DEP_1) | instskip(NEXT) | instid1(VALU_DEP_3)
	v_add_nc_u32_e32 v66, v11, v119
                                        ; implicit-def: $vgpr11
	v_cmpx_ne_u32_e64 v98, v118
	s_xor_b32 s10, exec_lo, s10
; %bb.10932:                            ;   in Loop: Header=BB6_9656 Depth=2
	s_delay_alu instid0(VALU_DEP_2) | instskip(SKIP_2) | instid1(VALU_DEP_2)
	v_cmp_lt_u32_e32 vcc_lo, 0xffffff, v66
	v_sub_nc_u32_e32 v11, v98, v118
	v_cndmask_b32_e64 v98, 0, 1, vcc_lo
	v_add_co_ci_u32_e32 v11, vcc_lo, 0, v11, vcc_lo
	s_delay_alu instid0(VALU_DEP_2)
	v_lshrrev_b32_e32 v66, v98, v66
; %bb.10933:                            ;   in Loop: Header=BB6_9656 Depth=2
	s_and_not1_saveexec_b32 s10, s10
; %bb.10934:                            ;   in Loop: Header=BB6_9656 Depth=2
	s_delay_alu instid0(VALU_DEP_1)
	v_bfe_u32 v11, v66, 23, 1
; %bb.10935:                            ;   in Loop: Header=BB6_9656 Depth=2
	s_or_b32 exec_lo, exec_lo, s10
	v_lshrrev_b32_e32 v66, 20, v66
	s_delay_alu instid0(VALU_DEP_2) | instskip(SKIP_2) | instid1(VALU_DEP_4)
	v_cmp_gt_i32_e32 vcc_lo, 16, v11
	v_lshrrev_b32_e32 v10, 24, v10
	v_min_i32_e32 v98, 15, v11
	v_cndmask_b32_e32 v66, 7, v66, vcc_lo
	s_delay_alu instid0(VALU_DEP_3) | instskip(NEXT) | instid1(VALU_DEP_3)
	v_and_b32_e32 v10, 0x80, v10
	v_lshlrev_b32_e32 v98, 3, v98
	s_delay_alu instid0(VALU_DEP_3) | instskip(SKIP_1) | instid1(VALU_DEP_2)
	v_and_b32_e32 v118, 7, v66
	v_or_b32_e32 v11, v11, v66
	v_or3_b32 v10, v98, v10, v118
	s_delay_alu instid0(VALU_DEP_2) | instskip(NEXT) | instid1(VALU_DEP_2)
	v_cmp_ne_u32_e32 vcc_lo, 0, v11
	v_cndmask_b32_e32 v118, 0, v10, vcc_lo
.LBB6_10936:                            ;   in Loop: Header=BB6_9656 Depth=2
	s_or_b32 exec_lo, exec_lo, s24
.LBB6_10937:                            ;   in Loop: Header=BB6_9656 Depth=2
	s_delay_alu instid0(SALU_CYCLE_1) | instskip(SKIP_3) | instid1(VALU_DEP_1)
	s_or_b32 exec_lo, exec_lo, s23
	v_lshrrev_b32_e32 v10, 16, v12
	s_mov_b32 s10, 0
	s_mov_b32 s24, exec_lo
                                        ; implicit-def: $sgpr23
	v_and_b32_e32 v66, 0xff, v10
	s_delay_alu instid0(VALU_DEP_1)
	v_cmpx_lt_i16_e32 0x7f, v66
	s_xor_b32 s24, exec_lo, s24
	s_cbranch_execnz .LBB6_11623
; %bb.10938:                            ;   in Loop: Header=BB6_9656 Depth=2
	s_or_saveexec_b32 s24, s24
	v_mov_b32_e32 v11, s23
	s_xor_b32 exec_lo, exec_lo, s24
	s_cbranch_execnz .LBB6_11626
.LBB6_10939:                            ;   in Loop: Header=BB6_9656 Depth=2
	s_or_b32 exec_lo, exec_lo, s24
	s_and_saveexec_b32 s23, s10
	s_cbranch_execz .LBB6_10941
.LBB6_10940:                            ;   in Loop: Header=BB6_9656 Depth=2
	v_bfe_u32 v11, v12, 16, 3
	s_delay_alu instid0(VALU_DEP_1) | instskip(NEXT) | instid1(VALU_DEP_1)
	v_clz_i32_u32_e32 v66, v11
	v_min_u32_e32 v66, 32, v66
	s_delay_alu instid0(VALU_DEP_1) | instskip(SKIP_1) | instid1(VALU_DEP_2)
	v_subrev_nc_u32_e32 v98, 28, v66
	v_sub_nc_u32_e32 v66, 29, v66
	v_lshlrev_b32_e32 v10, v98, v10
	v_bfe_u32 v98, v12, 19, 4
	s_delay_alu instid0(VALU_DEP_2) | instskip(NEXT) | instid1(VALU_DEP_2)
	v_and_b32_e32 v10, 7, v10
	v_cmp_eq_u32_e32 vcc_lo, 0, v98
	v_dual_cndmask_b32 v66, v98, v66 :: v_dual_lshlrev_b32 v119, 8, v12
	s_delay_alu instid0(VALU_DEP_1) | instskip(NEXT) | instid1(VALU_DEP_2)
	v_dual_cndmask_b32 v10, v11, v10 :: v_dual_and_b32 v11, 0x80000000, v119
	v_lshl_add_u32 v66, v66, 23, 0x3b800000
	s_delay_alu instid0(VALU_DEP_2) | instskip(NEXT) | instid1(VALU_DEP_1)
	v_lshlrev_b32_e32 v10, 20, v10
	v_or3_b32 v11, v11, v66, v10
.LBB6_10941:                            ;   in Loop: Header=BB6_9656 Depth=2
	s_or_b32 exec_lo, exec_lo, s23
	s_delay_alu instid0(VALU_DEP_1) | instskip(SKIP_1) | instid1(VALU_DEP_1)
	v_dual_mul_f32 v10, s22, v11 :: v_dual_mov_b32 v119, 0x80
	s_mov_b32 s23, exec_lo
	v_and_b32_e32 v11, 0x7f800000, v10
	s_delay_alu instid0(VALU_DEP_1)
	v_cmpx_ne_u32_e32 0x7f800000, v11
	s_cbranch_execz .LBB6_10949
; %bb.10942:                            ;   in Loop: Header=BB6_9656 Depth=2
	v_mov_b32_e32 v119, 0
	s_mov_b32 s24, exec_lo
	v_cmpx_ne_u32_e32 0, v10
	s_cbranch_execz .LBB6_10948
; %bb.10943:                            ;   in Loop: Header=BB6_9656 Depth=2
	v_bfe_u32 v11, v10, 23, 8
	v_and_b32_e32 v66, 0x7fffff, v10
	s_delay_alu instid0(VALU_DEP_2) | instskip(SKIP_1) | instid1(VALU_DEP_3)
	v_sub_nc_u32_e32 v98, 0x78, v11
	v_cmp_gt_u32_e32 vcc_lo, 0x79, v11
	v_or_b32_e32 v119, 0x800000, v66
	s_delay_alu instid0(VALU_DEP_3) | instskip(SKIP_2) | instid1(VALU_DEP_3)
	v_cndmask_b32_e32 v98, 0, v98, vcc_lo
	v_cmp_eq_u32_e32 vcc_lo, 0, v11
	v_add_nc_u32_e32 v11, 0xffffff89, v11
	v_cndmask_b32_e64 v98, v98, 0x77, vcc_lo
	v_cndmask_b32_e32 v66, v119, v66, vcc_lo
	s_delay_alu instid0(VALU_DEP_3) | instskip(NEXT) | instid1(VALU_DEP_3)
	v_cndmask_b32_e64 v11, v11, 0xffffff8a, vcc_lo
	v_lshl_add_u32 v119, 0x100000, v98, -1
	s_delay_alu instid0(VALU_DEP_3) | instskip(SKIP_1) | instid1(VALU_DEP_4)
	v_lshrrev_b32_e32 v128, v98, v66
	v_lshlrev_b32_e64 v130, v98, 0x80000
	v_add_nc_u32_e32 v98, v98, v11
	s_delay_alu instid0(VALU_DEP_4) | instskip(NEXT) | instid1(VALU_DEP_4)
	v_and_b32_e32 v66, v119, v66
	v_bfe_u32 v129, v128, 20, 1
	s_delay_alu instid0(VALU_DEP_2) | instskip(NEXT) | instid1(VALU_DEP_2)
	v_cmp_eq_u32_e64 s10, v66, v130
	v_add_nc_u32_e32 v119, -1, v129
	s_delay_alu instid0(VALU_DEP_1) | instskip(SKIP_2) | instid1(VALU_DEP_2)
	v_cndmask_b32_e64 v66, 0, v119, s10
	v_lshrrev_b32_e32 v119, 23, v128
	s_mov_b32 s10, exec_lo
	v_add_nc_u32_e32 v66, v66, v128
	s_delay_alu instid0(VALU_DEP_2) | instskip(NEXT) | instid1(VALU_DEP_2)
	v_xor_b32_e32 v119, 1, v119
	v_and_b32_e32 v11, 0xfffff, v66
	s_delay_alu instid0(VALU_DEP_1) | instskip(NEXT) | instid1(VALU_DEP_3)
	v_add_nc_u32_e32 v66, v11, v128
                                        ; implicit-def: $vgpr11
	v_cmpx_ne_u32_e64 v98, v119
	s_xor_b32 s10, exec_lo, s10
; %bb.10944:                            ;   in Loop: Header=BB6_9656 Depth=2
	s_delay_alu instid0(VALU_DEP_2) | instskip(SKIP_2) | instid1(VALU_DEP_2)
	v_cmp_lt_u32_e32 vcc_lo, 0xffffff, v66
	v_sub_nc_u32_e32 v11, v98, v119
	v_cndmask_b32_e64 v98, 0, 1, vcc_lo
	v_add_co_ci_u32_e32 v11, vcc_lo, 0, v11, vcc_lo
	s_delay_alu instid0(VALU_DEP_2)
	v_lshrrev_b32_e32 v66, v98, v66
; %bb.10945:                            ;   in Loop: Header=BB6_9656 Depth=2
	s_and_not1_saveexec_b32 s10, s10
; %bb.10946:                            ;   in Loop: Header=BB6_9656 Depth=2
	s_delay_alu instid0(VALU_DEP_1)
	v_bfe_u32 v11, v66, 23, 1
; %bb.10947:                            ;   in Loop: Header=BB6_9656 Depth=2
	s_or_b32 exec_lo, exec_lo, s10
	v_lshrrev_b32_e32 v66, 20, v66
	s_delay_alu instid0(VALU_DEP_2) | instskip(SKIP_2) | instid1(VALU_DEP_4)
	v_cmp_gt_i32_e32 vcc_lo, 16, v11
	v_lshrrev_b32_e32 v10, 24, v10
	v_min_i32_e32 v98, 15, v11
	v_cndmask_b32_e32 v66, 7, v66, vcc_lo
	s_delay_alu instid0(VALU_DEP_3) | instskip(NEXT) | instid1(VALU_DEP_3)
	v_and_b32_e32 v10, 0x80, v10
	v_lshlrev_b32_e32 v98, 3, v98
	s_delay_alu instid0(VALU_DEP_3) | instskip(SKIP_1) | instid1(VALU_DEP_2)
	v_and_b32_e32 v119, 7, v66
	v_or_b32_e32 v11, v11, v66
	v_or3_b32 v10, v98, v10, v119
	s_delay_alu instid0(VALU_DEP_2) | instskip(NEXT) | instid1(VALU_DEP_2)
	v_cmp_ne_u32_e32 vcc_lo, 0, v11
	v_cndmask_b32_e32 v119, 0, v10, vcc_lo
.LBB6_10948:                            ;   in Loop: Header=BB6_9656 Depth=2
	s_or_b32 exec_lo, exec_lo, s24
.LBB6_10949:                            ;   in Loop: Header=BB6_9656 Depth=2
	s_delay_alu instid0(SALU_CYCLE_1) | instskip(SKIP_3) | instid1(VALU_DEP_1)
	s_or_b32 exec_lo, exec_lo, s23
	v_lshrrev_b32_e32 v10, 24, v12
	s_mov_b32 s10, 0
	s_mov_b32 s24, exec_lo
                                        ; implicit-def: $sgpr23
	v_cmpx_lt_i16_e32 0x7f, v10
	s_xor_b32 s24, exec_lo, s24
	s_cbranch_execnz .LBB6_11627
; %bb.10950:                            ;   in Loop: Header=BB6_9656 Depth=2
	s_or_saveexec_b32 s24, s24
	v_mov_b32_e32 v11, s23
	s_xor_b32 exec_lo, exec_lo, s24
	s_cbranch_execnz .LBB6_11630
.LBB6_10951:                            ;   in Loop: Header=BB6_9656 Depth=2
	s_or_b32 exec_lo, exec_lo, s24
	s_and_saveexec_b32 s23, s10
	s_cbranch_execz .LBB6_10953
.LBB6_10952:                            ;   in Loop: Header=BB6_9656 Depth=2
	v_bfe_u32 v11, v12, 24, 3
	s_delay_alu instid0(VALU_DEP_1) | instskip(NEXT) | instid1(VALU_DEP_1)
	v_clz_i32_u32_e32 v66, v11
	v_min_u32_e32 v66, 32, v66
	s_delay_alu instid0(VALU_DEP_1) | instskip(SKIP_1) | instid1(VALU_DEP_2)
	v_subrev_nc_u32_e32 v98, 28, v66
	v_sub_nc_u32_e32 v66, 29, v66
	v_lshlrev_b32_e32 v10, v98, v10
	v_bfe_u32 v98, v12, 27, 4
	s_delay_alu instid0(VALU_DEP_2) | instskip(NEXT) | instid1(VALU_DEP_2)
	v_and_b32_e32 v10, 7, v10
	v_cmp_eq_u32_e32 vcc_lo, 0, v98
	v_cndmask_b32_e32 v66, v98, v66, vcc_lo
	s_delay_alu instid0(VALU_DEP_3) | instskip(NEXT) | instid1(VALU_DEP_2)
	v_dual_cndmask_b32 v10, v11, v10 :: v_dual_and_b32 v11, 0x80000000, v12
	v_lshl_add_u32 v12, v66, 23, 0x3b800000
	s_delay_alu instid0(VALU_DEP_2) | instskip(NEXT) | instid1(VALU_DEP_1)
	v_lshlrev_b32_e32 v10, 20, v10
	v_or3_b32 v11, v11, v12, v10
.LBB6_10953:                            ;   in Loop: Header=BB6_9656 Depth=2
	s_or_b32 exec_lo, exec_lo, s23
	s_delay_alu instid0(VALU_DEP_1) | instskip(SKIP_2) | instid1(VALU_DEP_2)
	v_mul_f32_e32 v10, s22, v11
	v_mov_b32_e32 v128, 0x80
	s_mov_b32 s23, exec_lo
	v_and_b32_e32 v11, 0x7f800000, v10
	s_delay_alu instid0(VALU_DEP_1)
	v_cmpx_ne_u32_e32 0x7f800000, v11
	s_cbranch_execz .LBB6_10961
; %bb.10954:                            ;   in Loop: Header=BB6_9656 Depth=2
	v_mov_b32_e32 v128, 0
	s_mov_b32 s24, exec_lo
	v_cmpx_ne_u32_e32 0, v10
	s_cbranch_execz .LBB6_10960
; %bb.10955:                            ;   in Loop: Header=BB6_9656 Depth=2
	v_bfe_u32 v11, v10, 23, 8
	v_and_b32_e32 v12, 0x7fffff, v10
	s_delay_alu instid0(VALU_DEP_2) | instskip(SKIP_1) | instid1(VALU_DEP_3)
	v_sub_nc_u32_e32 v66, 0x78, v11
	v_cmp_gt_u32_e32 vcc_lo, 0x79, v11
	v_or_b32_e32 v98, 0x800000, v12
	s_delay_alu instid0(VALU_DEP_3) | instskip(SKIP_2) | instid1(VALU_DEP_3)
	v_cndmask_b32_e32 v66, 0, v66, vcc_lo
	v_cmp_eq_u32_e32 vcc_lo, 0, v11
	v_add_nc_u32_e32 v11, 0xffffff89, v11
	v_cndmask_b32_e64 v66, v66, 0x77, vcc_lo
	v_cndmask_b32_e32 v12, v98, v12, vcc_lo
	s_delay_alu instid0(VALU_DEP_3) | instskip(NEXT) | instid1(VALU_DEP_3)
	v_cndmask_b32_e64 v11, v11, 0xffffff8a, vcc_lo
	v_lshl_add_u32 v98, 0x100000, v66, -1
	s_delay_alu instid0(VALU_DEP_3) | instskip(SKIP_1) | instid1(VALU_DEP_4)
	v_lshrrev_b32_e32 v128, v66, v12
	v_lshlrev_b32_e64 v130, v66, 0x80000
	v_add_nc_u32_e32 v66, v66, v11
	s_delay_alu instid0(VALU_DEP_4) | instskip(NEXT) | instid1(VALU_DEP_4)
	v_and_b32_e32 v12, v98, v12
	v_bfe_u32 v129, v128, 20, 1
	s_delay_alu instid0(VALU_DEP_2) | instskip(NEXT) | instid1(VALU_DEP_2)
	v_cmp_eq_u32_e64 s10, v12, v130
	v_add_nc_u32_e32 v98, -1, v129
	s_delay_alu instid0(VALU_DEP_1) | instskip(SKIP_2) | instid1(VALU_DEP_2)
	v_cndmask_b32_e64 v12, 0, v98, s10
	v_lshrrev_b32_e32 v98, 23, v128
	s_mov_b32 s10, exec_lo
	v_add_nc_u32_e32 v12, v12, v128
	s_delay_alu instid0(VALU_DEP_2) | instskip(NEXT) | instid1(VALU_DEP_2)
	v_xor_b32_e32 v98, 1, v98
	v_and_b32_e32 v11, 0xfffff, v12
	s_delay_alu instid0(VALU_DEP_1) | instskip(NEXT) | instid1(VALU_DEP_3)
	v_add_nc_u32_e32 v12, v11, v128
                                        ; implicit-def: $vgpr11
	v_cmpx_ne_u32_e64 v66, v98
	s_xor_b32 s10, exec_lo, s10
; %bb.10956:                            ;   in Loop: Header=BB6_9656 Depth=2
	s_delay_alu instid0(VALU_DEP_2) | instskip(SKIP_2) | instid1(VALU_DEP_2)
	v_cmp_lt_u32_e32 vcc_lo, 0xffffff, v12
	v_sub_nc_u32_e32 v11, v66, v98
	v_cndmask_b32_e64 v66, 0, 1, vcc_lo
	v_add_co_ci_u32_e32 v11, vcc_lo, 0, v11, vcc_lo
	s_delay_alu instid0(VALU_DEP_2)
	v_lshrrev_b32_e32 v12, v66, v12
; %bb.10957:                            ;   in Loop: Header=BB6_9656 Depth=2
	s_and_not1_saveexec_b32 s10, s10
; %bb.10958:                            ;   in Loop: Header=BB6_9656 Depth=2
	s_delay_alu instid0(VALU_DEP_1)
	v_bfe_u32 v11, v12, 23, 1
; %bb.10959:                            ;   in Loop: Header=BB6_9656 Depth=2
	s_or_b32 exec_lo, exec_lo, s10
	v_lshrrev_b32_e32 v12, 20, v12
	s_delay_alu instid0(VALU_DEP_2) | instskip(SKIP_2) | instid1(VALU_DEP_4)
	v_cmp_gt_i32_e32 vcc_lo, 16, v11
	v_lshrrev_b32_e32 v10, 24, v10
	v_min_i32_e32 v66, 15, v11
	v_cndmask_b32_e32 v12, 7, v12, vcc_lo
	s_delay_alu instid0(VALU_DEP_3) | instskip(NEXT) | instid1(VALU_DEP_3)
	v_and_b32_e32 v10, 0x80, v10
	v_lshlrev_b32_e32 v66, 3, v66
	s_delay_alu instid0(VALU_DEP_3) | instskip(SKIP_1) | instid1(VALU_DEP_2)
	v_and_b32_e32 v98, 7, v12
	v_or_b32_e32 v11, v11, v12
	v_or3_b32 v10, v66, v10, v98
	s_delay_alu instid0(VALU_DEP_2) | instskip(NEXT) | instid1(VALU_DEP_2)
	v_cmp_ne_u32_e32 vcc_lo, 0, v11
	v_cndmask_b32_e32 v128, 0, v10, vcc_lo
.LBB6_10960:                            ;   in Loop: Header=BB6_9656 Depth=2
	s_or_b32 exec_lo, exec_lo, s24
.LBB6_10961:                            ;   in Loop: Header=BB6_9656 Depth=2
	s_delay_alu instid0(SALU_CYCLE_1) | instskip(SKIP_3) | instid1(VALU_DEP_1)
	s_or_b32 exec_lo, exec_lo, s23
	v_and_b32_e32 v11, 0xff, v13
	s_mov_b32 s10, 0
	s_mov_b32 s24, exec_lo
                                        ; implicit-def: $sgpr23
	v_cmpx_lt_i16_e32 0x7f, v11
	s_xor_b32 s24, exec_lo, s24
	s_cbranch_execnz .LBB6_11631
; %bb.10962:                            ;   in Loop: Header=BB6_9656 Depth=2
	s_or_saveexec_b32 s24, s24
	v_mov_b32_e32 v10, s23
	s_xor_b32 exec_lo, exec_lo, s24
	s_cbranch_execnz .LBB6_11634
.LBB6_10963:                            ;   in Loop: Header=BB6_9656 Depth=2
	s_or_b32 exec_lo, exec_lo, s24
	s_and_saveexec_b32 s23, s10
	s_cbranch_execz .LBB6_10965
.LBB6_10964:                            ;   in Loop: Header=BB6_9656 Depth=2
	v_bfe_u32 v66, v13, 3, 4
	v_lshlrev_b32_e32 v98, 24, v13
	s_delay_alu instid0(VALU_DEP_2) | instskip(SKIP_1) | instid1(VALU_DEP_1)
	v_cmp_eq_u32_e32 vcc_lo, 0, v66
	v_and_b32_e32 v10, 7, v13
	v_clz_i32_u32_e32 v11, v10
	s_delay_alu instid0(VALU_DEP_1) | instskip(NEXT) | instid1(VALU_DEP_1)
	v_min_u32_e32 v11, 32, v11
	v_subrev_nc_u32_e32 v12, 28, v11
	v_sub_nc_u32_e32 v11, 29, v11
	s_delay_alu instid0(VALU_DEP_1) | instskip(NEXT) | instid1(VALU_DEP_1)
	v_dual_cndmask_b32 v11, v66, v11 :: v_dual_lshlrev_b32 v12, v12, v13
	v_and_b32_e32 v12, 7, v12
	s_delay_alu instid0(VALU_DEP_2) | instskip(NEXT) | instid1(VALU_DEP_2)
	v_lshl_add_u32 v11, v11, 23, 0x3b800000
	v_cndmask_b32_e32 v10, v10, v12, vcc_lo
	v_and_b32_e32 v12, 0x80000000, v98
	s_delay_alu instid0(VALU_DEP_2) | instskip(NEXT) | instid1(VALU_DEP_1)
	v_lshlrev_b32_e32 v10, 20, v10
	v_or3_b32 v10, v12, v11, v10
.LBB6_10965:                            ;   in Loop: Header=BB6_9656 Depth=2
	s_or_b32 exec_lo, exec_lo, s23
	s_delay_alu instid0(VALU_DEP_1) | instskip(SKIP_2) | instid1(VALU_DEP_2)
	v_mul_f32_e32 v10, s22, v10
	v_mov_b32_e32 v66, 0x80
	s_mov_b32 s23, exec_lo
	v_and_b32_e32 v11, 0x7f800000, v10
	s_delay_alu instid0(VALU_DEP_1)
	v_cmpx_ne_u32_e32 0x7f800000, v11
	s_cbranch_execz .LBB6_10973
; %bb.10966:                            ;   in Loop: Header=BB6_9656 Depth=2
	v_mov_b32_e32 v66, 0
	s_mov_b32 s24, exec_lo
	v_cmpx_ne_u32_e32 0, v10
	s_cbranch_execz .LBB6_10972
; %bb.10967:                            ;   in Loop: Header=BB6_9656 Depth=2
	v_bfe_u32 v11, v10, 23, 8
	v_and_b32_e32 v12, 0x7fffff, v10
	s_delay_alu instid0(VALU_DEP_2) | instskip(SKIP_1) | instid1(VALU_DEP_3)
	v_sub_nc_u32_e32 v66, 0x78, v11
	v_cmp_gt_u32_e32 vcc_lo, 0x79, v11
	v_or_b32_e32 v98, 0x800000, v12
	s_delay_alu instid0(VALU_DEP_3) | instskip(SKIP_2) | instid1(VALU_DEP_3)
	v_cndmask_b32_e32 v66, 0, v66, vcc_lo
	v_cmp_eq_u32_e32 vcc_lo, 0, v11
	v_add_nc_u32_e32 v11, 0xffffff89, v11
	v_cndmask_b32_e64 v66, v66, 0x77, vcc_lo
	v_cndmask_b32_e32 v12, v98, v12, vcc_lo
	s_delay_alu instid0(VALU_DEP_3) | instskip(NEXT) | instid1(VALU_DEP_3)
	v_cndmask_b32_e64 v11, v11, 0xffffff8a, vcc_lo
	v_lshl_add_u32 v98, 0x100000, v66, -1
	s_delay_alu instid0(VALU_DEP_3) | instskip(SKIP_1) | instid1(VALU_DEP_4)
	v_lshrrev_b32_e32 v129, v66, v12
	v_lshlrev_b32_e64 v131, v66, 0x80000
	v_add_nc_u32_e32 v66, v66, v11
	s_delay_alu instid0(VALU_DEP_4) | instskip(NEXT) | instid1(VALU_DEP_4)
	v_and_b32_e32 v12, v98, v12
	v_bfe_u32 v130, v129, 20, 1
	s_delay_alu instid0(VALU_DEP_2) | instskip(NEXT) | instid1(VALU_DEP_2)
	v_cmp_eq_u32_e64 s10, v12, v131
	v_add_nc_u32_e32 v98, -1, v130
	s_delay_alu instid0(VALU_DEP_1) | instskip(SKIP_2) | instid1(VALU_DEP_2)
	v_cndmask_b32_e64 v12, 0, v98, s10
	v_lshrrev_b32_e32 v98, 23, v129
	s_mov_b32 s10, exec_lo
	v_add_nc_u32_e32 v12, v12, v129
	s_delay_alu instid0(VALU_DEP_2) | instskip(NEXT) | instid1(VALU_DEP_2)
	v_xor_b32_e32 v98, 1, v98
	v_and_b32_e32 v11, 0xfffff, v12
	s_delay_alu instid0(VALU_DEP_1) | instskip(NEXT) | instid1(VALU_DEP_3)
	v_add_nc_u32_e32 v12, v11, v129
                                        ; implicit-def: $vgpr11
	v_cmpx_ne_u32_e64 v66, v98
	s_xor_b32 s10, exec_lo, s10
; %bb.10968:                            ;   in Loop: Header=BB6_9656 Depth=2
	s_delay_alu instid0(VALU_DEP_2) | instskip(SKIP_2) | instid1(VALU_DEP_2)
	v_cmp_lt_u32_e32 vcc_lo, 0xffffff, v12
	v_sub_nc_u32_e32 v11, v66, v98
	v_cndmask_b32_e64 v66, 0, 1, vcc_lo
	v_add_co_ci_u32_e32 v11, vcc_lo, 0, v11, vcc_lo
	s_delay_alu instid0(VALU_DEP_2)
	v_lshrrev_b32_e32 v12, v66, v12
; %bb.10969:                            ;   in Loop: Header=BB6_9656 Depth=2
	s_and_not1_saveexec_b32 s10, s10
; %bb.10970:                            ;   in Loop: Header=BB6_9656 Depth=2
	s_delay_alu instid0(VALU_DEP_1)
	v_bfe_u32 v11, v12, 23, 1
; %bb.10971:                            ;   in Loop: Header=BB6_9656 Depth=2
	s_or_b32 exec_lo, exec_lo, s10
	v_lshrrev_b32_e32 v12, 20, v12
	s_delay_alu instid0(VALU_DEP_2) | instskip(SKIP_2) | instid1(VALU_DEP_3)
	v_min_i32_e32 v66, 15, v11
	v_cmp_gt_i32_e32 vcc_lo, 16, v11
	v_lshrrev_b32_e32 v10, 24, v10
	v_lshlrev_b32_e32 v66, 3, v66
	v_cndmask_b32_e32 v12, 7, v12, vcc_lo
	s_delay_alu instid0(VALU_DEP_3) | instskip(NEXT) | instid1(VALU_DEP_3)
	v_and_b32_e32 v10, 0x80, v10
	v_and_b32_e32 v66, 0xf8, v66
	s_delay_alu instid0(VALU_DEP_3) | instskip(SKIP_1) | instid1(VALU_DEP_2)
	v_and_b32_e32 v98, 7, v12
	v_or_b32_e32 v11, v11, v12
	v_or3_b32 v10, v66, v10, v98
	s_delay_alu instid0(VALU_DEP_2) | instskip(NEXT) | instid1(VALU_DEP_2)
	v_cmp_ne_u32_e32 vcc_lo, 0, v11
	v_cndmask_b32_e32 v66, 0, v10, vcc_lo
.LBB6_10972:                            ;   in Loop: Header=BB6_9656 Depth=2
	s_or_b32 exec_lo, exec_lo, s24
.LBB6_10973:                            ;   in Loop: Header=BB6_9656 Depth=2
	s_delay_alu instid0(SALU_CYCLE_1) | instskip(SKIP_3) | instid1(VALU_DEP_1)
	s_or_b32 exec_lo, exec_lo, s23
	v_lshrrev_b16 v10, 8, v13
	s_mov_b32 s10, 0
	s_mov_b32 s24, exec_lo
                                        ; implicit-def: $sgpr23
	v_cmpx_lt_i16_e32 0x7f, v10
	s_xor_b32 s24, exec_lo, s24
	s_cbranch_execnz .LBB6_11635
; %bb.10974:                            ;   in Loop: Header=BB6_9656 Depth=2
	s_or_saveexec_b32 s24, s24
	v_mov_b32_e32 v11, s23
	s_xor_b32 exec_lo, exec_lo, s24
	s_cbranch_execnz .LBB6_11638
.LBB6_10975:                            ;   in Loop: Header=BB6_9656 Depth=2
	s_or_b32 exec_lo, exec_lo, s24
	s_and_saveexec_b32 s23, s10
	s_cbranch_execz .LBB6_10977
.LBB6_10976:                            ;   in Loop: Header=BB6_9656 Depth=2
	v_and_b32_e32 v11, 0xffff, v10
	v_lshlrev_b32_e32 v10, 24, v10
	s_delay_alu instid0(VALU_DEP_2) | instskip(NEXT) | instid1(VALU_DEP_2)
	v_and_b32_e32 v12, 7, v11
	v_and_b32_e32 v10, 0x80000000, v10
	s_delay_alu instid0(VALU_DEP_2) | instskip(NEXT) | instid1(VALU_DEP_1)
	v_clz_i32_u32_e32 v98, v12
	v_min_u32_e32 v98, 32, v98
	s_delay_alu instid0(VALU_DEP_1) | instskip(SKIP_1) | instid1(VALU_DEP_2)
	v_subrev_nc_u32_e32 v129, 28, v98
	v_sub_nc_u32_e32 v98, 29, v98
	v_lshlrev_b32_e32 v129, v129, v11
	v_bfe_u32 v11, v11, 3, 4
	s_delay_alu instid0(VALU_DEP_2) | instskip(NEXT) | instid1(VALU_DEP_2)
	v_and_b32_e32 v129, 7, v129
	v_cmp_eq_u32_e32 vcc_lo, 0, v11
	s_delay_alu instid0(VALU_DEP_2) | instskip(NEXT) | instid1(VALU_DEP_1)
	v_dual_cndmask_b32 v11, v11, v98 :: v_dual_cndmask_b32 v12, v12, v129
	v_lshl_add_u32 v11, v11, 23, 0x3b800000
	s_delay_alu instid0(VALU_DEP_2) | instskip(NEXT) | instid1(VALU_DEP_1)
	v_lshlrev_b32_e32 v12, 20, v12
	v_or3_b32 v11, v10, v11, v12
.LBB6_10977:                            ;   in Loop: Header=BB6_9656 Depth=2
	s_or_b32 exec_lo, exec_lo, s23
	s_delay_alu instid0(VALU_DEP_1) | instskip(SKIP_1) | instid1(VALU_DEP_1)
	v_dual_mul_f32 v10, s22, v11 :: v_dual_mov_b32 v129, 0x8000
	s_mov_b32 s23, exec_lo
	v_and_b32_e32 v11, 0x7f800000, v10
	s_delay_alu instid0(VALU_DEP_1)
	v_cmpx_ne_u32_e32 0x7f800000, v11
	s_cbranch_execz .LBB6_10985
; %bb.10978:                            ;   in Loop: Header=BB6_9656 Depth=2
	v_mov_b32_e32 v129, 0
	s_mov_b32 s24, exec_lo
	v_cmpx_ne_u32_e32 0, v10
	s_cbranch_execz .LBB6_10984
; %bb.10979:                            ;   in Loop: Header=BB6_9656 Depth=2
	v_bfe_u32 v11, v10, 23, 8
	v_and_b32_e32 v12, 0x7fffff, v10
	s_delay_alu instid0(VALU_DEP_2) | instskip(SKIP_1) | instid1(VALU_DEP_3)
	v_sub_nc_u32_e32 v98, 0x78, v11
	v_cmp_gt_u32_e32 vcc_lo, 0x79, v11
	v_or_b32_e32 v129, 0x800000, v12
	s_delay_alu instid0(VALU_DEP_3) | instskip(SKIP_2) | instid1(VALU_DEP_3)
	v_cndmask_b32_e32 v98, 0, v98, vcc_lo
	v_cmp_eq_u32_e32 vcc_lo, 0, v11
	v_add_nc_u32_e32 v11, 0xffffff89, v11
	v_cndmask_b32_e64 v98, v98, 0x77, vcc_lo
	v_cndmask_b32_e32 v12, v129, v12, vcc_lo
	s_delay_alu instid0(VALU_DEP_3) | instskip(NEXT) | instid1(VALU_DEP_3)
	v_cndmask_b32_e64 v11, v11, 0xffffff8a, vcc_lo
	v_lshl_add_u32 v129, 0x100000, v98, -1
	s_delay_alu instid0(VALU_DEP_3) | instskip(SKIP_1) | instid1(VALU_DEP_4)
	v_lshrrev_b32_e32 v130, v98, v12
	v_lshlrev_b32_e64 v132, v98, 0x80000
	v_add_nc_u32_e32 v98, v98, v11
	s_delay_alu instid0(VALU_DEP_4) | instskip(NEXT) | instid1(VALU_DEP_4)
	v_and_b32_e32 v12, v129, v12
	v_bfe_u32 v131, v130, 20, 1
	s_delay_alu instid0(VALU_DEP_2) | instskip(NEXT) | instid1(VALU_DEP_2)
	v_cmp_eq_u32_e64 s10, v12, v132
	v_add_nc_u32_e32 v129, -1, v131
	s_delay_alu instid0(VALU_DEP_1) | instskip(SKIP_2) | instid1(VALU_DEP_2)
	v_cndmask_b32_e64 v12, 0, v129, s10
	v_lshrrev_b32_e32 v129, 23, v130
	s_mov_b32 s10, exec_lo
	v_add_nc_u32_e32 v12, v12, v130
	s_delay_alu instid0(VALU_DEP_2) | instskip(NEXT) | instid1(VALU_DEP_2)
	v_xor_b32_e32 v129, 1, v129
	v_and_b32_e32 v11, 0xfffff, v12
	s_delay_alu instid0(VALU_DEP_1) | instskip(NEXT) | instid1(VALU_DEP_3)
	v_add_nc_u32_e32 v12, v11, v130
                                        ; implicit-def: $vgpr11
	v_cmpx_ne_u32_e64 v98, v129
	s_xor_b32 s10, exec_lo, s10
; %bb.10980:                            ;   in Loop: Header=BB6_9656 Depth=2
	s_delay_alu instid0(VALU_DEP_2) | instskip(SKIP_2) | instid1(VALU_DEP_2)
	v_cmp_lt_u32_e32 vcc_lo, 0xffffff, v12
	v_sub_nc_u32_e32 v11, v98, v129
	v_cndmask_b32_e64 v98, 0, 1, vcc_lo
	v_add_co_ci_u32_e32 v11, vcc_lo, 0, v11, vcc_lo
	s_delay_alu instid0(VALU_DEP_2)
	v_lshrrev_b32_e32 v12, v98, v12
; %bb.10981:                            ;   in Loop: Header=BB6_9656 Depth=2
	s_and_not1_saveexec_b32 s10, s10
; %bb.10982:                            ;   in Loop: Header=BB6_9656 Depth=2
	s_delay_alu instid0(VALU_DEP_1)
	v_bfe_u32 v11, v12, 23, 1
; %bb.10983:                            ;   in Loop: Header=BB6_9656 Depth=2
	s_or_b32 exec_lo, exec_lo, s10
	v_lshrrev_b32_e32 v12, 20, v12
	s_delay_alu instid0(VALU_DEP_2) | instskip(SKIP_2) | instid1(VALU_DEP_3)
	v_min_i32_e32 v98, 15, v11
	v_cmp_gt_i32_e32 vcc_lo, 16, v11
	v_lshrrev_b32_e32 v10, 24, v10
	v_lshlrev_b32_e32 v98, 3, v98
	v_cndmask_b32_e32 v12, 7, v12, vcc_lo
	s_delay_alu instid0(VALU_DEP_3) | instskip(NEXT) | instid1(VALU_DEP_3)
	v_and_b32_e32 v10, 0x80, v10
	v_and_b32_e32 v98, 0xf8, v98
	s_delay_alu instid0(VALU_DEP_3) | instskip(SKIP_1) | instid1(VALU_DEP_2)
	v_and_b32_e32 v129, 7, v12
	v_or_b32_e32 v11, v11, v12
	v_or3_b32 v10, v10, v98, v129
	s_delay_alu instid0(VALU_DEP_2) | instskip(NEXT) | instid1(VALU_DEP_2)
	v_cmp_ne_u32_e32 vcc_lo, 0, v11
	v_lshlrev_b32_e32 v10, 8, v10
	s_delay_alu instid0(VALU_DEP_1)
	v_cndmask_b32_e32 v129, 0, v10, vcc_lo
.LBB6_10984:                            ;   in Loop: Header=BB6_9656 Depth=2
	s_or_b32 exec_lo, exec_lo, s24
.LBB6_10985:                            ;   in Loop: Header=BB6_9656 Depth=2
	s_delay_alu instid0(SALU_CYCLE_1) | instskip(SKIP_3) | instid1(VALU_DEP_1)
	s_or_b32 exec_lo, exec_lo, s23
	v_lshrrev_b32_e32 v10, 16, v13
	s_mov_b32 s10, 0
	s_mov_b32 s24, exec_lo
                                        ; implicit-def: $sgpr23
	v_and_b32_e32 v12, 0xff, v10
	s_delay_alu instid0(VALU_DEP_1)
	v_cmpx_lt_i16_e32 0x7f, v12
	s_xor_b32 s24, exec_lo, s24
	s_cbranch_execnz .LBB6_11639
; %bb.10986:                            ;   in Loop: Header=BB6_9656 Depth=2
	s_or_saveexec_b32 s24, s24
	v_mov_b32_e32 v11, s23
	s_xor_b32 exec_lo, exec_lo, s24
	s_cbranch_execnz .LBB6_11642
.LBB6_10987:                            ;   in Loop: Header=BB6_9656 Depth=2
	s_or_b32 exec_lo, exec_lo, s24
	s_and_saveexec_b32 s23, s10
	s_cbranch_execz .LBB6_10989
.LBB6_10988:                            ;   in Loop: Header=BB6_9656 Depth=2
	v_bfe_u32 v11, v13, 16, 3
	v_lshlrev_b32_e32 v130, 8, v13
	s_delay_alu instid0(VALU_DEP_2) | instskip(NEXT) | instid1(VALU_DEP_1)
	v_clz_i32_u32_e32 v12, v11
	v_min_u32_e32 v12, 32, v12
	s_delay_alu instid0(VALU_DEP_1) | instskip(SKIP_1) | instid1(VALU_DEP_2)
	v_subrev_nc_u32_e32 v98, 28, v12
	v_sub_nc_u32_e32 v12, 29, v12
	v_lshlrev_b32_e32 v10, v98, v10
	v_bfe_u32 v98, v13, 19, 4
	s_delay_alu instid0(VALU_DEP_2) | instskip(NEXT) | instid1(VALU_DEP_2)
	v_and_b32_e32 v10, 7, v10
	v_cmp_eq_u32_e32 vcc_lo, 0, v98
	v_cndmask_b32_e32 v12, v98, v12, vcc_lo
	s_delay_alu instid0(VALU_DEP_3) | instskip(SKIP_1) | instid1(VALU_DEP_3)
	v_cndmask_b32_e32 v10, v11, v10, vcc_lo
	v_and_b32_e32 v11, 0x80000000, v130
	v_lshl_add_u32 v12, v12, 23, 0x3b800000
	s_delay_alu instid0(VALU_DEP_3) | instskip(NEXT) | instid1(VALU_DEP_1)
	v_lshlrev_b32_e32 v10, 20, v10
	v_or3_b32 v11, v11, v12, v10
.LBB6_10989:                            ;   in Loop: Header=BB6_9656 Depth=2
	s_or_b32 exec_lo, exec_lo, s23
	s_delay_alu instid0(VALU_DEP_1) | instskip(SKIP_2) | instid1(VALU_DEP_2)
	v_mul_f32_e32 v10, s22, v11
	v_mov_b32_e32 v130, 0x80
	s_mov_b32 s23, exec_lo
	v_and_b32_e32 v11, 0x7f800000, v10
	s_delay_alu instid0(VALU_DEP_1)
	v_cmpx_ne_u32_e32 0x7f800000, v11
	s_cbranch_execz .LBB6_10997
; %bb.10990:                            ;   in Loop: Header=BB6_9656 Depth=2
	v_mov_b32_e32 v130, 0
	s_mov_b32 s24, exec_lo
	v_cmpx_ne_u32_e32 0, v10
	s_cbranch_execz .LBB6_10996
; %bb.10991:                            ;   in Loop: Header=BB6_9656 Depth=2
	v_bfe_u32 v11, v10, 23, 8
	v_and_b32_e32 v12, 0x7fffff, v10
	s_delay_alu instid0(VALU_DEP_2) | instskip(SKIP_1) | instid1(VALU_DEP_3)
	v_sub_nc_u32_e32 v98, 0x78, v11
	v_cmp_gt_u32_e32 vcc_lo, 0x79, v11
	v_or_b32_e32 v130, 0x800000, v12
	s_delay_alu instid0(VALU_DEP_3) | instskip(SKIP_2) | instid1(VALU_DEP_3)
	v_cndmask_b32_e32 v98, 0, v98, vcc_lo
	v_cmp_eq_u32_e32 vcc_lo, 0, v11
	v_add_nc_u32_e32 v11, 0xffffff89, v11
	v_cndmask_b32_e64 v98, v98, 0x77, vcc_lo
	v_cndmask_b32_e32 v12, v130, v12, vcc_lo
	s_delay_alu instid0(VALU_DEP_3) | instskip(NEXT) | instid1(VALU_DEP_3)
	v_cndmask_b32_e64 v11, v11, 0xffffff8a, vcc_lo
	v_lshl_add_u32 v130, 0x100000, v98, -1
	s_delay_alu instid0(VALU_DEP_3) | instskip(SKIP_1) | instid1(VALU_DEP_4)
	v_lshrrev_b32_e32 v131, v98, v12
	v_lshlrev_b32_e64 v133, v98, 0x80000
	v_add_nc_u32_e32 v98, v98, v11
	s_delay_alu instid0(VALU_DEP_4) | instskip(NEXT) | instid1(VALU_DEP_4)
	v_and_b32_e32 v12, v130, v12
	v_bfe_u32 v132, v131, 20, 1
	s_delay_alu instid0(VALU_DEP_2) | instskip(NEXT) | instid1(VALU_DEP_2)
	v_cmp_eq_u32_e64 s10, v12, v133
	v_add_nc_u32_e32 v130, -1, v132
	s_delay_alu instid0(VALU_DEP_1) | instskip(SKIP_2) | instid1(VALU_DEP_2)
	v_cndmask_b32_e64 v12, 0, v130, s10
	v_lshrrev_b32_e32 v130, 23, v131
	s_mov_b32 s10, exec_lo
	v_add_nc_u32_e32 v12, v12, v131
	s_delay_alu instid0(VALU_DEP_2) | instskip(NEXT) | instid1(VALU_DEP_2)
	v_xor_b32_e32 v130, 1, v130
	v_and_b32_e32 v11, 0xfffff, v12
	s_delay_alu instid0(VALU_DEP_1) | instskip(NEXT) | instid1(VALU_DEP_3)
	v_add_nc_u32_e32 v12, v11, v131
                                        ; implicit-def: $vgpr11
	v_cmpx_ne_u32_e64 v98, v130
	s_xor_b32 s10, exec_lo, s10
; %bb.10992:                            ;   in Loop: Header=BB6_9656 Depth=2
	s_delay_alu instid0(VALU_DEP_2) | instskip(SKIP_2) | instid1(VALU_DEP_2)
	v_cmp_lt_u32_e32 vcc_lo, 0xffffff, v12
	v_sub_nc_u32_e32 v11, v98, v130
	v_cndmask_b32_e64 v98, 0, 1, vcc_lo
	v_add_co_ci_u32_e32 v11, vcc_lo, 0, v11, vcc_lo
	s_delay_alu instid0(VALU_DEP_2)
	v_lshrrev_b32_e32 v12, v98, v12
; %bb.10993:                            ;   in Loop: Header=BB6_9656 Depth=2
	s_and_not1_saveexec_b32 s10, s10
; %bb.10994:                            ;   in Loop: Header=BB6_9656 Depth=2
	s_delay_alu instid0(VALU_DEP_1)
	v_bfe_u32 v11, v12, 23, 1
; %bb.10995:                            ;   in Loop: Header=BB6_9656 Depth=2
	s_or_b32 exec_lo, exec_lo, s10
	v_lshrrev_b32_e32 v12, 20, v12
	s_delay_alu instid0(VALU_DEP_2) | instskip(SKIP_2) | instid1(VALU_DEP_3)
	v_min_i32_e32 v98, 15, v11
	v_cmp_gt_i32_e32 vcc_lo, 16, v11
	v_lshrrev_b32_e32 v10, 24, v10
	v_lshlrev_b32_e32 v98, 3, v98
	v_cndmask_b32_e32 v12, 7, v12, vcc_lo
	s_delay_alu instid0(VALU_DEP_3) | instskip(NEXT) | instid1(VALU_DEP_3)
	v_and_b32_e32 v10, 0x80, v10
	v_and_b32_e32 v98, 0xf8, v98
	s_delay_alu instid0(VALU_DEP_3) | instskip(SKIP_1) | instid1(VALU_DEP_2)
	v_and_b32_e32 v130, 7, v12
	v_or_b32_e32 v11, v11, v12
	v_or3_b32 v10, v98, v10, v130
	s_delay_alu instid0(VALU_DEP_2) | instskip(NEXT) | instid1(VALU_DEP_2)
	v_cmp_ne_u32_e32 vcc_lo, 0, v11
	v_cndmask_b32_e32 v130, 0, v10, vcc_lo
.LBB6_10996:                            ;   in Loop: Header=BB6_9656 Depth=2
	s_or_b32 exec_lo, exec_lo, s24
.LBB6_10997:                            ;   in Loop: Header=BB6_9656 Depth=2
	s_delay_alu instid0(SALU_CYCLE_1) | instskip(SKIP_3) | instid1(VALU_DEP_1)
	s_or_b32 exec_lo, exec_lo, s23
	v_lshrrev_b32_e32 v10, 24, v13
	s_mov_b32 s10, 0
	s_mov_b32 s24, exec_lo
                                        ; implicit-def: $sgpr23
	v_cmpx_lt_i16_e32 0x7f, v10
	s_xor_b32 s24, exec_lo, s24
	s_cbranch_execnz .LBB6_11643
; %bb.10998:                            ;   in Loop: Header=BB6_9656 Depth=2
	s_or_saveexec_b32 s24, s24
	v_mov_b32_e32 v11, s23
	s_xor_b32 exec_lo, exec_lo, s24
	s_cbranch_execnz .LBB6_11646
.LBB6_10999:                            ;   in Loop: Header=BB6_9656 Depth=2
	s_or_b32 exec_lo, exec_lo, s24
	s_and_saveexec_b32 s23, s10
	s_cbranch_execz .LBB6_11001
.LBB6_11000:                            ;   in Loop: Header=BB6_9656 Depth=2
	v_bfe_u32 v11, v13, 24, 3
	s_delay_alu instid0(VALU_DEP_1) | instskip(NEXT) | instid1(VALU_DEP_1)
	v_clz_i32_u32_e32 v12, v11
	v_min_u32_e32 v12, 32, v12
	s_delay_alu instid0(VALU_DEP_1) | instskip(SKIP_1) | instid1(VALU_DEP_2)
	v_subrev_nc_u32_e32 v98, 28, v12
	v_sub_nc_u32_e32 v12, 29, v12
	v_lshlrev_b32_e32 v10, v98, v10
	v_bfe_u32 v98, v13, 27, 4
	s_delay_alu instid0(VALU_DEP_2) | instskip(NEXT) | instid1(VALU_DEP_2)
	v_and_b32_e32 v10, 7, v10
	v_cmp_eq_u32_e32 vcc_lo, 0, v98
	v_cndmask_b32_e32 v12, v98, v12, vcc_lo
	s_delay_alu instid0(VALU_DEP_3) | instskip(NEXT) | instid1(VALU_DEP_2)
	v_dual_cndmask_b32 v10, v11, v10 :: v_dual_and_b32 v11, 0x80000000, v13
	v_lshl_add_u32 v12, v12, 23, 0x3b800000
	s_delay_alu instid0(VALU_DEP_2) | instskip(NEXT) | instid1(VALU_DEP_1)
	v_lshlrev_b32_e32 v10, 20, v10
	v_or3_b32 v11, v11, v12, v10
.LBB6_11001:                            ;   in Loop: Header=BB6_9656 Depth=2
	s_or_b32 exec_lo, exec_lo, s23
	s_delay_alu instid0(VALU_DEP_1) | instskip(SKIP_1) | instid1(VALU_DEP_1)
	v_dual_mul_f32 v10, s22, v11 :: v_dual_mov_b32 v131, 0x8000
	s_mov_b32 s23, exec_lo
	v_and_b32_e32 v11, 0x7f800000, v10
	s_delay_alu instid0(VALU_DEP_1)
	v_cmpx_ne_u32_e32 0x7f800000, v11
	s_cbranch_execz .LBB6_11009
; %bb.11002:                            ;   in Loop: Header=BB6_9656 Depth=2
	v_mov_b32_e32 v131, 0
	s_mov_b32 s24, exec_lo
	v_cmpx_ne_u32_e32 0, v10
	s_cbranch_execz .LBB6_11008
; %bb.11003:                            ;   in Loop: Header=BB6_9656 Depth=2
	v_bfe_u32 v11, v10, 23, 8
	s_delay_alu instid0(VALU_DEP_1) | instskip(SKIP_1) | instid1(VALU_DEP_2)
	v_sub_nc_u32_e32 v13, 0x78, v11
	v_cmp_gt_u32_e32 vcc_lo, 0x79, v11
	v_dual_cndmask_b32 v13, 0, v13 :: v_dual_and_b32 v12, 0x7fffff, v10
	s_delay_alu instid0(VALU_DEP_1) | instskip(SKIP_2) | instid1(VALU_DEP_4)
	v_or_b32_e32 v98, 0x800000, v12
	v_cmp_eq_u32_e32 vcc_lo, 0, v11
	v_add_nc_u32_e32 v11, 0xffffff89, v11
	v_cndmask_b32_e64 v13, v13, 0x77, vcc_lo
	s_delay_alu instid0(VALU_DEP_4) | instskip(NEXT) | instid1(VALU_DEP_3)
	v_cndmask_b32_e32 v12, v98, v12, vcc_lo
	v_cndmask_b32_e64 v11, v11, 0xffffff8a, vcc_lo
	s_delay_alu instid0(VALU_DEP_3) | instskip(NEXT) | instid1(VALU_DEP_3)
	v_lshl_add_u32 v98, 0x100000, v13, -1
	v_lshrrev_b32_e32 v131, v13, v12
	v_lshlrev_b32_e64 v133, v13, 0x80000
	s_delay_alu instid0(VALU_DEP_4) | instskip(NEXT) | instid1(VALU_DEP_4)
	v_add_nc_u32_e32 v13, v13, v11
	v_and_b32_e32 v12, v98, v12
	s_delay_alu instid0(VALU_DEP_4) | instskip(NEXT) | instid1(VALU_DEP_2)
	v_bfe_u32 v132, v131, 20, 1
	v_cmp_eq_u32_e64 s10, v12, v133
	s_delay_alu instid0(VALU_DEP_2) | instskip(NEXT) | instid1(VALU_DEP_1)
	v_add_nc_u32_e32 v98, -1, v132
	v_cndmask_b32_e64 v12, 0, v98, s10
	v_lshrrev_b32_e32 v98, 23, v131
	s_mov_b32 s10, exec_lo
	s_delay_alu instid0(VALU_DEP_2) | instskip(NEXT) | instid1(VALU_DEP_2)
	v_add_nc_u32_e32 v12, v12, v131
	v_xor_b32_e32 v98, 1, v98
	s_delay_alu instid0(VALU_DEP_2) | instskip(NEXT) | instid1(VALU_DEP_1)
	v_and_b32_e32 v11, 0xfffff, v12
	v_add_nc_u32_e32 v12, v11, v131
                                        ; implicit-def: $vgpr11
	s_delay_alu instid0(VALU_DEP_3)
	v_cmpx_ne_u32_e64 v13, v98
	s_xor_b32 s10, exec_lo, s10
; %bb.11004:                            ;   in Loop: Header=BB6_9656 Depth=2
	s_delay_alu instid0(VALU_DEP_2) | instskip(SKIP_2) | instid1(VALU_DEP_2)
	v_cmp_lt_u32_e32 vcc_lo, 0xffffff, v12
	v_sub_nc_u32_e32 v11, v13, v98
	v_cndmask_b32_e64 v13, 0, 1, vcc_lo
	v_add_co_ci_u32_e32 v11, vcc_lo, 0, v11, vcc_lo
	s_delay_alu instid0(VALU_DEP_2)
	v_lshrrev_b32_e32 v12, v13, v12
; %bb.11005:                            ;   in Loop: Header=BB6_9656 Depth=2
	s_and_not1_saveexec_b32 s10, s10
; %bb.11006:                            ;   in Loop: Header=BB6_9656 Depth=2
	s_delay_alu instid0(VALU_DEP_1)
	v_bfe_u32 v11, v12, 23, 1
; %bb.11007:                            ;   in Loop: Header=BB6_9656 Depth=2
	s_or_b32 exec_lo, exec_lo, s10
	v_lshrrev_b32_e32 v12, 20, v12
	s_delay_alu instid0(VALU_DEP_2) | instskip(SKIP_2) | instid1(VALU_DEP_2)
	v_cmp_gt_i32_e32 vcc_lo, 16, v11
	v_min_i32_e32 v13, 15, v11
	v_lshrrev_b32_e32 v10, 24, v10
	v_dual_cndmask_b32 v12, 7, v12 :: v_dual_lshlrev_b32 v13, 3, v13
	s_delay_alu instid0(VALU_DEP_2) | instskip(NEXT) | instid1(VALU_DEP_2)
	v_and_b32_e32 v10, 0x80, v10
	v_or_b32_e32 v11, v11, v12
	s_delay_alu instid0(VALU_DEP_3) | instskip(NEXT) | instid1(VALU_DEP_2)
	v_and_b32_e32 v13, 0xf8, v13
	v_cmp_ne_u32_e32 vcc_lo, 0, v11
	v_and_b32_e32 v98, 7, v12
	s_delay_alu instid0(VALU_DEP_1) | instskip(NEXT) | instid1(VALU_DEP_1)
	v_or3_b32 v10, v10, v13, v98
	v_lshlrev_b32_e32 v10, 8, v10
	s_delay_alu instid0(VALU_DEP_1)
	v_cndmask_b32_e32 v131, 0, v10, vcc_lo
.LBB6_11008:                            ;   in Loop: Header=BB6_9656 Depth=2
	s_or_b32 exec_lo, exec_lo, s24
.LBB6_11009:                            ;   in Loop: Header=BB6_9656 Depth=2
	s_delay_alu instid0(SALU_CYCLE_1) | instskip(SKIP_4) | instid1(VALU_DEP_1)
	s_or_b32 exec_lo, exec_lo, s23
	global_load_b128 v[10:13], v[23:24], off offset:3584 slc dlc
	s_mov_b32 s10, 0
                                        ; implicit-def: $sgpr23
	s_waitcnt vmcnt(0)
	v_and_b32_e32 v24, 0xff, v10
	v_cmp_lt_i16_e32 vcc_lo, 0x7f, v24
	s_mov_b32 s24, exec_lo
	v_dual_mov_b32 v171, v84 :: v_dual_mov_b32 v172, v41
	v_dual_mov_b32 v173, v40 :: v_dual_mov_b32 v184, v94
	;; [unrolled: 1-line block ×18, first 2 shown]
	v_mov_b32_e32 v157, v131
	s_and_b32 s25, s24, vcc_lo
	s_delay_alu instid0(SALU_CYCLE_1)
	s_xor_b32 s24, s25, s24
	s_mov_b32 exec_lo, s25
	s_cbranch_execnz .LBB6_11647
; %bb.11010:                            ;   in Loop: Header=BB6_9656 Depth=2
	s_or_saveexec_b32 s24, s24
	v_mov_b32_e32 v23, s23
	s_xor_b32 exec_lo, exec_lo, s24
	s_cbranch_execnz .LBB6_11650
.LBB6_11011:                            ;   in Loop: Header=BB6_9656 Depth=2
	s_or_b32 exec_lo, exec_lo, s24
	s_and_saveexec_b32 s23, s10
	s_cbranch_execz .LBB6_11013
.LBB6_11012:                            ;   in Loop: Header=BB6_9656 Depth=2
	v_bfe_u32 v132, v10, 3, 4
	v_lshlrev_b32_e32 v133, 24, v10
	s_delay_alu instid0(VALU_DEP_2) | instskip(SKIP_1) | instid1(VALU_DEP_1)
	v_cmp_eq_u32_e32 vcc_lo, 0, v132
	v_and_b32_e32 v23, 7, v10
	v_clz_i32_u32_e32 v24, v23
	s_delay_alu instid0(VALU_DEP_1) | instskip(NEXT) | instid1(VALU_DEP_1)
	v_min_u32_e32 v24, 32, v24
	v_subrev_nc_u32_e32 v98, 28, v24
	v_sub_nc_u32_e32 v24, 29, v24
	s_delay_alu instid0(VALU_DEP_2) | instskip(NEXT) | instid1(VALU_DEP_2)
	v_lshlrev_b32_e32 v98, v98, v10
	v_cndmask_b32_e32 v24, v132, v24, vcc_lo
	s_delay_alu instid0(VALU_DEP_2) | instskip(NEXT) | instid1(VALU_DEP_2)
	v_and_b32_e32 v98, 7, v98
	v_lshl_add_u32 v24, v24, 23, 0x3b800000
	s_delay_alu instid0(VALU_DEP_2) | instskip(NEXT) | instid1(VALU_DEP_1)
	v_dual_cndmask_b32 v23, v23, v98 :: v_dual_and_b32 v98, 0x80000000, v133
	v_lshlrev_b32_e32 v23, 20, v23
	s_delay_alu instid0(VALU_DEP_1)
	v_or3_b32 v23, v98, v24, v23
.LBB6_11013:                            ;   in Loop: Header=BB6_9656 Depth=2
	s_or_b32 exec_lo, exec_lo, s23
	s_delay_alu instid0(VALU_DEP_1) | instskip(NEXT) | instid1(VALU_DEP_1)
	v_mul_f32_e32 v24, s22, v23
	v_and_b32_e32 v23, 0x7f800000, v24
	s_delay_alu instid0(VALU_DEP_1)
	v_cmp_ne_u32_e32 vcc_lo, 0x7f800000, v23
	v_mov_b32_e32 v23, 0x80
	s_and_saveexec_b32 s23, vcc_lo
	s_cbranch_execz .LBB6_11021
; %bb.11014:                            ;   in Loop: Header=BB6_9656 Depth=2
	v_mov_b32_e32 v23, 0
	s_mov_b32 s24, exec_lo
	v_cmpx_ne_u32_e32 0, v24
	s_cbranch_execz .LBB6_11020
; %bb.11015:                            ;   in Loop: Header=BB6_9656 Depth=2
	v_bfe_u32 v23, v24, 23, 8
	v_and_b32_e32 v98, 0x7fffff, v24
	s_delay_alu instid0(VALU_DEP_2) | instskip(SKIP_1) | instid1(VALU_DEP_3)
	v_sub_nc_u32_e32 v132, 0x78, v23
	v_cmp_gt_u32_e32 vcc_lo, 0x79, v23
	v_or_b32_e32 v133, 0x800000, v98
	s_delay_alu instid0(VALU_DEP_3) | instskip(SKIP_2) | instid1(VALU_DEP_3)
	v_cndmask_b32_e32 v132, 0, v132, vcc_lo
	v_cmp_eq_u32_e32 vcc_lo, 0, v23
	v_add_nc_u32_e32 v23, 0xffffff89, v23
	v_cndmask_b32_e64 v132, v132, 0x77, vcc_lo
	v_cndmask_b32_e32 v98, v133, v98, vcc_lo
	s_delay_alu instid0(VALU_DEP_3) | instskip(NEXT) | instid1(VALU_DEP_3)
	v_cndmask_b32_e64 v23, v23, 0xffffff8a, vcc_lo
	v_lshl_add_u32 v133, 0x100000, v132, -1
	s_delay_alu instid0(VALU_DEP_3) | instskip(SKIP_1) | instid1(VALU_DEP_4)
	v_lshrrev_b32_e32 v134, v132, v98
	v_lshlrev_b32_e64 v144, v132, 0x80000
	v_add_nc_u32_e32 v132, v132, v23
	s_delay_alu instid0(VALU_DEP_4) | instskip(NEXT) | instid1(VALU_DEP_4)
	v_and_b32_e32 v98, v133, v98
	v_bfe_u32 v135, v134, 20, 1
	s_delay_alu instid0(VALU_DEP_2) | instskip(NEXT) | instid1(VALU_DEP_2)
	v_cmp_eq_u32_e64 s10, v98, v144
	v_add_nc_u32_e32 v133, -1, v135
	s_delay_alu instid0(VALU_DEP_1) | instskip(SKIP_2) | instid1(VALU_DEP_2)
	v_cndmask_b32_e64 v98, 0, v133, s10
	v_lshrrev_b32_e32 v133, 23, v134
	s_mov_b32 s10, exec_lo
	v_add_nc_u32_e32 v98, v98, v134
	s_delay_alu instid0(VALU_DEP_2) | instskip(NEXT) | instid1(VALU_DEP_2)
	v_xor_b32_e32 v133, 1, v133
	v_and_b32_e32 v23, 0xfffff, v98
	s_delay_alu instid0(VALU_DEP_1) | instskip(NEXT) | instid1(VALU_DEP_3)
	v_add_nc_u32_e32 v98, v23, v134
                                        ; implicit-def: $vgpr23
	v_cmpx_ne_u32_e64 v132, v133
	s_xor_b32 s10, exec_lo, s10
; %bb.11016:                            ;   in Loop: Header=BB6_9656 Depth=2
	s_delay_alu instid0(VALU_DEP_2) | instskip(SKIP_2) | instid1(VALU_DEP_2)
	v_cmp_lt_u32_e32 vcc_lo, 0xffffff, v98
	v_sub_nc_u32_e32 v23, v132, v133
	v_cndmask_b32_e64 v132, 0, 1, vcc_lo
	v_add_co_ci_u32_e32 v23, vcc_lo, 0, v23, vcc_lo
	s_delay_alu instid0(VALU_DEP_2)
	v_lshrrev_b32_e32 v98, v132, v98
; %bb.11017:                            ;   in Loop: Header=BB6_9656 Depth=2
	s_and_not1_saveexec_b32 s10, s10
; %bb.11018:                            ;   in Loop: Header=BB6_9656 Depth=2
	s_delay_alu instid0(VALU_DEP_1)
	v_bfe_u32 v23, v98, 23, 1
; %bb.11019:                            ;   in Loop: Header=BB6_9656 Depth=2
	s_or_b32 exec_lo, exec_lo, s10
	v_lshrrev_b32_e32 v98, 20, v98
	s_delay_alu instid0(VALU_DEP_2) | instskip(SKIP_4) | instid1(VALU_DEP_4)
	v_cmp_gt_i32_e32 vcc_lo, 16, v23
	v_lshrrev_b32_e32 v24, 24, v24
	v_min_i32_e32 v132, 15, v23
	v_dual_mov_b32 v174, v92 :: v_dual_mov_b32 v175, v93
	v_cndmask_b32_e32 v98, 7, v98, vcc_lo
	v_dual_mov_b32 v171, v84 :: v_dual_and_b32 v24, 0x80, v24
	s_delay_alu instid0(VALU_DEP_4) | instskip(NEXT) | instid1(VALU_DEP_3)
	v_dual_mov_b32 v173, v40 :: v_dual_lshlrev_b32 v132, 3, v132
	v_dual_mov_b32 v172, v41 :: v_dual_and_b32 v133, 7, v98
	v_or_b32_e32 v23, v23, v98
	v_dual_mov_b32 v184, v94 :: v_dual_mov_b32 v185, v95
	s_delay_alu instid0(VALU_DEP_3) | instskip(SKIP_1) | instid1(VALU_DEP_4)
	v_or3_b32 v24, v132, v24, v133
	v_dual_mov_b32 v187, v104 :: v_dual_mov_b32 v186, v106
	v_cmp_ne_u32_e32 vcc_lo, 0, v23
	v_dual_mov_b32 v189, v105 :: v_dual_mov_b32 v188, v107
	v_dual_mov_b32 v108, v158 :: v_dual_mov_b32 v109, v83
	v_dual_cndmask_b32 v23, 0, v24 :: v_dual_mov_b32 v190, v110
	v_mov_b32_e32 v121, v96
	v_dual_mov_b32 v111, v86 :: v_dual_mov_b32 v120, v87
	v_dual_mov_b32 v122, v82 :: v_dual_mov_b32 v123, v97
	;; [unrolled: 1-line block ×11, first 2 shown]
.LBB6_11020:                            ;   in Loop: Header=BB6_9656 Depth=2
	s_or_b32 exec_lo, exec_lo, s24
.LBB6_11021:                            ;   in Loop: Header=BB6_9656 Depth=2
	s_delay_alu instid0(SALU_CYCLE_1) | instskip(SKIP_3) | instid1(VALU_DEP_1)
	s_or_b32 exec_lo, exec_lo, s23
	v_lshrrev_b16 v24, 8, v10
	s_mov_b32 s10, 0
	s_mov_b32 s24, exec_lo
                                        ; implicit-def: $sgpr23
	v_cmpx_lt_i16_e32 0x7f, v24
	s_xor_b32 s24, exec_lo, s24
	s_cbranch_execnz .LBB6_11651
; %bb.11022:                            ;   in Loop: Header=BB6_9656 Depth=2
	s_or_saveexec_b32 s24, s24
	v_mov_b32_e32 v98, s23
	s_xor_b32 exec_lo, exec_lo, s24
	s_cbranch_execnz .LBB6_11654
.LBB6_11023:                            ;   in Loop: Header=BB6_9656 Depth=2
	s_or_b32 exec_lo, exec_lo, s24
	s_and_saveexec_b32 s23, s10
	s_cbranch_execz .LBB6_11025
.LBB6_11024:                            ;   in Loop: Header=BB6_9656 Depth=2
	v_and_b32_e32 v98, 0xffff, v24
	v_lshlrev_b32_e32 v24, 24, v24
	s_delay_alu instid0(VALU_DEP_2) | instskip(NEXT) | instid1(VALU_DEP_2)
	v_and_b32_e32 v132, 7, v98
	v_and_b32_e32 v24, 0x80000000, v24
	s_delay_alu instid0(VALU_DEP_2) | instskip(NEXT) | instid1(VALU_DEP_1)
	v_clz_i32_u32_e32 v133, v132
	v_min_u32_e32 v133, 32, v133
	s_delay_alu instid0(VALU_DEP_1) | instskip(SKIP_1) | instid1(VALU_DEP_2)
	v_subrev_nc_u32_e32 v134, 28, v133
	v_sub_nc_u32_e32 v133, 29, v133
	v_lshlrev_b32_e32 v134, v134, v98
	v_bfe_u32 v98, v98, 3, 4
	s_delay_alu instid0(VALU_DEP_2) | instskip(NEXT) | instid1(VALU_DEP_2)
	v_and_b32_e32 v134, 7, v134
	v_cmp_eq_u32_e32 vcc_lo, 0, v98
	v_cndmask_b32_e32 v98, v98, v133, vcc_lo
	s_delay_alu instid0(VALU_DEP_3) | instskip(NEXT) | instid1(VALU_DEP_2)
	v_cndmask_b32_e32 v132, v132, v134, vcc_lo
	v_lshl_add_u32 v98, v98, 23, 0x3b800000
	s_delay_alu instid0(VALU_DEP_2) | instskip(NEXT) | instid1(VALU_DEP_1)
	v_lshlrev_b32_e32 v132, 20, v132
	v_or3_b32 v98, v24, v98, v132
.LBB6_11025:                            ;   in Loop: Header=BB6_9656 Depth=2
	s_or_b32 exec_lo, exec_lo, s23
	s_delay_alu instid0(VALU_DEP_1) | instskip(NEXT) | instid1(VALU_DEP_1)
	v_mul_f32_e32 v98, s22, v98
	v_and_b32_e32 v24, 0x7f800000, v98
	s_delay_alu instid0(VALU_DEP_1)
	v_cmp_ne_u32_e32 vcc_lo, 0x7f800000, v24
	v_mov_b32_e32 v24, 0x80
	s_and_saveexec_b32 s23, vcc_lo
	s_cbranch_execz .LBB6_11033
; %bb.11026:                            ;   in Loop: Header=BB6_9656 Depth=2
	v_mov_b32_e32 v24, 0
	s_mov_b32 s24, exec_lo
	v_cmpx_ne_u32_e32 0, v98
	s_cbranch_execz .LBB6_11032
; %bb.11027:                            ;   in Loop: Header=BB6_9656 Depth=2
	v_bfe_u32 v24, v98, 23, 8
	s_delay_alu instid0(VALU_DEP_1) | instskip(SKIP_1) | instid1(VALU_DEP_2)
	v_sub_nc_u32_e32 v133, 0x78, v24
	v_cmp_gt_u32_e32 vcc_lo, 0x79, v24
	v_dual_cndmask_b32 v133, 0, v133 :: v_dual_and_b32 v132, 0x7fffff, v98
	s_delay_alu instid0(VALU_DEP_1) | instskip(SKIP_2) | instid1(VALU_DEP_4)
	v_or_b32_e32 v134, 0x800000, v132
	v_cmp_eq_u32_e32 vcc_lo, 0, v24
	v_add_nc_u32_e32 v24, 0xffffff89, v24
	v_cndmask_b32_e64 v133, v133, 0x77, vcc_lo
	s_delay_alu instid0(VALU_DEP_4) | instskip(NEXT) | instid1(VALU_DEP_3)
	v_cndmask_b32_e32 v132, v134, v132, vcc_lo
	v_cndmask_b32_e64 v24, v24, 0xffffff8a, vcc_lo
	s_delay_alu instid0(VALU_DEP_3) | instskip(NEXT) | instid1(VALU_DEP_3)
	v_lshl_add_u32 v134, 0x100000, v133, -1
	v_lshrrev_b32_e32 v135, v133, v132
	v_lshlrev_b32_e64 v145, v133, 0x80000
	s_delay_alu instid0(VALU_DEP_4) | instskip(NEXT) | instid1(VALU_DEP_4)
	v_add_nc_u32_e32 v133, v133, v24
	v_and_b32_e32 v132, v134, v132
	s_delay_alu instid0(VALU_DEP_4) | instskip(NEXT) | instid1(VALU_DEP_2)
	v_bfe_u32 v144, v135, 20, 1
	v_cmp_eq_u32_e64 s10, v132, v145
	s_delay_alu instid0(VALU_DEP_2) | instskip(NEXT) | instid1(VALU_DEP_1)
	v_add_nc_u32_e32 v134, -1, v144
	v_cndmask_b32_e64 v132, 0, v134, s10
	v_lshrrev_b32_e32 v134, 23, v135
	s_mov_b32 s10, exec_lo
	s_delay_alu instid0(VALU_DEP_2) | instskip(NEXT) | instid1(VALU_DEP_2)
	v_add_nc_u32_e32 v132, v132, v135
	v_xor_b32_e32 v134, 1, v134
	s_delay_alu instid0(VALU_DEP_2) | instskip(NEXT) | instid1(VALU_DEP_1)
	v_and_b32_e32 v24, 0xfffff, v132
	v_add_nc_u32_e32 v132, v24, v135
                                        ; implicit-def: $vgpr24
	s_delay_alu instid0(VALU_DEP_3)
	v_cmpx_ne_u32_e64 v133, v134
	s_xor_b32 s10, exec_lo, s10
; %bb.11028:                            ;   in Loop: Header=BB6_9656 Depth=2
	s_delay_alu instid0(VALU_DEP_2) | instskip(SKIP_2) | instid1(VALU_DEP_2)
	v_cmp_lt_u32_e32 vcc_lo, 0xffffff, v132
	v_sub_nc_u32_e32 v24, v133, v134
	v_cndmask_b32_e64 v133, 0, 1, vcc_lo
	v_add_co_ci_u32_e32 v24, vcc_lo, 0, v24, vcc_lo
	s_delay_alu instid0(VALU_DEP_2)
	v_lshrrev_b32_e32 v132, v133, v132
; %bb.11029:                            ;   in Loop: Header=BB6_9656 Depth=2
	s_and_not1_saveexec_b32 s10, s10
; %bb.11030:                            ;   in Loop: Header=BB6_9656 Depth=2
	s_delay_alu instid0(VALU_DEP_1)
	v_bfe_u32 v24, v132, 23, 1
; %bb.11031:                            ;   in Loop: Header=BB6_9656 Depth=2
	s_or_b32 exec_lo, exec_lo, s10
	v_lshrrev_b32_e32 v132, 20, v132
	s_delay_alu instid0(VALU_DEP_2) | instskip(SKIP_4) | instid1(VALU_DEP_4)
	v_cmp_gt_i32_e32 vcc_lo, 16, v24
	v_lshrrev_b32_e32 v98, 24, v98
	v_min_i32_e32 v133, 15, v24
	v_dual_mov_b32 v172, v41 :: v_dual_mov_b32 v185, v95
	v_cndmask_b32_e32 v132, 7, v132, vcc_lo
	v_dual_mov_b32 v171, v84 :: v_dual_and_b32 v98, 0x80, v98
	s_delay_alu instid0(VALU_DEP_4) | instskip(NEXT) | instid1(VALU_DEP_3)
	v_lshlrev_b32_e32 v133, 3, v133
	v_dual_mov_b32 v173, v40 :: v_dual_and_b32 v134, 7, v132
	v_or_b32_e32 v24, v24, v132
	v_dual_mov_b32 v174, v92 :: v_dual_mov_b32 v189, v105
	v_dual_mov_b32 v184, v94 :: v_dual_mov_b32 v187, v104
	s_delay_alu instid0(VALU_DEP_4) | instskip(NEXT) | instid1(VALU_DEP_4)
	v_or3_b32 v98, v133, v98, v134
	v_cmp_ne_u32_e32 vcc_lo, 0, v24
	v_dual_mov_b32 v186, v106 :: v_dual_mov_b32 v109, v83
	v_dual_mov_b32 v175, v93 :: v_dual_mov_b32 v188, v107
	s_delay_alu instid0(VALU_DEP_4)
	v_dual_mov_b32 v111, v86 :: v_dual_cndmask_b32 v24, 0, v98
	v_dual_mov_b32 v108, v158 :: v_dual_mov_b32 v121, v96
	v_dual_mov_b32 v190, v110 :: v_dual_mov_b32 v123, v97
	;; [unrolled: 1-line block ×10, first 2 shown]
	v_mov_b32_e32 v152, v119
	v_dual_mov_b32 v154, v66 :: v_dual_mov_b32 v157, v131
	v_mov_b32_e32 v156, v130
.LBB6_11032:                            ;   in Loop: Header=BB6_9656 Depth=2
	s_or_b32 exec_lo, exec_lo, s24
.LBB6_11033:                            ;   in Loop: Header=BB6_9656 Depth=2
	s_delay_alu instid0(SALU_CYCLE_1) | instskip(SKIP_3) | instid1(VALU_DEP_1)
	s_or_b32 exec_lo, exec_lo, s23
	v_lshrrev_b32_e32 v98, 16, v10
	s_mov_b32 s10, 0
	s_mov_b32 s24, exec_lo
                                        ; implicit-def: $sgpr23
	v_and_b32_e32 v133, 0xff, v98
	s_delay_alu instid0(VALU_DEP_1)
	v_cmpx_lt_i16_e64 0x7f, v133
	s_xor_b32 s24, exec_lo, s24
	s_cbranch_execnz .LBB6_11655
; %bb.11034:                            ;   in Loop: Header=BB6_9656 Depth=2
	s_or_saveexec_b32 s24, s24
	v_mov_b32_e32 v132, s23
	s_xor_b32 exec_lo, exec_lo, s24
	s_cbranch_execnz .LBB6_11658
.LBB6_11035:                            ;   in Loop: Header=BB6_9656 Depth=2
	s_or_b32 exec_lo, exec_lo, s24
	s_and_saveexec_b32 s23, s10
	s_cbranch_execz .LBB6_11037
.LBB6_11036:                            ;   in Loop: Header=BB6_9656 Depth=2
	v_bfe_u32 v132, v10, 16, 3
	v_lshlrev_b32_e32 v135, 8, v10
	s_delay_alu instid0(VALU_DEP_2) | instskip(NEXT) | instid1(VALU_DEP_1)
	v_clz_i32_u32_e32 v133, v132
	v_min_u32_e32 v133, 32, v133
	s_delay_alu instid0(VALU_DEP_1) | instskip(SKIP_1) | instid1(VALU_DEP_2)
	v_subrev_nc_u32_e32 v134, 28, v133
	v_sub_nc_u32_e32 v133, 29, v133
	v_lshlrev_b32_e32 v98, v134, v98
	v_bfe_u32 v134, v10, 19, 4
	s_delay_alu instid0(VALU_DEP_1) | instskip(NEXT) | instid1(VALU_DEP_3)
	v_cmp_eq_u32_e32 vcc_lo, 0, v134
	v_dual_cndmask_b32 v133, v134, v133 :: v_dual_and_b32 v98, 7, v98
	s_delay_alu instid0(VALU_DEP_1) | instskip(SKIP_1) | instid1(VALU_DEP_3)
	v_cndmask_b32_e32 v98, v132, v98, vcc_lo
	v_and_b32_e32 v132, 0x80000000, v135
	v_lshl_add_u32 v133, v133, 23, 0x3b800000
	s_delay_alu instid0(VALU_DEP_3) | instskip(NEXT) | instid1(VALU_DEP_1)
	v_lshlrev_b32_e32 v98, 20, v98
	v_or3_b32 v132, v132, v133, v98
.LBB6_11037:                            ;   in Loop: Header=BB6_9656 Depth=2
	s_or_b32 exec_lo, exec_lo, s23
	s_delay_alu instid0(VALU_DEP_1) | instskip(SKIP_1) | instid1(VALU_DEP_1)
	v_dual_mul_f32 v98, s22, v132 :: v_dual_mov_b32 v159, 0x80
	s_mov_b32 s23, exec_lo
	v_and_b32_e32 v132, 0x7f800000, v98
	s_delay_alu instid0(VALU_DEP_1)
	v_cmpx_ne_u32_e32 0x7f800000, v132
	s_cbranch_execz .LBB6_11045
; %bb.11038:                            ;   in Loop: Header=BB6_9656 Depth=2
	v_mov_b32_e32 v159, 0
	s_mov_b32 s24, exec_lo
	v_cmpx_ne_u32_e32 0, v98
	s_cbranch_execz .LBB6_11044
; %bb.11039:                            ;   in Loop: Header=BB6_9656 Depth=2
	v_bfe_u32 v132, v98, 23, 8
	v_and_b32_e32 v133, 0x7fffff, v98
	s_delay_alu instid0(VALU_DEP_2) | instskip(SKIP_1) | instid1(VALU_DEP_3)
	v_sub_nc_u32_e32 v134, 0x78, v132
	v_cmp_gt_u32_e32 vcc_lo, 0x79, v132
	v_or_b32_e32 v135, 0x800000, v133
	s_delay_alu instid0(VALU_DEP_3) | instskip(SKIP_1) | instid1(VALU_DEP_3)
	v_cndmask_b32_e32 v134, 0, v134, vcc_lo
	v_cmp_eq_u32_e32 vcc_lo, 0, v132
	v_dual_cndmask_b32 v133, v135, v133 :: v_dual_add_nc_u32 v132, 0xffffff89, v132
	s_delay_alu instid0(VALU_DEP_3) | instskip(NEXT) | instid1(VALU_DEP_2)
	v_cndmask_b32_e64 v134, v134, 0x77, vcc_lo
	v_cndmask_b32_e64 v132, v132, 0xffffff8a, vcc_lo
	s_delay_alu instid0(VALU_DEP_2) | instskip(SKIP_2) | instid1(VALU_DEP_4)
	v_lshrrev_b32_e32 v144, v134, v133
	v_lshl_add_u32 v135, 0x100000, v134, -1
	v_lshlrev_b32_e64 v146, v134, 0x80000
	v_add_nc_u32_e32 v134, v134, v132
	s_delay_alu instid0(VALU_DEP_4) | instskip(NEXT) | instid1(VALU_DEP_4)
	v_bfe_u32 v145, v144, 20, 1
	v_and_b32_e32 v133, v135, v133
	s_delay_alu instid0(VALU_DEP_2) | instskip(NEXT) | instid1(VALU_DEP_2)
	v_add_nc_u32_e32 v135, -1, v145
	v_cmp_eq_u32_e64 s10, v133, v146
	s_delay_alu instid0(VALU_DEP_1) | instskip(SKIP_2) | instid1(VALU_DEP_2)
	v_cndmask_b32_e64 v133, 0, v135, s10
	v_lshrrev_b32_e32 v135, 23, v144
	s_mov_b32 s10, exec_lo
	v_add_nc_u32_e32 v133, v133, v144
	s_delay_alu instid0(VALU_DEP_2) | instskip(NEXT) | instid1(VALU_DEP_2)
	v_xor_b32_e32 v135, 1, v135
	v_and_b32_e32 v132, 0xfffff, v133
	s_delay_alu instid0(VALU_DEP_1) | instskip(NEXT) | instid1(VALU_DEP_3)
	v_add_nc_u32_e32 v133, v132, v144
                                        ; implicit-def: $vgpr132
	v_cmpx_ne_u32_e64 v134, v135
	s_xor_b32 s10, exec_lo, s10
; %bb.11040:                            ;   in Loop: Header=BB6_9656 Depth=2
	s_delay_alu instid0(VALU_DEP_2) | instskip(SKIP_2) | instid1(VALU_DEP_2)
	v_cmp_lt_u32_e32 vcc_lo, 0xffffff, v133
	v_sub_nc_u32_e32 v132, v134, v135
	v_cndmask_b32_e64 v134, 0, 1, vcc_lo
	v_add_co_ci_u32_e32 v132, vcc_lo, 0, v132, vcc_lo
	s_delay_alu instid0(VALU_DEP_2)
	v_lshrrev_b32_e32 v133, v134, v133
; %bb.11041:                            ;   in Loop: Header=BB6_9656 Depth=2
	s_and_not1_saveexec_b32 s10, s10
; %bb.11042:                            ;   in Loop: Header=BB6_9656 Depth=2
	s_delay_alu instid0(VALU_DEP_1)
	v_bfe_u32 v132, v133, 23, 1
; %bb.11043:                            ;   in Loop: Header=BB6_9656 Depth=2
	s_or_b32 exec_lo, exec_lo, s10
	v_lshrrev_b32_e32 v133, 20, v133
	s_delay_alu instid0(VALU_DEP_2) | instskip(SKIP_3) | instid1(VALU_DEP_3)
	v_cmp_gt_i32_e32 vcc_lo, 16, v132
	v_lshrrev_b32_e32 v98, 24, v98
	v_min_i32_e32 v134, 15, v132
	v_dual_mov_b32 v173, v40 :: v_dual_mov_b32 v184, v94
	v_dual_cndmask_b32 v133, 7, v133 :: v_dual_and_b32 v98, 0x80, v98
	s_delay_alu instid0(VALU_DEP_3) | instskip(NEXT) | instid1(VALU_DEP_2)
	v_dual_mov_b32 v171, v84 :: v_dual_lshlrev_b32 v134, 3, v134
	v_dual_mov_b32 v172, v41 :: v_dual_and_b32 v135, 7, v133
	v_or_b32_e32 v132, v132, v133
	v_dual_mov_b32 v175, v93 :: v_dual_mov_b32 v186, v106
	v_dual_mov_b32 v185, v95 :: v_dual_mov_b32 v108, v158
	s_delay_alu instid0(VALU_DEP_4) | instskip(NEXT) | instid1(VALU_DEP_4)
	v_or3_b32 v98, v134, v98, v135
	v_cmp_ne_u32_e32 vcc_lo, 0, v132
	v_dual_mov_b32 v187, v104 :: v_dual_mov_b32 v188, v107
	v_dual_mov_b32 v174, v92 :: v_dual_mov_b32 v189, v105
	s_delay_alu instid0(VALU_DEP_4)
	v_dual_mov_b32 v190, v110 :: v_dual_cndmask_b32 v159, 0, v98
	v_dual_mov_b32 v109, v83 :: v_dual_mov_b32 v122, v82
	v_dual_mov_b32 v111, v86 :: v_dual_mov_b32 v120, v87
	;; [unrolled: 1-line block ×9, first 2 shown]
	v_mov_b32_e32 v143, v118
	v_dual_mov_b32 v153, v128 :: v_dual_mov_b32 v154, v66
	v_dual_mov_b32 v155, v129 :: v_dual_mov_b32 v156, v130
	v_mov_b32_e32 v157, v131
.LBB6_11044:                            ;   in Loop: Header=BB6_9656 Depth=2
	s_or_b32 exec_lo, exec_lo, s24
.LBB6_11045:                            ;   in Loop: Header=BB6_9656 Depth=2
	s_delay_alu instid0(SALU_CYCLE_1) | instskip(SKIP_3) | instid1(VALU_DEP_1)
	s_or_b32 exec_lo, exec_lo, s23
	v_lshrrev_b32_e32 v98, 24, v10
	s_mov_b32 s10, 0
	s_mov_b32 s24, exec_lo
                                        ; implicit-def: $sgpr23
	v_cmpx_lt_i16_e32 0x7f, v98
	s_xor_b32 s24, exec_lo, s24
	s_cbranch_execnz .LBB6_11659
; %bb.11046:                            ;   in Loop: Header=BB6_9656 Depth=2
	s_or_saveexec_b32 s24, s24
	v_mov_b32_e32 v132, s23
	s_xor_b32 exec_lo, exec_lo, s24
	s_cbranch_execnz .LBB6_11662
.LBB6_11047:                            ;   in Loop: Header=BB6_9656 Depth=2
	s_or_b32 exec_lo, exec_lo, s24
	s_and_saveexec_b32 s23, s10
	s_cbranch_execz .LBB6_11049
.LBB6_11048:                            ;   in Loop: Header=BB6_9656 Depth=2
	v_bfe_u32 v132, v10, 24, 3
	s_delay_alu instid0(VALU_DEP_1) | instskip(NEXT) | instid1(VALU_DEP_1)
	v_clz_i32_u32_e32 v133, v132
	v_min_u32_e32 v133, 32, v133
	s_delay_alu instid0(VALU_DEP_1) | instskip(SKIP_1) | instid1(VALU_DEP_2)
	v_subrev_nc_u32_e32 v134, 28, v133
	v_sub_nc_u32_e32 v133, 29, v133
	v_lshlrev_b32_e32 v98, v134, v98
	v_bfe_u32 v134, v10, 27, 4
	v_and_b32_e32 v10, 0x80000000, v10
	s_delay_alu instid0(VALU_DEP_2) | instskip(NEXT) | instid1(VALU_DEP_4)
	v_cmp_eq_u32_e32 vcc_lo, 0, v134
	v_dual_cndmask_b32 v133, v134, v133 :: v_dual_and_b32 v98, 7, v98
	s_delay_alu instid0(VALU_DEP_1) | instskip(NEXT) | instid1(VALU_DEP_2)
	v_cndmask_b32_e32 v98, v132, v98, vcc_lo
	v_lshl_add_u32 v132, v133, 23, 0x3b800000
	s_delay_alu instid0(VALU_DEP_2) | instskip(NEXT) | instid1(VALU_DEP_1)
	v_lshlrev_b32_e32 v98, 20, v98
	v_or3_b32 v132, v10, v132, v98
.LBB6_11049:                            ;   in Loop: Header=BB6_9656 Depth=2
	s_or_b32 exec_lo, exec_lo, s23
	s_delay_alu instid0(VALU_DEP_1) | instskip(NEXT) | instid1(VALU_DEP_1)
	v_mul_f32_e32 v98, s22, v132
	v_and_b32_e32 v10, 0x7f800000, v98
	s_delay_alu instid0(VALU_DEP_1)
	v_cmp_ne_u32_e32 vcc_lo, 0x7f800000, v10
	v_mov_b32_e32 v10, 0x80
	s_and_saveexec_b32 s23, vcc_lo
	s_cbranch_execz .LBB6_11057
; %bb.11050:                            ;   in Loop: Header=BB6_9656 Depth=2
	v_mov_b32_e32 v10, 0
	s_mov_b32 s24, exec_lo
	v_cmpx_ne_u32_e32 0, v98
	s_cbranch_execz .LBB6_11056
; %bb.11051:                            ;   in Loop: Header=BB6_9656 Depth=2
	v_bfe_u32 v10, v98, 23, 8
	s_delay_alu instid0(VALU_DEP_1) | instskip(SKIP_1) | instid1(VALU_DEP_2)
	v_sub_nc_u32_e32 v133, 0x78, v10
	v_cmp_gt_u32_e32 vcc_lo, 0x79, v10
	v_dual_cndmask_b32 v133, 0, v133 :: v_dual_and_b32 v132, 0x7fffff, v98
	s_delay_alu instid0(VALU_DEP_1) | instskip(SKIP_2) | instid1(VALU_DEP_4)
	v_or_b32_e32 v134, 0x800000, v132
	v_cmp_eq_u32_e32 vcc_lo, 0, v10
	v_add_nc_u32_e32 v10, 0xffffff89, v10
	v_cndmask_b32_e64 v133, v133, 0x77, vcc_lo
	s_delay_alu instid0(VALU_DEP_2) | instskip(SKIP_1) | instid1(VALU_DEP_3)
	v_cndmask_b32_e64 v10, v10, 0xffffff8a, vcc_lo
	v_cndmask_b32_e32 v132, v134, v132, vcc_lo
	v_lshl_add_u32 v134, 0x100000, v133, -1
	v_lshlrev_b32_e64 v145, v133, 0x80000
	s_delay_alu instid0(VALU_DEP_3) | instskip(SKIP_1) | instid1(VALU_DEP_4)
	v_lshrrev_b32_e32 v135, v133, v132
	v_add_nc_u32_e32 v133, v133, v10
	v_and_b32_e32 v132, v134, v132
	s_delay_alu instid0(VALU_DEP_3) | instskip(NEXT) | instid1(VALU_DEP_2)
	v_bfe_u32 v144, v135, 20, 1
	v_cmp_eq_u32_e64 s10, v132, v145
	s_delay_alu instid0(VALU_DEP_2) | instskip(NEXT) | instid1(VALU_DEP_1)
	v_add_nc_u32_e32 v134, -1, v144
	v_cndmask_b32_e64 v132, 0, v134, s10
	v_lshrrev_b32_e32 v134, 23, v135
	s_mov_b32 s10, exec_lo
	s_delay_alu instid0(VALU_DEP_2) | instskip(NEXT) | instid1(VALU_DEP_2)
	v_add_nc_u32_e32 v132, v132, v135
	v_xor_b32_e32 v134, 1, v134
	s_delay_alu instid0(VALU_DEP_2) | instskip(NEXT) | instid1(VALU_DEP_1)
	v_and_b32_e32 v10, 0xfffff, v132
	v_add_nc_u32_e32 v132, v10, v135
                                        ; implicit-def: $vgpr10
	s_delay_alu instid0(VALU_DEP_3)
	v_cmpx_ne_u32_e64 v133, v134
	s_xor_b32 s10, exec_lo, s10
; %bb.11052:                            ;   in Loop: Header=BB6_9656 Depth=2
	s_delay_alu instid0(VALU_DEP_2) | instskip(SKIP_2) | instid1(VALU_DEP_2)
	v_cmp_lt_u32_e32 vcc_lo, 0xffffff, v132
	v_sub_nc_u32_e32 v10, v133, v134
	v_cndmask_b32_e64 v133, 0, 1, vcc_lo
	v_add_co_ci_u32_e32 v10, vcc_lo, 0, v10, vcc_lo
	s_delay_alu instid0(VALU_DEP_2)
	v_lshrrev_b32_e32 v132, v133, v132
; %bb.11053:                            ;   in Loop: Header=BB6_9656 Depth=2
	s_and_not1_saveexec_b32 s10, s10
; %bb.11054:                            ;   in Loop: Header=BB6_9656 Depth=2
	s_delay_alu instid0(VALU_DEP_1)
	v_bfe_u32 v10, v132, 23, 1
; %bb.11055:                            ;   in Loop: Header=BB6_9656 Depth=2
	s_or_b32 exec_lo, exec_lo, s10
	v_lshrrev_b32_e32 v132, 20, v132
	s_delay_alu instid0(VALU_DEP_2) | instskip(SKIP_4) | instid1(VALU_DEP_4)
	v_cmp_gt_i32_e32 vcc_lo, 16, v10
	v_lshrrev_b32_e32 v98, 24, v98
	v_min_i32_e32 v133, 15, v10
	v_dual_mov_b32 v172, v41 :: v_dual_mov_b32 v185, v95
	v_cndmask_b32_e32 v132, 7, v132, vcc_lo
	v_dual_mov_b32 v171, v84 :: v_dual_and_b32 v98, 0x80, v98
	s_delay_alu instid0(VALU_DEP_4) | instskip(NEXT) | instid1(VALU_DEP_3)
	v_lshlrev_b32_e32 v133, 3, v133
	v_dual_mov_b32 v173, v40 :: v_dual_and_b32 v134, 7, v132
	v_or_b32_e32 v10, v10, v132
	v_dual_mov_b32 v174, v92 :: v_dual_mov_b32 v189, v105
	v_dual_mov_b32 v184, v94 :: v_dual_mov_b32 v187, v104
	s_delay_alu instid0(VALU_DEP_4) | instskip(NEXT) | instid1(VALU_DEP_4)
	v_or3_b32 v98, v133, v98, v134
	v_cmp_ne_u32_e32 vcc_lo, 0, v10
	v_dual_mov_b32 v186, v106 :: v_dual_mov_b32 v109, v83
	v_dual_mov_b32 v175, v93 :: v_dual_mov_b32 v188, v107
	s_delay_alu instid0(VALU_DEP_4)
	v_dual_mov_b32 v111, v86 :: v_dual_cndmask_b32 v10, 0, v98
	v_dual_mov_b32 v108, v158 :: v_dual_mov_b32 v121, v96
	v_dual_mov_b32 v190, v110 :: v_dual_mov_b32 v123, v97
	;; [unrolled: 1-line block ×10, first 2 shown]
	v_mov_b32_e32 v152, v119
	v_dual_mov_b32 v154, v66 :: v_dual_mov_b32 v157, v131
	v_mov_b32_e32 v156, v130
.LBB6_11056:                            ;   in Loop: Header=BB6_9656 Depth=2
	s_or_b32 exec_lo, exec_lo, s24
.LBB6_11057:                            ;   in Loop: Header=BB6_9656 Depth=2
	s_delay_alu instid0(SALU_CYCLE_1) | instskip(SKIP_3) | instid1(VALU_DEP_1)
	s_or_b32 exec_lo, exec_lo, s23
	v_and_b32_e32 v132, 0xff, v11
	s_mov_b32 s10, 0
	s_mov_b32 s24, exec_lo
                                        ; implicit-def: $sgpr23
	v_cmpx_lt_i16_e64 0x7f, v132
	s_xor_b32 s24, exec_lo, s24
	s_cbranch_execnz .LBB6_11663
; %bb.11058:                            ;   in Loop: Header=BB6_9656 Depth=2
	s_or_saveexec_b32 s24, s24
	v_mov_b32_e32 v98, s23
	s_xor_b32 exec_lo, exec_lo, s24
	s_cbranch_execnz .LBB6_11666
.LBB6_11059:                            ;   in Loop: Header=BB6_9656 Depth=2
	s_or_b32 exec_lo, exec_lo, s24
	s_and_saveexec_b32 s23, s10
	s_cbranch_execz .LBB6_11061
.LBB6_11060:                            ;   in Loop: Header=BB6_9656 Depth=2
	v_and_b32_e32 v98, 7, v11
	v_bfe_u32 v134, v11, 3, 4
	s_delay_alu instid0(VALU_DEP_2) | instskip(NEXT) | instid1(VALU_DEP_2)
	v_clz_i32_u32_e32 v132, v98
	v_cmp_eq_u32_e32 vcc_lo, 0, v134
	s_delay_alu instid0(VALU_DEP_2) | instskip(NEXT) | instid1(VALU_DEP_1)
	v_min_u32_e32 v132, 32, v132
	v_subrev_nc_u32_e32 v133, 28, v132
	v_sub_nc_u32_e32 v132, 29, v132
	s_delay_alu instid0(VALU_DEP_1) | instskip(NEXT) | instid1(VALU_DEP_1)
	v_dual_cndmask_b32 v132, v134, v132 :: v_dual_lshlrev_b32 v133, v133, v11
	v_and_b32_e32 v133, 7, v133
	v_lshlrev_b32_e32 v135, 24, v11
	s_delay_alu instid0(VALU_DEP_3) | instskip(NEXT) | instid1(VALU_DEP_2)
	v_lshl_add_u32 v132, v132, 23, 0x3b800000
	v_dual_cndmask_b32 v98, v98, v133 :: v_dual_and_b32 v133, 0x80000000, v135
	s_delay_alu instid0(VALU_DEP_1) | instskip(NEXT) | instid1(VALU_DEP_1)
	v_lshlrev_b32_e32 v98, 20, v98
	v_or3_b32 v98, v133, v132, v98
.LBB6_11061:                            ;   in Loop: Header=BB6_9656 Depth=2
	s_or_b32 exec_lo, exec_lo, s23
	s_delay_alu instid0(VALU_DEP_1) | instskip(SKIP_2) | instid1(VALU_DEP_2)
	v_mul_f32_e32 v98, s22, v98
	v_mov_b32_e32 v168, 0x80
	s_mov_b32 s23, exec_lo
	v_and_b32_e32 v132, 0x7f800000, v98
	s_delay_alu instid0(VALU_DEP_1)
	v_cmpx_ne_u32_e32 0x7f800000, v132
	s_cbranch_execz .LBB6_11069
; %bb.11062:                            ;   in Loop: Header=BB6_9656 Depth=2
	v_mov_b32_e32 v168, 0
	s_mov_b32 s24, exec_lo
	v_cmpx_ne_u32_e32 0, v98
	s_cbranch_execz .LBB6_11068
; %bb.11063:                            ;   in Loop: Header=BB6_9656 Depth=2
	v_bfe_u32 v132, v98, 23, 8
	v_and_b32_e32 v133, 0x7fffff, v98
	s_delay_alu instid0(VALU_DEP_2) | instskip(SKIP_1) | instid1(VALU_DEP_3)
	v_sub_nc_u32_e32 v134, 0x78, v132
	v_cmp_gt_u32_e32 vcc_lo, 0x79, v132
	v_or_b32_e32 v135, 0x800000, v133
	s_delay_alu instid0(VALU_DEP_3) | instskip(SKIP_1) | instid1(VALU_DEP_3)
	v_cndmask_b32_e32 v134, 0, v134, vcc_lo
	v_cmp_eq_u32_e32 vcc_lo, 0, v132
	v_dual_cndmask_b32 v133, v135, v133 :: v_dual_add_nc_u32 v132, 0xffffff89, v132
	s_delay_alu instid0(VALU_DEP_3) | instskip(NEXT) | instid1(VALU_DEP_2)
	v_cndmask_b32_e64 v134, v134, 0x77, vcc_lo
	v_cndmask_b32_e64 v132, v132, 0xffffff8a, vcc_lo
	s_delay_alu instid0(VALU_DEP_2) | instskip(SKIP_2) | instid1(VALU_DEP_4)
	v_lshrrev_b32_e32 v144, v134, v133
	v_lshl_add_u32 v135, 0x100000, v134, -1
	v_lshlrev_b32_e64 v146, v134, 0x80000
	v_add_nc_u32_e32 v134, v134, v132
	s_delay_alu instid0(VALU_DEP_4) | instskip(NEXT) | instid1(VALU_DEP_4)
	v_bfe_u32 v145, v144, 20, 1
	v_and_b32_e32 v133, v135, v133
	s_delay_alu instid0(VALU_DEP_2) | instskip(NEXT) | instid1(VALU_DEP_2)
	v_add_nc_u32_e32 v135, -1, v145
	v_cmp_eq_u32_e64 s10, v133, v146
	s_delay_alu instid0(VALU_DEP_1) | instskip(SKIP_2) | instid1(VALU_DEP_2)
	v_cndmask_b32_e64 v133, 0, v135, s10
	v_lshrrev_b32_e32 v135, 23, v144
	s_mov_b32 s10, exec_lo
	v_add_nc_u32_e32 v133, v133, v144
	s_delay_alu instid0(VALU_DEP_2) | instskip(NEXT) | instid1(VALU_DEP_2)
	v_xor_b32_e32 v135, 1, v135
	v_and_b32_e32 v132, 0xfffff, v133
	s_delay_alu instid0(VALU_DEP_1) | instskip(NEXT) | instid1(VALU_DEP_3)
	v_add_nc_u32_e32 v133, v132, v144
                                        ; implicit-def: $vgpr132
	v_cmpx_ne_u32_e64 v134, v135
	s_xor_b32 s10, exec_lo, s10
; %bb.11064:                            ;   in Loop: Header=BB6_9656 Depth=2
	s_delay_alu instid0(VALU_DEP_2) | instskip(SKIP_2) | instid1(VALU_DEP_2)
	v_cmp_lt_u32_e32 vcc_lo, 0xffffff, v133
	v_sub_nc_u32_e32 v132, v134, v135
	v_cndmask_b32_e64 v134, 0, 1, vcc_lo
	v_add_co_ci_u32_e32 v132, vcc_lo, 0, v132, vcc_lo
	s_delay_alu instid0(VALU_DEP_2)
	v_lshrrev_b32_e32 v133, v134, v133
; %bb.11065:                            ;   in Loop: Header=BB6_9656 Depth=2
	s_and_not1_saveexec_b32 s10, s10
; %bb.11066:                            ;   in Loop: Header=BB6_9656 Depth=2
	s_delay_alu instid0(VALU_DEP_1)
	v_bfe_u32 v132, v133, 23, 1
; %bb.11067:                            ;   in Loop: Header=BB6_9656 Depth=2
	s_or_b32 exec_lo, exec_lo, s10
	v_lshrrev_b32_e32 v133, 20, v133
	s_delay_alu instid0(VALU_DEP_2) | instskip(SKIP_3) | instid1(VALU_DEP_3)
	v_cmp_gt_i32_e32 vcc_lo, 16, v132
	v_min_i32_e32 v134, 15, v132
	v_lshrrev_b32_e32 v98, 24, v98
	v_dual_mov_b32 v172, v41 :: v_dual_mov_b32 v185, v95
	v_dual_cndmask_b32 v133, 7, v133 :: v_dual_lshlrev_b32 v134, 3, v134
	s_delay_alu instid0(VALU_DEP_3) | instskip(SKIP_1) | instid1(VALU_DEP_3)
	v_dual_mov_b32 v171, v84 :: v_dual_and_b32 v98, 0x80, v98
	v_mov_b32_e32 v173, v40
	v_or_b32_e32 v132, v132, v133
	s_delay_alu instid0(VALU_DEP_4) | instskip(SKIP_2) | instid1(VALU_DEP_4)
	v_and_b32_e32 v134, 0xf8, v134
	v_dual_mov_b32 v174, v92 :: v_dual_mov_b32 v175, v93
	v_dual_mov_b32 v184, v94 :: v_dual_mov_b32 v187, v104
	v_cmp_ne_u32_e32 vcc_lo, 0, v132
	v_and_b32_e32 v135, 7, v133
	v_dual_mov_b32 v189, v105 :: v_dual_mov_b32 v186, v106
	v_dual_mov_b32 v188, v107 :: v_dual_mov_b32 v111, v86
	s_delay_alu instid0(VALU_DEP_3) | instskip(SKIP_2) | instid1(VALU_DEP_3)
	v_or3_b32 v98, v134, v98, v135
	v_dual_mov_b32 v108, v158 :: v_dual_mov_b32 v109, v83
	v_dual_mov_b32 v190, v110 :: v_dual_mov_b32 v121, v96
	v_cndmask_b32_e32 v168, 0, v98, vcc_lo
	v_dual_mov_b32 v120, v87 :: v_dual_mov_b32 v123, v97
	v_dual_mov_b32 v122, v82 :: v_dual_mov_b32 v125, v100
	;; [unrolled: 1-line block ×10, first 2 shown]
	v_mov_b32_e32 v156, v130
.LBB6_11068:                            ;   in Loop: Header=BB6_9656 Depth=2
	s_or_b32 exec_lo, exec_lo, s24
.LBB6_11069:                            ;   in Loop: Header=BB6_9656 Depth=2
	s_delay_alu instid0(SALU_CYCLE_1) | instskip(SKIP_3) | instid1(VALU_DEP_1)
	s_or_b32 exec_lo, exec_lo, s23
	v_lshrrev_b16 v98, 8, v11
	s_mov_b32 s10, 0
	s_mov_b32 s24, exec_lo
                                        ; implicit-def: $sgpr23
	v_cmpx_lt_i16_e32 0x7f, v98
	s_xor_b32 s24, exec_lo, s24
	s_cbranch_execnz .LBB6_11667
; %bb.11070:                            ;   in Loop: Header=BB6_9656 Depth=2
	s_or_saveexec_b32 s24, s24
	v_mov_b32_e32 v132, s23
	s_xor_b32 exec_lo, exec_lo, s24
	s_cbranch_execnz .LBB6_11670
.LBB6_11071:                            ;   in Loop: Header=BB6_9656 Depth=2
	s_or_b32 exec_lo, exec_lo, s24
	s_and_saveexec_b32 s23, s10
	s_cbranch_execz .LBB6_11073
.LBB6_11072:                            ;   in Loop: Header=BB6_9656 Depth=2
	v_and_b32_e32 v132, 0xffff, v98
	v_lshlrev_b32_e32 v98, 24, v98
	s_delay_alu instid0(VALU_DEP_2) | instskip(NEXT) | instid1(VALU_DEP_2)
	v_and_b32_e32 v133, 7, v132
	v_and_b32_e32 v98, 0x80000000, v98
	s_delay_alu instid0(VALU_DEP_2) | instskip(NEXT) | instid1(VALU_DEP_1)
	v_clz_i32_u32_e32 v134, v133
	v_min_u32_e32 v134, 32, v134
	s_delay_alu instid0(VALU_DEP_1) | instskip(SKIP_1) | instid1(VALU_DEP_2)
	v_subrev_nc_u32_e32 v135, 28, v134
	v_sub_nc_u32_e32 v134, 29, v134
	v_lshlrev_b32_e32 v135, v135, v132
	v_bfe_u32 v132, v132, 3, 4
	s_delay_alu instid0(VALU_DEP_2) | instskip(NEXT) | instid1(VALU_DEP_2)
	v_and_b32_e32 v135, 7, v135
	v_cmp_eq_u32_e32 vcc_lo, 0, v132
	s_delay_alu instid0(VALU_DEP_2) | instskip(NEXT) | instid1(VALU_DEP_1)
	v_dual_cndmask_b32 v132, v132, v134 :: v_dual_cndmask_b32 v133, v133, v135
	v_lshl_add_u32 v132, v132, 23, 0x3b800000
	s_delay_alu instid0(VALU_DEP_2) | instskip(NEXT) | instid1(VALU_DEP_1)
	v_lshlrev_b32_e32 v133, 20, v133
	v_or3_b32 v132, v98, v132, v133
.LBB6_11073:                            ;   in Loop: Header=BB6_9656 Depth=2
	s_or_b32 exec_lo, exec_lo, s23
	s_delay_alu instid0(VALU_DEP_1) | instskip(SKIP_1) | instid1(VALU_DEP_1)
	v_dual_mul_f32 v98, s22, v132 :: v_dual_mov_b32 v169, 0x8000
	s_mov_b32 s23, exec_lo
	v_and_b32_e32 v132, 0x7f800000, v98
	s_delay_alu instid0(VALU_DEP_1)
	v_cmpx_ne_u32_e32 0x7f800000, v132
	s_cbranch_execz .LBB6_11081
; %bb.11074:                            ;   in Loop: Header=BB6_9656 Depth=2
	v_mov_b32_e32 v169, 0
	s_mov_b32 s24, exec_lo
	v_cmpx_ne_u32_e32 0, v98
	s_cbranch_execz .LBB6_11080
; %bb.11075:                            ;   in Loop: Header=BB6_9656 Depth=2
	v_bfe_u32 v132, v98, 23, 8
	v_and_b32_e32 v133, 0x7fffff, v98
	s_delay_alu instid0(VALU_DEP_2) | instskip(SKIP_1) | instid1(VALU_DEP_3)
	v_sub_nc_u32_e32 v134, 0x78, v132
	v_cmp_gt_u32_e32 vcc_lo, 0x79, v132
	v_or_b32_e32 v135, 0x800000, v133
	s_delay_alu instid0(VALU_DEP_3) | instskip(SKIP_1) | instid1(VALU_DEP_3)
	v_cndmask_b32_e32 v134, 0, v134, vcc_lo
	v_cmp_eq_u32_e32 vcc_lo, 0, v132
	v_dual_cndmask_b32 v133, v135, v133 :: v_dual_add_nc_u32 v132, 0xffffff89, v132
	s_delay_alu instid0(VALU_DEP_3) | instskip(NEXT) | instid1(VALU_DEP_2)
	v_cndmask_b32_e64 v134, v134, 0x77, vcc_lo
	v_cndmask_b32_e64 v132, v132, 0xffffff8a, vcc_lo
	s_delay_alu instid0(VALU_DEP_2) | instskip(SKIP_2) | instid1(VALU_DEP_4)
	v_lshrrev_b32_e32 v144, v134, v133
	v_lshl_add_u32 v135, 0x100000, v134, -1
	v_lshlrev_b32_e64 v146, v134, 0x80000
	v_add_nc_u32_e32 v134, v134, v132
	s_delay_alu instid0(VALU_DEP_4) | instskip(NEXT) | instid1(VALU_DEP_4)
	v_bfe_u32 v145, v144, 20, 1
	v_and_b32_e32 v133, v135, v133
	s_delay_alu instid0(VALU_DEP_2) | instskip(NEXT) | instid1(VALU_DEP_2)
	v_add_nc_u32_e32 v135, -1, v145
	v_cmp_eq_u32_e64 s10, v133, v146
	s_delay_alu instid0(VALU_DEP_1) | instskip(SKIP_2) | instid1(VALU_DEP_2)
	v_cndmask_b32_e64 v133, 0, v135, s10
	v_lshrrev_b32_e32 v135, 23, v144
	s_mov_b32 s10, exec_lo
	v_add_nc_u32_e32 v133, v133, v144
	s_delay_alu instid0(VALU_DEP_2) | instskip(NEXT) | instid1(VALU_DEP_2)
	v_xor_b32_e32 v135, 1, v135
	v_and_b32_e32 v132, 0xfffff, v133
	s_delay_alu instid0(VALU_DEP_1) | instskip(NEXT) | instid1(VALU_DEP_3)
	v_add_nc_u32_e32 v133, v132, v144
                                        ; implicit-def: $vgpr132
	v_cmpx_ne_u32_e64 v134, v135
	s_xor_b32 s10, exec_lo, s10
; %bb.11076:                            ;   in Loop: Header=BB6_9656 Depth=2
	s_delay_alu instid0(VALU_DEP_2) | instskip(SKIP_2) | instid1(VALU_DEP_2)
	v_cmp_lt_u32_e32 vcc_lo, 0xffffff, v133
	v_sub_nc_u32_e32 v132, v134, v135
	v_cndmask_b32_e64 v134, 0, 1, vcc_lo
	v_add_co_ci_u32_e32 v132, vcc_lo, 0, v132, vcc_lo
	s_delay_alu instid0(VALU_DEP_2)
	v_lshrrev_b32_e32 v133, v134, v133
; %bb.11077:                            ;   in Loop: Header=BB6_9656 Depth=2
	s_and_not1_saveexec_b32 s10, s10
; %bb.11078:                            ;   in Loop: Header=BB6_9656 Depth=2
	s_delay_alu instid0(VALU_DEP_1)
	v_bfe_u32 v132, v133, 23, 1
; %bb.11079:                            ;   in Loop: Header=BB6_9656 Depth=2
	s_or_b32 exec_lo, exec_lo, s10
	v_lshrrev_b32_e32 v133, 20, v133
	s_delay_alu instid0(VALU_DEP_2) | instskip(SKIP_3) | instid1(VALU_DEP_4)
	v_min_i32_e32 v134, 15, v132
	v_cmp_gt_i32_e32 vcc_lo, 16, v132
	v_lshrrev_b32_e32 v98, 24, v98
	v_dual_mov_b32 v184, v94 :: v_dual_mov_b32 v185, v95
	v_dual_cndmask_b32 v133, 7, v133 :: v_dual_lshlrev_b32 v134, 3, v134
	s_delay_alu instid0(VALU_DEP_3) | instskip(SKIP_1) | instid1(VALU_DEP_3)
	v_dual_mov_b32 v171, v84 :: v_dual_and_b32 v98, 0x80, v98
	v_mov_b32_e32 v172, v41
	v_dual_mov_b32 v173, v40 :: v_dual_and_b32 v134, 0xf8, v134
	s_delay_alu instid0(VALU_DEP_4) | instskip(SKIP_3) | instid1(VALU_DEP_4)
	v_and_b32_e32 v135, 7, v133
	v_or_b32_e32 v132, v132, v133
	v_dual_mov_b32 v187, v104 :: v_dual_mov_b32 v186, v106
	v_dual_mov_b32 v189, v105 :: v_dual_mov_b32 v188, v107
	v_or3_b32 v98, v98, v134, v135
	s_delay_alu instid0(VALU_DEP_4) | instskip(SKIP_1) | instid1(VALU_DEP_3)
	v_cmp_ne_u32_e32 vcc_lo, 0, v132
	v_dual_mov_b32 v175, v93 :: v_dual_mov_b32 v108, v158
	v_dual_mov_b32 v109, v83 :: v_dual_lshlrev_b32 v98, 8, v98
	v_mov_b32_e32 v174, v92
	v_dual_mov_b32 v190, v110 :: v_dual_mov_b32 v121, v96
	v_dual_mov_b32 v111, v86 :: v_dual_mov_b32 v120, v87
	s_delay_alu instid0(VALU_DEP_4)
	v_dual_cndmask_b32 v169, 0, v98 :: v_dual_mov_b32 v122, v82
	v_dual_mov_b32 v123, v97 :: v_dual_mov_b32 v124, v99
	v_dual_mov_b32 v125, v100 :: v_dual_mov_b32 v126, v101
	v_dual_mov_b32 v127, v102 :: v_dual_mov_b32 v136, v112
	v_dual_mov_b32 v137, v114 :: v_dual_mov_b32 v138, v103
	v_dual_mov_b32 v139, v113 :: v_dual_mov_b32 v140, v116
	v_dual_mov_b32 v141, v117 :: v_dual_mov_b32 v142, v115
	v_dual_mov_b32 v143, v118 :: v_dual_mov_b32 v152, v119
	v_dual_mov_b32 v153, v128 :: v_dual_mov_b32 v154, v66
	v_dual_mov_b32 v155, v129 :: v_dual_mov_b32 v156, v130
	v_mov_b32_e32 v157, v131
.LBB6_11080:                            ;   in Loop: Header=BB6_9656 Depth=2
	s_or_b32 exec_lo, exec_lo, s24
.LBB6_11081:                            ;   in Loop: Header=BB6_9656 Depth=2
	s_delay_alu instid0(SALU_CYCLE_1) | instskip(SKIP_3) | instid1(VALU_DEP_1)
	s_or_b32 exec_lo, exec_lo, s23
	v_lshrrev_b32_e32 v98, 16, v11
	s_mov_b32 s10, 0
	s_mov_b32 s24, exec_lo
                                        ; implicit-def: $sgpr23
	v_and_b32_e32 v133, 0xff, v98
	s_delay_alu instid0(VALU_DEP_1)
	v_cmpx_lt_i16_e64 0x7f, v133
	s_xor_b32 s24, exec_lo, s24
	s_cbranch_execnz .LBB6_11671
; %bb.11082:                            ;   in Loop: Header=BB6_9656 Depth=2
	s_or_saveexec_b32 s24, s24
	v_mov_b32_e32 v132, s23
	s_xor_b32 exec_lo, exec_lo, s24
	s_cbranch_execnz .LBB6_11674
.LBB6_11083:                            ;   in Loop: Header=BB6_9656 Depth=2
	s_or_b32 exec_lo, exec_lo, s24
	s_and_saveexec_b32 s23, s10
	s_cbranch_execz .LBB6_11085
.LBB6_11084:                            ;   in Loop: Header=BB6_9656 Depth=2
	v_bfe_u32 v132, v11, 16, 3
	s_delay_alu instid0(VALU_DEP_1) | instskip(NEXT) | instid1(VALU_DEP_1)
	v_clz_i32_u32_e32 v133, v132
	v_min_u32_e32 v133, 32, v133
	s_delay_alu instid0(VALU_DEP_1) | instskip(SKIP_1) | instid1(VALU_DEP_2)
	v_subrev_nc_u32_e32 v134, 28, v133
	v_sub_nc_u32_e32 v133, 29, v133
	v_lshlrev_b32_e32 v98, v134, v98
	v_bfe_u32 v134, v11, 19, 4
	s_delay_alu instid0(VALU_DEP_1) | instskip(NEXT) | instid1(VALU_DEP_3)
	v_cmp_eq_u32_e32 vcc_lo, 0, v134
	v_dual_cndmask_b32 v133, v134, v133 :: v_dual_and_b32 v98, 7, v98
	s_delay_alu instid0(VALU_DEP_1) | instskip(NEXT) | instid1(VALU_DEP_2)
	v_dual_cndmask_b32 v98, v132, v98 :: v_dual_lshlrev_b32 v135, 8, v11
	v_lshl_add_u32 v133, v133, 23, 0x3b800000
	s_delay_alu instid0(VALU_DEP_2) | instskip(NEXT) | instid1(VALU_DEP_3)
	v_and_b32_e32 v132, 0x80000000, v135
	v_lshlrev_b32_e32 v98, 20, v98
	s_delay_alu instid0(VALU_DEP_1)
	v_or3_b32 v132, v132, v133, v98
.LBB6_11085:                            ;   in Loop: Header=BB6_9656 Depth=2
	s_or_b32 exec_lo, exec_lo, s23
	s_delay_alu instid0(VALU_DEP_1) | instskip(SKIP_2) | instid1(VALU_DEP_2)
	v_mul_f32_e32 v98, s22, v132
	v_mov_b32_e32 v170, 0x80
	s_mov_b32 s23, exec_lo
	v_and_b32_e32 v132, 0x7f800000, v98
	s_delay_alu instid0(VALU_DEP_1)
	v_cmpx_ne_u32_e32 0x7f800000, v132
	s_cbranch_execz .LBB6_11093
; %bb.11086:                            ;   in Loop: Header=BB6_9656 Depth=2
	v_mov_b32_e32 v170, 0
	s_mov_b32 s24, exec_lo
	v_cmpx_ne_u32_e32 0, v98
	s_cbranch_execz .LBB6_11092
; %bb.11087:                            ;   in Loop: Header=BB6_9656 Depth=2
	v_bfe_u32 v132, v98, 23, 8
	v_and_b32_e32 v133, 0x7fffff, v98
	s_delay_alu instid0(VALU_DEP_2) | instskip(SKIP_1) | instid1(VALU_DEP_3)
	v_sub_nc_u32_e32 v134, 0x78, v132
	v_cmp_gt_u32_e32 vcc_lo, 0x79, v132
	v_or_b32_e32 v135, 0x800000, v133
	s_delay_alu instid0(VALU_DEP_3) | instskip(SKIP_1) | instid1(VALU_DEP_3)
	v_cndmask_b32_e32 v134, 0, v134, vcc_lo
	v_cmp_eq_u32_e32 vcc_lo, 0, v132
	v_dual_cndmask_b32 v133, v135, v133 :: v_dual_add_nc_u32 v132, 0xffffff89, v132
	s_delay_alu instid0(VALU_DEP_3) | instskip(NEXT) | instid1(VALU_DEP_2)
	v_cndmask_b32_e64 v134, v134, 0x77, vcc_lo
	v_cndmask_b32_e64 v132, v132, 0xffffff8a, vcc_lo
	s_delay_alu instid0(VALU_DEP_2) | instskip(SKIP_2) | instid1(VALU_DEP_4)
	v_lshrrev_b32_e32 v144, v134, v133
	v_lshl_add_u32 v135, 0x100000, v134, -1
	v_lshlrev_b32_e64 v146, v134, 0x80000
	v_add_nc_u32_e32 v134, v134, v132
	s_delay_alu instid0(VALU_DEP_4) | instskip(NEXT) | instid1(VALU_DEP_4)
	v_bfe_u32 v145, v144, 20, 1
	v_and_b32_e32 v133, v135, v133
	s_delay_alu instid0(VALU_DEP_2) | instskip(NEXT) | instid1(VALU_DEP_2)
	v_add_nc_u32_e32 v135, -1, v145
	v_cmp_eq_u32_e64 s10, v133, v146
	s_delay_alu instid0(VALU_DEP_1) | instskip(SKIP_2) | instid1(VALU_DEP_2)
	v_cndmask_b32_e64 v133, 0, v135, s10
	v_lshrrev_b32_e32 v135, 23, v144
	s_mov_b32 s10, exec_lo
	v_add_nc_u32_e32 v133, v133, v144
	s_delay_alu instid0(VALU_DEP_2) | instskip(NEXT) | instid1(VALU_DEP_2)
	v_xor_b32_e32 v135, 1, v135
	v_and_b32_e32 v132, 0xfffff, v133
	s_delay_alu instid0(VALU_DEP_1) | instskip(NEXT) | instid1(VALU_DEP_3)
	v_add_nc_u32_e32 v133, v132, v144
                                        ; implicit-def: $vgpr132
	v_cmpx_ne_u32_e64 v134, v135
	s_xor_b32 s10, exec_lo, s10
; %bb.11088:                            ;   in Loop: Header=BB6_9656 Depth=2
	s_delay_alu instid0(VALU_DEP_2) | instskip(SKIP_2) | instid1(VALU_DEP_2)
	v_cmp_lt_u32_e32 vcc_lo, 0xffffff, v133
	v_sub_nc_u32_e32 v132, v134, v135
	v_cndmask_b32_e64 v134, 0, 1, vcc_lo
	v_add_co_ci_u32_e32 v132, vcc_lo, 0, v132, vcc_lo
	s_delay_alu instid0(VALU_DEP_2)
	v_lshrrev_b32_e32 v133, v134, v133
; %bb.11089:                            ;   in Loop: Header=BB6_9656 Depth=2
	s_and_not1_saveexec_b32 s10, s10
; %bb.11090:                            ;   in Loop: Header=BB6_9656 Depth=2
	s_delay_alu instid0(VALU_DEP_1)
	v_bfe_u32 v132, v133, 23, 1
; %bb.11091:                            ;   in Loop: Header=BB6_9656 Depth=2
	s_or_b32 exec_lo, exec_lo, s10
	v_lshrrev_b32_e32 v133, 20, v133
	s_delay_alu instid0(VALU_DEP_2) | instskip(SKIP_3) | instid1(VALU_DEP_3)
	v_cmp_gt_i32_e32 vcc_lo, 16, v132
	v_min_i32_e32 v134, 15, v132
	v_lshrrev_b32_e32 v98, 24, v98
	v_dual_mov_b32 v172, v41 :: v_dual_mov_b32 v185, v95
	v_dual_cndmask_b32 v133, 7, v133 :: v_dual_lshlrev_b32 v134, 3, v134
	s_delay_alu instid0(VALU_DEP_3) | instskip(SKIP_1) | instid1(VALU_DEP_3)
	v_dual_mov_b32 v171, v84 :: v_dual_and_b32 v98, 0x80, v98
	v_mov_b32_e32 v173, v40
	v_or_b32_e32 v132, v132, v133
	s_delay_alu instid0(VALU_DEP_4) | instskip(SKIP_2) | instid1(VALU_DEP_4)
	v_and_b32_e32 v134, 0xf8, v134
	v_dual_mov_b32 v174, v92 :: v_dual_mov_b32 v175, v93
	v_dual_mov_b32 v184, v94 :: v_dual_mov_b32 v187, v104
	v_cmp_ne_u32_e32 vcc_lo, 0, v132
	v_and_b32_e32 v135, 7, v133
	v_dual_mov_b32 v189, v105 :: v_dual_mov_b32 v186, v106
	v_dual_mov_b32 v188, v107 :: v_dual_mov_b32 v111, v86
	s_delay_alu instid0(VALU_DEP_3) | instskip(SKIP_2) | instid1(VALU_DEP_3)
	v_or3_b32 v98, v134, v98, v135
	v_dual_mov_b32 v108, v158 :: v_dual_mov_b32 v109, v83
	v_dual_mov_b32 v190, v110 :: v_dual_mov_b32 v121, v96
	v_cndmask_b32_e32 v170, 0, v98, vcc_lo
	v_dual_mov_b32 v120, v87 :: v_dual_mov_b32 v123, v97
	v_dual_mov_b32 v122, v82 :: v_dual_mov_b32 v125, v100
	;; [unrolled: 1-line block ×10, first 2 shown]
	v_mov_b32_e32 v156, v130
.LBB6_11092:                            ;   in Loop: Header=BB6_9656 Depth=2
	s_or_b32 exec_lo, exec_lo, s24
.LBB6_11093:                            ;   in Loop: Header=BB6_9656 Depth=2
	s_delay_alu instid0(SALU_CYCLE_1) | instskip(SKIP_3) | instid1(VALU_DEP_1)
	s_or_b32 exec_lo, exec_lo, s23
	v_lshrrev_b32_e32 v98, 24, v11
	s_mov_b32 s10, 0
	s_mov_b32 s24, exec_lo
                                        ; implicit-def: $sgpr23
	v_cmpx_lt_i16_e32 0x7f, v98
	s_xor_b32 s24, exec_lo, s24
	s_cbranch_execnz .LBB6_11675
; %bb.11094:                            ;   in Loop: Header=BB6_9656 Depth=2
	s_or_saveexec_b32 s24, s24
	v_mov_b32_e32 v132, s23
	s_xor_b32 exec_lo, exec_lo, s24
	s_cbranch_execnz .LBB6_11678
.LBB6_11095:                            ;   in Loop: Header=BB6_9656 Depth=2
	s_or_b32 exec_lo, exec_lo, s24
	s_and_saveexec_b32 s23, s10
	s_cbranch_execz .LBB6_11097
.LBB6_11096:                            ;   in Loop: Header=BB6_9656 Depth=2
	v_bfe_u32 v132, v11, 24, 3
	s_delay_alu instid0(VALU_DEP_1) | instskip(NEXT) | instid1(VALU_DEP_1)
	v_clz_i32_u32_e32 v133, v132
	v_min_u32_e32 v133, 32, v133
	s_delay_alu instid0(VALU_DEP_1) | instskip(SKIP_1) | instid1(VALU_DEP_2)
	v_subrev_nc_u32_e32 v134, 28, v133
	v_sub_nc_u32_e32 v133, 29, v133
	v_lshlrev_b32_e32 v98, v134, v98
	v_bfe_u32 v134, v11, 27, 4
	v_and_b32_e32 v11, 0x80000000, v11
	s_delay_alu instid0(VALU_DEP_2) | instskip(NEXT) | instid1(VALU_DEP_4)
	v_cmp_eq_u32_e32 vcc_lo, 0, v134
	v_dual_cndmask_b32 v133, v134, v133 :: v_dual_and_b32 v98, 7, v98
	s_delay_alu instid0(VALU_DEP_1) | instskip(NEXT) | instid1(VALU_DEP_2)
	v_cndmask_b32_e32 v98, v132, v98, vcc_lo
	v_lshl_add_u32 v132, v133, 23, 0x3b800000
	s_delay_alu instid0(VALU_DEP_2) | instskip(NEXT) | instid1(VALU_DEP_1)
	v_lshlrev_b32_e32 v98, 20, v98
	v_or3_b32 v132, v11, v132, v98
.LBB6_11097:                            ;   in Loop: Header=BB6_9656 Depth=2
	s_or_b32 exec_lo, exec_lo, s23
	s_delay_alu instid0(VALU_DEP_1) | instskip(NEXT) | instid1(VALU_DEP_1)
	v_mul_f32_e32 v98, s22, v132
	v_and_b32_e32 v11, 0x7f800000, v98
	s_delay_alu instid0(VALU_DEP_1)
	v_cmp_ne_u32_e32 vcc_lo, 0x7f800000, v11
	v_mov_b32_e32 v11, 0x8000
	s_and_saveexec_b32 s23, vcc_lo
	s_cbranch_execz .LBB6_11105
; %bb.11098:                            ;   in Loop: Header=BB6_9656 Depth=2
	v_mov_b32_e32 v11, 0
	s_mov_b32 s24, exec_lo
	v_cmpx_ne_u32_e32 0, v98
	s_cbranch_execz .LBB6_11104
; %bb.11099:                            ;   in Loop: Header=BB6_9656 Depth=2
	v_bfe_u32 v11, v98, 23, 8
	s_delay_alu instid0(VALU_DEP_1) | instskip(SKIP_1) | instid1(VALU_DEP_2)
	v_sub_nc_u32_e32 v133, 0x78, v11
	v_cmp_gt_u32_e32 vcc_lo, 0x79, v11
	v_dual_cndmask_b32 v133, 0, v133 :: v_dual_and_b32 v132, 0x7fffff, v98
	s_delay_alu instid0(VALU_DEP_1) | instskip(SKIP_2) | instid1(VALU_DEP_4)
	v_or_b32_e32 v134, 0x800000, v132
	v_cmp_eq_u32_e32 vcc_lo, 0, v11
	v_add_nc_u32_e32 v11, 0xffffff89, v11
	v_cndmask_b32_e64 v133, v133, 0x77, vcc_lo
	s_delay_alu instid0(VALU_DEP_4) | instskip(NEXT) | instid1(VALU_DEP_3)
	v_cndmask_b32_e32 v132, v134, v132, vcc_lo
	v_cndmask_b32_e64 v11, v11, 0xffffff8a, vcc_lo
	s_delay_alu instid0(VALU_DEP_3) | instskip(NEXT) | instid1(VALU_DEP_3)
	v_lshl_add_u32 v134, 0x100000, v133, -1
	v_lshrrev_b32_e32 v135, v133, v132
	v_lshlrev_b32_e64 v145, v133, 0x80000
	s_delay_alu instid0(VALU_DEP_4) | instskip(NEXT) | instid1(VALU_DEP_4)
	v_add_nc_u32_e32 v133, v133, v11
	v_and_b32_e32 v132, v134, v132
	s_delay_alu instid0(VALU_DEP_4) | instskip(NEXT) | instid1(VALU_DEP_2)
	v_bfe_u32 v144, v135, 20, 1
	v_cmp_eq_u32_e64 s10, v132, v145
	s_delay_alu instid0(VALU_DEP_2) | instskip(NEXT) | instid1(VALU_DEP_1)
	v_add_nc_u32_e32 v134, -1, v144
	v_cndmask_b32_e64 v132, 0, v134, s10
	v_lshrrev_b32_e32 v134, 23, v135
	s_mov_b32 s10, exec_lo
	s_delay_alu instid0(VALU_DEP_2) | instskip(NEXT) | instid1(VALU_DEP_2)
	v_add_nc_u32_e32 v132, v132, v135
	v_xor_b32_e32 v134, 1, v134
	s_delay_alu instid0(VALU_DEP_2) | instskip(NEXT) | instid1(VALU_DEP_1)
	v_and_b32_e32 v11, 0xfffff, v132
	v_add_nc_u32_e32 v132, v11, v135
                                        ; implicit-def: $vgpr11
	s_delay_alu instid0(VALU_DEP_3)
	v_cmpx_ne_u32_e64 v133, v134
	s_xor_b32 s10, exec_lo, s10
; %bb.11100:                            ;   in Loop: Header=BB6_9656 Depth=2
	s_delay_alu instid0(VALU_DEP_2) | instskip(SKIP_2) | instid1(VALU_DEP_2)
	v_cmp_lt_u32_e32 vcc_lo, 0xffffff, v132
	v_sub_nc_u32_e32 v11, v133, v134
	v_cndmask_b32_e64 v133, 0, 1, vcc_lo
	v_add_co_ci_u32_e32 v11, vcc_lo, 0, v11, vcc_lo
	s_delay_alu instid0(VALU_DEP_2)
	v_lshrrev_b32_e32 v132, v133, v132
; %bb.11101:                            ;   in Loop: Header=BB6_9656 Depth=2
	s_and_not1_saveexec_b32 s10, s10
; %bb.11102:                            ;   in Loop: Header=BB6_9656 Depth=2
	s_delay_alu instid0(VALU_DEP_1)
	v_bfe_u32 v11, v132, 23, 1
; %bb.11103:                            ;   in Loop: Header=BB6_9656 Depth=2
	s_or_b32 exec_lo, exec_lo, s10
	v_lshrrev_b32_e32 v132, 20, v132
	s_delay_alu instid0(VALU_DEP_2) | instskip(SKIP_3) | instid1(VALU_DEP_3)
	v_cmp_gt_i32_e32 vcc_lo, 16, v11
	v_min_i32_e32 v133, 15, v11
	v_lshrrev_b32_e32 v98, 24, v98
	v_dual_mov_b32 v174, v92 :: v_dual_mov_b32 v175, v93
	v_dual_cndmask_b32 v132, 7, v132 :: v_dual_lshlrev_b32 v133, 3, v133
	s_delay_alu instid0(VALU_DEP_3) | instskip(SKIP_1) | instid1(VALU_DEP_3)
	v_dual_mov_b32 v171, v84 :: v_dual_and_b32 v98, 0x80, v98
	v_mov_b32_e32 v172, v41
	v_or_b32_e32 v11, v11, v132
	s_delay_alu instid0(VALU_DEP_4) | instskip(SKIP_2) | instid1(VALU_DEP_4)
	v_dual_mov_b32 v184, v94 :: v_dual_and_b32 v133, 0xf8, v133
	v_mov_b32_e32 v185, v95
	v_dual_mov_b32 v187, v104 :: v_dual_mov_b32 v186, v106
	v_cmp_ne_u32_e32 vcc_lo, 0, v11
	v_dual_mov_b32 v189, v105 :: v_dual_and_b32 v134, 7, v132
	v_mov_b32_e32 v188, v107
	v_dual_mov_b32 v108, v158 :: v_dual_mov_b32 v109, v83
	s_delay_alu instid0(VALU_DEP_3) | instskip(SKIP_3) | instid1(VALU_DEP_4)
	v_or3_b32 v98, v98, v133, v134
	v_dual_mov_b32 v190, v110 :: v_dual_mov_b32 v121, v96
	v_mov_b32_e32 v173, v40
	v_dual_mov_b32 v111, v86 :: v_dual_mov_b32 v120, v87
	v_lshlrev_b32_e32 v98, 8, v98
	v_dual_mov_b32 v122, v82 :: v_dual_mov_b32 v123, v97
	v_dual_mov_b32 v124, v99 :: v_dual_mov_b32 v125, v100
	s_delay_alu instid0(VALU_DEP_3)
	v_dual_cndmask_b32 v11, 0, v98 :: v_dual_mov_b32 v126, v101
	v_dual_mov_b32 v127, v102 :: v_dual_mov_b32 v136, v112
	v_dual_mov_b32 v137, v114 :: v_dual_mov_b32 v138, v103
	;; [unrolled: 1-line block ×7, first 2 shown]
	v_mov_b32_e32 v157, v131
.LBB6_11104:                            ;   in Loop: Header=BB6_9656 Depth=2
	s_or_b32 exec_lo, exec_lo, s24
.LBB6_11105:                            ;   in Loop: Header=BB6_9656 Depth=2
	s_delay_alu instid0(SALU_CYCLE_1) | instskip(SKIP_3) | instid1(VALU_DEP_1)
	s_or_b32 exec_lo, exec_lo, s23
	v_and_b32_e32 v132, 0xff, v12
	s_mov_b32 s10, 0
	s_mov_b32 s24, exec_lo
                                        ; implicit-def: $sgpr23
	v_cmpx_lt_i16_e64 0x7f, v132
	s_xor_b32 s24, exec_lo, s24
	s_cbranch_execnz .LBB6_11679
; %bb.11106:                            ;   in Loop: Header=BB6_9656 Depth=2
	s_or_saveexec_b32 s24, s24
	v_mov_b32_e32 v98, s23
	s_xor_b32 exec_lo, exec_lo, s24
	s_cbranch_execnz .LBB6_11682
.LBB6_11107:                            ;   in Loop: Header=BB6_9656 Depth=2
	s_or_b32 exec_lo, exec_lo, s24
	s_and_saveexec_b32 s23, s10
	s_cbranch_execz .LBB6_11109
.LBB6_11108:                            ;   in Loop: Header=BB6_9656 Depth=2
	v_and_b32_e32 v98, 7, v12
	v_bfe_u32 v134, v12, 3, 4
	s_delay_alu instid0(VALU_DEP_2) | instskip(NEXT) | instid1(VALU_DEP_2)
	v_clz_i32_u32_e32 v132, v98
	v_cmp_eq_u32_e32 vcc_lo, 0, v134
	s_delay_alu instid0(VALU_DEP_2) | instskip(NEXT) | instid1(VALU_DEP_1)
	v_min_u32_e32 v132, 32, v132
	v_subrev_nc_u32_e32 v133, 28, v132
	v_sub_nc_u32_e32 v132, 29, v132
	s_delay_alu instid0(VALU_DEP_2) | instskip(NEXT) | instid1(VALU_DEP_1)
	v_lshlrev_b32_e32 v133, v133, v12
	v_dual_cndmask_b32 v132, v134, v132 :: v_dual_and_b32 v133, 7, v133
	v_lshlrev_b32_e32 v135, 24, v12
	s_delay_alu instid0(VALU_DEP_2) | instskip(NEXT) | instid1(VALU_DEP_2)
	v_lshl_add_u32 v132, v132, 23, 0x3b800000
	v_dual_cndmask_b32 v98, v98, v133 :: v_dual_and_b32 v133, 0x80000000, v135
	s_delay_alu instid0(VALU_DEP_1) | instskip(NEXT) | instid1(VALU_DEP_1)
	v_lshlrev_b32_e32 v98, 20, v98
	v_or3_b32 v98, v133, v132, v98
.LBB6_11109:                            ;   in Loop: Header=BB6_9656 Depth=2
	s_or_b32 exec_lo, exec_lo, s23
	s_delay_alu instid0(VALU_DEP_1) | instskip(NEXT) | instid1(VALU_DEP_1)
	v_mul_f32_e32 v132, s22, v98
	v_and_b32_e32 v98, 0x7f800000, v132
	s_delay_alu instid0(VALU_DEP_1)
	v_cmp_ne_u32_e32 vcc_lo, 0x7f800000, v98
	v_mov_b32_e32 v98, 0x80
	s_and_saveexec_b32 s23, vcc_lo
	s_cbranch_execz .LBB6_11117
; %bb.11110:                            ;   in Loop: Header=BB6_9656 Depth=2
	v_mov_b32_e32 v98, 0
	s_mov_b32 s24, exec_lo
	v_cmpx_ne_u32_e32 0, v132
	s_cbranch_execz .LBB6_11116
; %bb.11111:                            ;   in Loop: Header=BB6_9656 Depth=2
	v_bfe_u32 v98, v132, 23, 8
	s_delay_alu instid0(VALU_DEP_1) | instskip(SKIP_1) | instid1(VALU_DEP_2)
	v_sub_nc_u32_e32 v134, 0x78, v98
	v_cmp_gt_u32_e32 vcc_lo, 0x79, v98
	v_dual_cndmask_b32 v134, 0, v134 :: v_dual_and_b32 v133, 0x7fffff, v132
	s_delay_alu instid0(VALU_DEP_1) | instskip(SKIP_2) | instid1(VALU_DEP_4)
	v_or_b32_e32 v135, 0x800000, v133
	v_cmp_eq_u32_e32 vcc_lo, 0, v98
	v_add_nc_u32_e32 v98, 0xffffff89, v98
	v_cndmask_b32_e64 v134, v134, 0x77, vcc_lo
	s_delay_alu instid0(VALU_DEP_4) | instskip(NEXT) | instid1(VALU_DEP_3)
	v_cndmask_b32_e32 v133, v135, v133, vcc_lo
	v_cndmask_b32_e64 v98, v98, 0xffffff8a, vcc_lo
	s_delay_alu instid0(VALU_DEP_3) | instskip(NEXT) | instid1(VALU_DEP_3)
	v_lshl_add_u32 v135, 0x100000, v134, -1
	v_lshrrev_b32_e32 v144, v134, v133
	v_lshlrev_b32_e64 v146, v134, 0x80000
	s_delay_alu instid0(VALU_DEP_4) | instskip(NEXT) | instid1(VALU_DEP_4)
	v_add_nc_u32_e32 v134, v134, v98
	v_and_b32_e32 v133, v135, v133
	s_delay_alu instid0(VALU_DEP_4) | instskip(NEXT) | instid1(VALU_DEP_2)
	v_bfe_u32 v145, v144, 20, 1
	v_cmp_eq_u32_e64 s10, v133, v146
	s_delay_alu instid0(VALU_DEP_2) | instskip(NEXT) | instid1(VALU_DEP_1)
	v_add_nc_u32_e32 v135, -1, v145
	v_cndmask_b32_e64 v133, 0, v135, s10
	v_lshrrev_b32_e32 v135, 23, v144
	s_mov_b32 s10, exec_lo
	s_delay_alu instid0(VALU_DEP_2) | instskip(NEXT) | instid1(VALU_DEP_2)
	v_add_nc_u32_e32 v133, v133, v144
	v_xor_b32_e32 v135, 1, v135
	s_delay_alu instid0(VALU_DEP_2) | instskip(NEXT) | instid1(VALU_DEP_1)
	v_and_b32_e32 v98, 0xfffff, v133
	v_add_nc_u32_e32 v133, v98, v144
                                        ; implicit-def: $vgpr98
	s_delay_alu instid0(VALU_DEP_3)
	v_cmpx_ne_u32_e64 v134, v135
	s_xor_b32 s10, exec_lo, s10
; %bb.11112:                            ;   in Loop: Header=BB6_9656 Depth=2
	s_delay_alu instid0(VALU_DEP_2) | instskip(SKIP_2) | instid1(VALU_DEP_2)
	v_cmp_lt_u32_e32 vcc_lo, 0xffffff, v133
	v_sub_nc_u32_e32 v98, v134, v135
	v_cndmask_b32_e64 v134, 0, 1, vcc_lo
	v_add_co_ci_u32_e32 v98, vcc_lo, 0, v98, vcc_lo
	s_delay_alu instid0(VALU_DEP_2)
	v_lshrrev_b32_e32 v133, v134, v133
; %bb.11113:                            ;   in Loop: Header=BB6_9656 Depth=2
	s_and_not1_saveexec_b32 s10, s10
; %bb.11114:                            ;   in Loop: Header=BB6_9656 Depth=2
	s_delay_alu instid0(VALU_DEP_1)
	v_bfe_u32 v98, v133, 23, 1
; %bb.11115:                            ;   in Loop: Header=BB6_9656 Depth=2
	s_or_b32 exec_lo, exec_lo, s10
	v_lshrrev_b32_e32 v133, 20, v133
	s_delay_alu instid0(VALU_DEP_2) | instskip(SKIP_3) | instid1(VALU_DEP_3)
	v_cmp_gt_i32_e32 vcc_lo, 16, v98
	v_lshrrev_b32_e32 v132, 24, v132
	v_min_i32_e32 v134, 15, v98
	v_dual_mov_b32 v172, v41 :: v_dual_mov_b32 v173, v40
	v_dual_cndmask_b32 v133, 7, v133 :: v_dual_and_b32 v132, 0x80, v132
	s_delay_alu instid0(VALU_DEP_3) | instskip(SKIP_1) | instid1(VALU_DEP_3)
	v_dual_mov_b32 v171, v84 :: v_dual_lshlrev_b32 v134, 3, v134
	v_dual_mov_b32 v174, v92 :: v_dual_mov_b32 v175, v93
	v_or_b32_e32 v98, v98, v133
	v_dual_mov_b32 v184, v94 :: v_dual_mov_b32 v185, v95
	v_dual_mov_b32 v187, v104 :: v_dual_mov_b32 v186, v106
	s_delay_alu instid0(VALU_DEP_3) | instskip(SKIP_3) | instid1(VALU_DEP_3)
	v_cmp_ne_u32_e32 vcc_lo, 0, v98
	v_and_b32_e32 v135, 7, v133
	v_dual_mov_b32 v189, v105 :: v_dual_mov_b32 v188, v107
	v_dual_mov_b32 v108, v158 :: v_dual_mov_b32 v109, v83
	v_or3_b32 v132, v134, v132, v135
	v_dual_mov_b32 v190, v110 :: v_dual_mov_b32 v121, v96
	v_dual_mov_b32 v111, v86 :: v_dual_mov_b32 v120, v87
	s_delay_alu instid0(VALU_DEP_3)
	v_cndmask_b32_e32 v98, 0, v132, vcc_lo
	v_dual_mov_b32 v122, v82 :: v_dual_mov_b32 v123, v97
	v_dual_mov_b32 v124, v99 :: v_dual_mov_b32 v125, v100
	;; [unrolled: 1-line block ×10, first 2 shown]
.LBB6_11116:                            ;   in Loop: Header=BB6_9656 Depth=2
	s_or_b32 exec_lo, exec_lo, s24
.LBB6_11117:                            ;   in Loop: Header=BB6_9656 Depth=2
	s_delay_alu instid0(SALU_CYCLE_1) | instskip(SKIP_3) | instid1(VALU_DEP_1)
	s_or_b32 exec_lo, exec_lo, s23
	v_lshrrev_b16 v132, 8, v12
	s_mov_b32 s10, 0
	s_mov_b32 s24, exec_lo
                                        ; implicit-def: $sgpr23
	v_cmpx_lt_i16_e64 0x7f, v132
	s_xor_b32 s24, exec_lo, s24
	s_cbranch_execnz .LBB6_11683
; %bb.11118:                            ;   in Loop: Header=BB6_9656 Depth=2
	s_or_saveexec_b32 s24, s24
	v_mov_b32_e32 v133, s23
	s_xor_b32 exec_lo, exec_lo, s24
	s_cbranch_execnz .LBB6_11686
.LBB6_11119:                            ;   in Loop: Header=BB6_9656 Depth=2
	s_or_b32 exec_lo, exec_lo, s24
	s_and_saveexec_b32 s23, s10
	s_cbranch_execz .LBB6_11121
.LBB6_11120:                            ;   in Loop: Header=BB6_9656 Depth=2
	v_and_b32_e32 v133, 0xffff, v132
	v_lshlrev_b32_e32 v132, 24, v132
	s_delay_alu instid0(VALU_DEP_2) | instskip(NEXT) | instid1(VALU_DEP_2)
	v_and_b32_e32 v134, 7, v133
	v_and_b32_e32 v132, 0x80000000, v132
	s_delay_alu instid0(VALU_DEP_2) | instskip(NEXT) | instid1(VALU_DEP_1)
	v_clz_i32_u32_e32 v135, v134
	v_min_u32_e32 v135, 32, v135
	s_delay_alu instid0(VALU_DEP_1) | instskip(SKIP_1) | instid1(VALU_DEP_2)
	v_subrev_nc_u32_e32 v144, 28, v135
	v_sub_nc_u32_e32 v135, 29, v135
	v_lshlrev_b32_e32 v144, v144, v133
	v_bfe_u32 v133, v133, 3, 4
	s_delay_alu instid0(VALU_DEP_2) | instskip(NEXT) | instid1(VALU_DEP_2)
	v_and_b32_e32 v144, 7, v144
	v_cmp_eq_u32_e32 vcc_lo, 0, v133
	s_delay_alu instid0(VALU_DEP_2) | instskip(NEXT) | instid1(VALU_DEP_1)
	v_dual_cndmask_b32 v133, v133, v135 :: v_dual_cndmask_b32 v134, v134, v144
	v_lshl_add_u32 v133, v133, 23, 0x3b800000
	s_delay_alu instid0(VALU_DEP_2) | instskip(NEXT) | instid1(VALU_DEP_1)
	v_lshlrev_b32_e32 v134, 20, v134
	v_or3_b32 v133, v132, v133, v134
.LBB6_11121:                            ;   in Loop: Header=BB6_9656 Depth=2
	s_or_b32 exec_lo, exec_lo, s23
	s_delay_alu instid0(VALU_DEP_1) | instskip(NEXT) | instid1(VALU_DEP_1)
	v_mul_f32_e32 v133, s22, v133
	v_and_b32_e32 v132, 0x7f800000, v133
	s_delay_alu instid0(VALU_DEP_1)
	v_cmp_ne_u32_e32 vcc_lo, 0x7f800000, v132
	v_mov_b32_e32 v132, 0x80
	s_and_saveexec_b32 s23, vcc_lo
	s_cbranch_execz .LBB6_11129
; %bb.11122:                            ;   in Loop: Header=BB6_9656 Depth=2
	v_mov_b32_e32 v132, 0
	s_mov_b32 s24, exec_lo
	v_cmpx_ne_u32_e32 0, v133
	s_cbranch_execz .LBB6_11128
; %bb.11123:                            ;   in Loop: Header=BB6_9656 Depth=2
	v_bfe_u32 v132, v133, 23, 8
	s_delay_alu instid0(VALU_DEP_1) | instskip(SKIP_1) | instid1(VALU_DEP_2)
	v_sub_nc_u32_e32 v135, 0x78, v132
	v_cmp_gt_u32_e32 vcc_lo, 0x79, v132
	v_dual_cndmask_b32 v135, 0, v135 :: v_dual_and_b32 v134, 0x7fffff, v133
	s_delay_alu instid0(VALU_DEP_1) | instskip(SKIP_2) | instid1(VALU_DEP_4)
	v_or_b32_e32 v144, 0x800000, v134
	v_cmp_eq_u32_e32 vcc_lo, 0, v132
	v_add_nc_u32_e32 v132, 0xffffff89, v132
	v_cndmask_b32_e64 v135, v135, 0x77, vcc_lo
	s_delay_alu instid0(VALU_DEP_2) | instskip(SKIP_1) | instid1(VALU_DEP_3)
	v_cndmask_b32_e64 v132, v132, 0xffffff8a, vcc_lo
	v_cndmask_b32_e32 v134, v144, v134, vcc_lo
	v_lshl_add_u32 v144, 0x100000, v135, -1
	v_lshlrev_b32_e64 v108, v135, 0x80000
	s_delay_alu instid0(VALU_DEP_3) | instskip(SKIP_1) | instid1(VALU_DEP_4)
	v_lshrrev_b32_e32 v145, v135, v134
	v_add_nc_u32_e32 v135, v135, v132
	v_and_b32_e32 v134, v144, v134
	s_delay_alu instid0(VALU_DEP_3) | instskip(NEXT) | instid1(VALU_DEP_2)
	v_bfe_u32 v146, v145, 20, 1
	v_cmp_eq_u32_e64 s10, v134, v108
	s_delay_alu instid0(VALU_DEP_2) | instskip(NEXT) | instid1(VALU_DEP_1)
	v_add_nc_u32_e32 v144, -1, v146
	v_cndmask_b32_e64 v134, 0, v144, s10
	v_lshrrev_b32_e32 v144, 23, v145
	s_mov_b32 s10, exec_lo
	s_delay_alu instid0(VALU_DEP_2) | instskip(NEXT) | instid1(VALU_DEP_2)
	v_add_nc_u32_e32 v134, v134, v145
	v_xor_b32_e32 v144, 1, v144
	s_delay_alu instid0(VALU_DEP_2) | instskip(NEXT) | instid1(VALU_DEP_1)
	v_and_b32_e32 v132, 0xfffff, v134
	v_add_nc_u32_e32 v134, v132, v145
                                        ; implicit-def: $vgpr132
	s_delay_alu instid0(VALU_DEP_3)
	v_cmpx_ne_u32_e64 v135, v144
	s_xor_b32 s10, exec_lo, s10
; %bb.11124:                            ;   in Loop: Header=BB6_9656 Depth=2
	s_delay_alu instid0(VALU_DEP_2) | instskip(SKIP_2) | instid1(VALU_DEP_2)
	v_cmp_lt_u32_e32 vcc_lo, 0xffffff, v134
	v_sub_nc_u32_e32 v132, v135, v144
	v_cndmask_b32_e64 v135, 0, 1, vcc_lo
	v_add_co_ci_u32_e32 v132, vcc_lo, 0, v132, vcc_lo
	s_delay_alu instid0(VALU_DEP_2)
	v_lshrrev_b32_e32 v134, v135, v134
; %bb.11125:                            ;   in Loop: Header=BB6_9656 Depth=2
	s_and_not1_saveexec_b32 s10, s10
; %bb.11126:                            ;   in Loop: Header=BB6_9656 Depth=2
	s_delay_alu instid0(VALU_DEP_1)
	v_bfe_u32 v132, v134, 23, 1
; %bb.11127:                            ;   in Loop: Header=BB6_9656 Depth=2
	s_or_b32 exec_lo, exec_lo, s10
	v_lshrrev_b32_e32 v134, 20, v134
	s_delay_alu instid0(VALU_DEP_2) | instskip(SKIP_3) | instid1(VALU_DEP_3)
	v_cmp_gt_i32_e32 vcc_lo, 16, v132
	v_lshrrev_b32_e32 v133, 24, v133
	v_min_i32_e32 v135, 15, v132
	v_dual_mov_b32 v172, v41 :: v_dual_mov_b32 v173, v40
	v_dual_cndmask_b32 v134, 7, v134 :: v_dual_and_b32 v133, 0x80, v133
	v_dual_mov_b32 v174, v92 :: v_dual_mov_b32 v175, v93
	v_mov_b32_e32 v171, v84
	s_delay_alu instid0(VALU_DEP_3) | instskip(SKIP_3) | instid1(VALU_DEP_4)
	v_or_b32_e32 v132, v132, v134
	v_and_b32_e32 v144, 7, v134
	v_dual_mov_b32 v184, v94 :: v_dual_mov_b32 v185, v95
	v_dual_mov_b32 v187, v104 :: v_dual_mov_b32 v186, v106
	v_cmp_ne_u32_e32 vcc_lo, 0, v132
	v_lshlrev_b32_e32 v135, 3, v135
	v_dual_mov_b32 v189, v105 :: v_dual_mov_b32 v188, v107
	v_dual_mov_b32 v108, v158 :: v_dual_mov_b32 v109, v83
	s_delay_alu instid0(VALU_DEP_3) | instskip(SKIP_2) | instid1(VALU_DEP_3)
	v_or3_b32 v133, v135, v133, v144
	v_dual_mov_b32 v190, v110 :: v_dual_mov_b32 v121, v96
	v_dual_mov_b32 v111, v86 :: v_dual_mov_b32 v120, v87
	v_cndmask_b32_e32 v132, 0, v133, vcc_lo
	v_dual_mov_b32 v122, v82 :: v_dual_mov_b32 v123, v97
	v_dual_mov_b32 v124, v99 :: v_dual_mov_b32 v125, v100
	;; [unrolled: 1-line block ×10, first 2 shown]
.LBB6_11128:                            ;   in Loop: Header=BB6_9656 Depth=2
	s_or_b32 exec_lo, exec_lo, s24
.LBB6_11129:                            ;   in Loop: Header=BB6_9656 Depth=2
	s_delay_alu instid0(SALU_CYCLE_1) | instskip(SKIP_3) | instid1(VALU_DEP_1)
	s_or_b32 exec_lo, exec_lo, s23
	v_lshrrev_b32_e32 v133, 16, v12
	s_mov_b32 s10, 0
	s_mov_b32 s24, exec_lo
                                        ; implicit-def: $sgpr23
	v_and_b32_e32 v135, 0xff, v133
	s_delay_alu instid0(VALU_DEP_1)
	v_cmpx_lt_i16_e64 0x7f, v135
	s_xor_b32 s24, exec_lo, s24
	s_cbranch_execnz .LBB6_11687
; %bb.11130:                            ;   in Loop: Header=BB6_9656 Depth=2
	s_or_saveexec_b32 s24, s24
	v_mov_b32_e32 v134, s23
	s_xor_b32 exec_lo, exec_lo, s24
	s_cbranch_execnz .LBB6_11690
.LBB6_11131:                            ;   in Loop: Header=BB6_9656 Depth=2
	s_or_b32 exec_lo, exec_lo, s24
	s_and_saveexec_b32 s23, s10
	s_cbranch_execz .LBB6_11133
.LBB6_11132:                            ;   in Loop: Header=BB6_9656 Depth=2
	v_bfe_u32 v134, v12, 16, 3
	v_lshlrev_b32_e32 v145, 8, v12
	s_delay_alu instid0(VALU_DEP_2) | instskip(NEXT) | instid1(VALU_DEP_1)
	v_clz_i32_u32_e32 v135, v134
	v_min_u32_e32 v135, 32, v135
	s_delay_alu instid0(VALU_DEP_1) | instskip(SKIP_1) | instid1(VALU_DEP_2)
	v_subrev_nc_u32_e32 v144, 28, v135
	v_sub_nc_u32_e32 v135, 29, v135
	v_lshlrev_b32_e32 v133, v144, v133
	v_bfe_u32 v144, v12, 19, 4
	s_delay_alu instid0(VALU_DEP_2) | instskip(NEXT) | instid1(VALU_DEP_2)
	v_and_b32_e32 v133, 7, v133
	v_cmp_eq_u32_e32 vcc_lo, 0, v144
	v_cndmask_b32_e32 v135, v144, v135, vcc_lo
	s_delay_alu instid0(VALU_DEP_3) | instskip(SKIP_1) | instid1(VALU_DEP_3)
	v_cndmask_b32_e32 v133, v134, v133, vcc_lo
	v_and_b32_e32 v134, 0x80000000, v145
	v_lshl_add_u32 v135, v135, 23, 0x3b800000
	s_delay_alu instid0(VALU_DEP_3) | instskip(NEXT) | instid1(VALU_DEP_1)
	v_lshlrev_b32_e32 v133, 20, v133
	v_or3_b32 v134, v134, v135, v133
.LBB6_11133:                            ;   in Loop: Header=BB6_9656 Depth=2
	s_or_b32 exec_lo, exec_lo, s23
	s_delay_alu instid0(VALU_DEP_1) | instskip(NEXT) | instid1(VALU_DEP_1)
	v_mul_f32_e32 v134, s22, v134
	v_and_b32_e32 v133, 0x7f800000, v134
	s_delay_alu instid0(VALU_DEP_1)
	v_cmp_ne_u32_e32 vcc_lo, 0x7f800000, v133
	v_mov_b32_e32 v133, 0x80
	s_and_saveexec_b32 s23, vcc_lo
	s_cbranch_execz .LBB6_11141
; %bb.11134:                            ;   in Loop: Header=BB6_9656 Depth=2
	v_mov_b32_e32 v133, 0
	s_mov_b32 s24, exec_lo
	v_cmpx_ne_u32_e32 0, v134
	s_cbranch_execz .LBB6_11140
; %bb.11135:                            ;   in Loop: Header=BB6_9656 Depth=2
	v_bfe_u32 v133, v134, 23, 8
	s_delay_alu instid0(VALU_DEP_1) | instskip(SKIP_1) | instid1(VALU_DEP_2)
	v_sub_nc_u32_e32 v144, 0x78, v133
	v_cmp_gt_u32_e32 vcc_lo, 0x79, v133
	v_dual_cndmask_b32 v144, 0, v144 :: v_dual_and_b32 v135, 0x7fffff, v134
	s_delay_alu instid0(VALU_DEP_1) | instskip(SKIP_2) | instid1(VALU_DEP_4)
	v_or_b32_e32 v145, 0x800000, v135
	v_cmp_eq_u32_e32 vcc_lo, 0, v133
	v_add_nc_u32_e32 v133, 0xffffff89, v133
	v_cndmask_b32_e64 v144, v144, 0x77, vcc_lo
	s_delay_alu instid0(VALU_DEP_2) | instskip(SKIP_1) | instid1(VALU_DEP_3)
	v_cndmask_b32_e64 v133, v133, 0xffffff8a, vcc_lo
	v_cndmask_b32_e32 v135, v145, v135, vcc_lo
	v_lshl_add_u32 v145, 0x100000, v144, -1
	v_lshlrev_b32_e64 v109, v144, 0x80000
	s_delay_alu instid0(VALU_DEP_3) | instskip(SKIP_1) | instid1(VALU_DEP_4)
	v_lshrrev_b32_e32 v146, v144, v135
	v_add_nc_u32_e32 v144, v144, v133
	v_and_b32_e32 v135, v145, v135
	s_delay_alu instid0(VALU_DEP_3) | instskip(NEXT) | instid1(VALU_DEP_2)
	v_bfe_u32 v108, v146, 20, 1
	v_cmp_eq_u32_e64 s10, v135, v109
	s_delay_alu instid0(VALU_DEP_2) | instskip(NEXT) | instid1(VALU_DEP_1)
	v_add_nc_u32_e32 v145, -1, v108
	v_cndmask_b32_e64 v135, 0, v145, s10
	v_lshrrev_b32_e32 v145, 23, v146
	s_mov_b32 s10, exec_lo
	s_delay_alu instid0(VALU_DEP_2) | instskip(NEXT) | instid1(VALU_DEP_2)
	v_add_nc_u32_e32 v135, v135, v146
	v_xor_b32_e32 v145, 1, v145
	s_delay_alu instid0(VALU_DEP_2) | instskip(NEXT) | instid1(VALU_DEP_1)
	v_and_b32_e32 v133, 0xfffff, v135
	v_add_nc_u32_e32 v135, v133, v146
                                        ; implicit-def: $vgpr133
	s_delay_alu instid0(VALU_DEP_3)
	v_cmpx_ne_u32_e64 v144, v145
	s_xor_b32 s10, exec_lo, s10
; %bb.11136:                            ;   in Loop: Header=BB6_9656 Depth=2
	s_delay_alu instid0(VALU_DEP_2) | instskip(SKIP_2) | instid1(VALU_DEP_2)
	v_cmp_lt_u32_e32 vcc_lo, 0xffffff, v135
	v_sub_nc_u32_e32 v133, v144, v145
	v_cndmask_b32_e64 v144, 0, 1, vcc_lo
	v_add_co_ci_u32_e32 v133, vcc_lo, 0, v133, vcc_lo
	s_delay_alu instid0(VALU_DEP_2)
	v_lshrrev_b32_e32 v135, v144, v135
; %bb.11137:                            ;   in Loop: Header=BB6_9656 Depth=2
	s_and_not1_saveexec_b32 s10, s10
; %bb.11138:                            ;   in Loop: Header=BB6_9656 Depth=2
	s_delay_alu instid0(VALU_DEP_1)
	v_bfe_u32 v133, v135, 23, 1
; %bb.11139:                            ;   in Loop: Header=BB6_9656 Depth=2
	s_or_b32 exec_lo, exec_lo, s10
	v_lshrrev_b32_e32 v135, 20, v135
	s_delay_alu instid0(VALU_DEP_2) | instskip(SKIP_3) | instid1(VALU_DEP_3)
	v_cmp_gt_i32_e32 vcc_lo, 16, v133
	v_lshrrev_b32_e32 v134, 24, v134
	v_min_i32_e32 v144, 15, v133
	v_dual_mov_b32 v171, v84 :: v_dual_mov_b32 v184, v94
	v_dual_cndmask_b32 v135, 7, v135 :: v_dual_and_b32 v134, 0x80, v134
	v_dual_mov_b32 v173, v40 :: v_dual_mov_b32 v186, v106
	v_mov_b32_e32 v172, v41
	s_delay_alu instid0(VALU_DEP_3) | instskip(SKIP_3) | instid1(VALU_DEP_4)
	v_or_b32_e32 v133, v133, v135
	v_dual_mov_b32 v174, v92 :: v_dual_and_b32 v145, 7, v135
	v_mov_b32_e32 v175, v93
	v_dual_mov_b32 v185, v95 :: v_dual_mov_b32 v108, v158
	v_cmp_ne_u32_e32 vcc_lo, 0, v133
	v_dual_mov_b32 v187, v104 :: v_dual_lshlrev_b32 v144, 3, v144
	v_dual_mov_b32 v188, v107 :: v_dual_mov_b32 v189, v105
	v_mov_b32_e32 v190, v110
	s_delay_alu instid0(VALU_DEP_3) | instskip(SKIP_2) | instid1(VALU_DEP_3)
	v_or3_b32 v134, v144, v134, v145
	v_dual_mov_b32 v109, v83 :: v_dual_mov_b32 v122, v82
	v_dual_mov_b32 v111, v86 :: v_dual_mov_b32 v120, v87
	v_cndmask_b32_e32 v133, 0, v134, vcc_lo
	v_dual_mov_b32 v121, v96 :: v_dual_mov_b32 v124, v99
	v_dual_mov_b32 v123, v97 :: v_dual_mov_b32 v136, v112
	;; [unrolled: 1-line block ×7, first 2 shown]
	v_mov_b32_e32 v143, v118
	v_dual_mov_b32 v153, v128 :: v_dual_mov_b32 v154, v66
	v_dual_mov_b32 v155, v129 :: v_dual_mov_b32 v156, v130
	v_mov_b32_e32 v157, v131
.LBB6_11140:                            ;   in Loop: Header=BB6_9656 Depth=2
	s_or_b32 exec_lo, exec_lo, s24
.LBB6_11141:                            ;   in Loop: Header=BB6_9656 Depth=2
	s_delay_alu instid0(SALU_CYCLE_1) | instskip(SKIP_3) | instid1(VALU_DEP_1)
	s_or_b32 exec_lo, exec_lo, s23
	v_lshrrev_b32_e32 v134, 24, v12
	s_mov_b32 s10, 0
	s_mov_b32 s24, exec_lo
                                        ; implicit-def: $sgpr23
	v_cmpx_lt_i16_e64 0x7f, v134
	s_xor_b32 s24, exec_lo, s24
	s_cbranch_execnz .LBB6_11691
; %bb.11142:                            ;   in Loop: Header=BB6_9656 Depth=2
	s_or_saveexec_b32 s24, s24
	v_mov_b32_e32 v135, s23
	s_xor_b32 exec_lo, exec_lo, s24
	s_cbranch_execnz .LBB6_11694
.LBB6_11143:                            ;   in Loop: Header=BB6_9656 Depth=2
	s_or_b32 exec_lo, exec_lo, s24
	s_and_saveexec_b32 s23, s10
	s_cbranch_execz .LBB6_11145
.LBB6_11144:                            ;   in Loop: Header=BB6_9656 Depth=2
	v_bfe_u32 v135, v12, 24, 3
	s_delay_alu instid0(VALU_DEP_1) | instskip(NEXT) | instid1(VALU_DEP_1)
	v_clz_i32_u32_e32 v144, v135
	v_min_u32_e32 v144, 32, v144
	s_delay_alu instid0(VALU_DEP_1) | instskip(SKIP_1) | instid1(VALU_DEP_2)
	v_subrev_nc_u32_e32 v145, 28, v144
	v_sub_nc_u32_e32 v144, 29, v144
	v_lshlrev_b32_e32 v134, v145, v134
	v_bfe_u32 v145, v12, 27, 4
	v_and_b32_e32 v12, 0x80000000, v12
	s_delay_alu instid0(VALU_DEP_3) | instskip(NEXT) | instid1(VALU_DEP_3)
	v_and_b32_e32 v134, 7, v134
	v_cmp_eq_u32_e32 vcc_lo, 0, v145
	v_cndmask_b32_e32 v144, v145, v144, vcc_lo
	s_delay_alu instid0(VALU_DEP_3) | instskip(NEXT) | instid1(VALU_DEP_2)
	v_cndmask_b32_e32 v134, v135, v134, vcc_lo
	v_lshl_add_u32 v135, v144, 23, 0x3b800000
	s_delay_alu instid0(VALU_DEP_2) | instskip(NEXT) | instid1(VALU_DEP_1)
	v_lshlrev_b32_e32 v134, 20, v134
	v_or3_b32 v135, v12, v135, v134
.LBB6_11145:                            ;   in Loop: Header=BB6_9656 Depth=2
	s_or_b32 exec_lo, exec_lo, s23
	s_delay_alu instid0(VALU_DEP_1) | instskip(NEXT) | instid1(VALU_DEP_1)
	v_mul_f32_e32 v134, s22, v135
	v_and_b32_e32 v12, 0x7f800000, v134
	s_delay_alu instid0(VALU_DEP_1)
	v_cmp_ne_u32_e32 vcc_lo, 0x7f800000, v12
	v_mov_b32_e32 v12, 0x80
	s_and_saveexec_b32 s23, vcc_lo
	s_cbranch_execz .LBB6_11153
; %bb.11146:                            ;   in Loop: Header=BB6_9656 Depth=2
	v_mov_b32_e32 v12, 0
	s_mov_b32 s24, exec_lo
	v_cmpx_ne_u32_e32 0, v134
	s_cbranch_execz .LBB6_11152
; %bb.11147:                            ;   in Loop: Header=BB6_9656 Depth=2
	v_bfe_u32 v12, v134, 23, 8
	s_delay_alu instid0(VALU_DEP_1) | instskip(SKIP_1) | instid1(VALU_DEP_2)
	v_sub_nc_u32_e32 v144, 0x78, v12
	v_cmp_gt_u32_e32 vcc_lo, 0x79, v12
	v_dual_cndmask_b32 v144, 0, v144 :: v_dual_and_b32 v135, 0x7fffff, v134
	s_delay_alu instid0(VALU_DEP_1) | instskip(SKIP_2) | instid1(VALU_DEP_4)
	v_or_b32_e32 v145, 0x800000, v135
	v_cmp_eq_u32_e32 vcc_lo, 0, v12
	v_add_nc_u32_e32 v12, 0xffffff89, v12
	v_cndmask_b32_e64 v144, v144, 0x77, vcc_lo
	s_delay_alu instid0(VALU_DEP_4) | instskip(NEXT) | instid1(VALU_DEP_3)
	v_cndmask_b32_e32 v135, v145, v135, vcc_lo
	v_cndmask_b32_e64 v12, v12, 0xffffff8a, vcc_lo
	s_delay_alu instid0(VALU_DEP_3) | instskip(NEXT) | instid1(VALU_DEP_3)
	v_lshl_add_u32 v145, 0x100000, v144, -1
	v_lshrrev_b32_e32 v146, v144, v135
	v_lshlrev_b32_e64 v109, v144, 0x80000
	s_delay_alu instid0(VALU_DEP_4) | instskip(NEXT) | instid1(VALU_DEP_4)
	v_add_nc_u32_e32 v144, v144, v12
	v_and_b32_e32 v135, v145, v135
	s_delay_alu instid0(VALU_DEP_4) | instskip(NEXT) | instid1(VALU_DEP_2)
	v_bfe_u32 v108, v146, 20, 1
	v_cmp_eq_u32_e64 s10, v135, v109
	s_delay_alu instid0(VALU_DEP_2) | instskip(NEXT) | instid1(VALU_DEP_1)
	v_add_nc_u32_e32 v145, -1, v108
	v_cndmask_b32_e64 v135, 0, v145, s10
	v_lshrrev_b32_e32 v145, 23, v146
	s_mov_b32 s10, exec_lo
	s_delay_alu instid0(VALU_DEP_2) | instskip(NEXT) | instid1(VALU_DEP_2)
	v_add_nc_u32_e32 v135, v135, v146
	v_xor_b32_e32 v145, 1, v145
	s_delay_alu instid0(VALU_DEP_2) | instskip(NEXT) | instid1(VALU_DEP_1)
	v_and_b32_e32 v12, 0xfffff, v135
	v_add_nc_u32_e32 v135, v12, v146
                                        ; implicit-def: $vgpr12
	s_delay_alu instid0(VALU_DEP_3)
	v_cmpx_ne_u32_e64 v144, v145
	s_xor_b32 s10, exec_lo, s10
; %bb.11148:                            ;   in Loop: Header=BB6_9656 Depth=2
	s_delay_alu instid0(VALU_DEP_2) | instskip(SKIP_2) | instid1(VALU_DEP_2)
	v_cmp_lt_u32_e32 vcc_lo, 0xffffff, v135
	v_sub_nc_u32_e32 v12, v144, v145
	v_cndmask_b32_e64 v144, 0, 1, vcc_lo
	v_add_co_ci_u32_e32 v12, vcc_lo, 0, v12, vcc_lo
	s_delay_alu instid0(VALU_DEP_2)
	v_lshrrev_b32_e32 v135, v144, v135
; %bb.11149:                            ;   in Loop: Header=BB6_9656 Depth=2
	s_and_not1_saveexec_b32 s10, s10
; %bb.11150:                            ;   in Loop: Header=BB6_9656 Depth=2
	s_delay_alu instid0(VALU_DEP_1)
	v_bfe_u32 v12, v135, 23, 1
; %bb.11151:                            ;   in Loop: Header=BB6_9656 Depth=2
	s_or_b32 exec_lo, exec_lo, s10
	v_lshrrev_b32_e32 v135, 20, v135
	s_delay_alu instid0(VALU_DEP_2) | instskip(SKIP_3) | instid1(VALU_DEP_3)
	v_cmp_gt_i32_e32 vcc_lo, 16, v12
	v_lshrrev_b32_e32 v134, 24, v134
	v_min_i32_e32 v144, 15, v12
	v_dual_mov_b32 v172, v41 :: v_dual_mov_b32 v173, v40
	v_dual_cndmask_b32 v135, 7, v135 :: v_dual_and_b32 v134, 0x80, v134
	s_delay_alu instid0(VALU_DEP_3) | instskip(SKIP_1) | instid1(VALU_DEP_3)
	v_dual_mov_b32 v171, v84 :: v_dual_lshlrev_b32 v144, 3, v144
	v_dual_mov_b32 v174, v92 :: v_dual_mov_b32 v175, v93
	v_or_b32_e32 v12, v12, v135
	v_dual_mov_b32 v184, v94 :: v_dual_mov_b32 v185, v95
	v_dual_mov_b32 v187, v104 :: v_dual_mov_b32 v186, v106
	s_delay_alu instid0(VALU_DEP_3) | instskip(SKIP_3) | instid1(VALU_DEP_3)
	v_cmp_ne_u32_e32 vcc_lo, 0, v12
	v_and_b32_e32 v145, 7, v135
	v_dual_mov_b32 v189, v105 :: v_dual_mov_b32 v188, v107
	v_dual_mov_b32 v108, v158 :: v_dual_mov_b32 v109, v83
	v_or3_b32 v134, v144, v134, v145
	v_dual_mov_b32 v190, v110 :: v_dual_mov_b32 v121, v96
	v_dual_mov_b32 v111, v86 :: v_dual_mov_b32 v120, v87
	s_delay_alu instid0(VALU_DEP_3)
	v_cndmask_b32_e32 v12, 0, v134, vcc_lo
	v_dual_mov_b32 v122, v82 :: v_dual_mov_b32 v123, v97
	v_dual_mov_b32 v124, v99 :: v_dual_mov_b32 v125, v100
	v_dual_mov_b32 v126, v101 :: v_dual_mov_b32 v127, v102
	v_dual_mov_b32 v136, v112 :: v_dual_mov_b32 v137, v114
	v_dual_mov_b32 v138, v103 :: v_dual_mov_b32 v139, v113
	v_dual_mov_b32 v140, v116 :: v_dual_mov_b32 v141, v117
	v_dual_mov_b32 v142, v115 :: v_dual_mov_b32 v143, v118
	v_dual_mov_b32 v152, v119 :: v_dual_mov_b32 v153, v128
	v_dual_mov_b32 v154, v66 :: v_dual_mov_b32 v155, v129
	v_dual_mov_b32 v156, v130 :: v_dual_mov_b32 v157, v131
.LBB6_11152:                            ;   in Loop: Header=BB6_9656 Depth=2
	s_or_b32 exec_lo, exec_lo, s24
.LBB6_11153:                            ;   in Loop: Header=BB6_9656 Depth=2
	s_delay_alu instid0(SALU_CYCLE_1) | instskip(SKIP_3) | instid1(VALU_DEP_1)
	s_or_b32 exec_lo, exec_lo, s23
	v_and_b32_e32 v135, 0xff, v13
	s_mov_b32 s10, 0
	s_mov_b32 s24, exec_lo
                                        ; implicit-def: $sgpr23
	v_cmpx_lt_i16_e64 0x7f, v135
	s_xor_b32 s24, exec_lo, s24
	s_cbranch_execnz .LBB6_11695
; %bb.11154:                            ;   in Loop: Header=BB6_9656 Depth=2
	s_or_saveexec_b32 s24, s24
	v_mov_b32_e32 v134, s23
	s_xor_b32 exec_lo, exec_lo, s24
	s_cbranch_execnz .LBB6_11698
.LBB6_11155:                            ;   in Loop: Header=BB6_9656 Depth=2
	s_or_b32 exec_lo, exec_lo, s24
	s_and_saveexec_b32 s23, s10
	s_cbranch_execz .LBB6_11157
.LBB6_11156:                            ;   in Loop: Header=BB6_9656 Depth=2
	v_bfe_u32 v145, v13, 3, 4
	v_lshlrev_b32_e32 v146, 24, v13
	s_delay_alu instid0(VALU_DEP_2) | instskip(SKIP_1) | instid1(VALU_DEP_1)
	v_cmp_eq_u32_e32 vcc_lo, 0, v145
	v_and_b32_e32 v134, 7, v13
	v_clz_i32_u32_e32 v135, v134
	s_delay_alu instid0(VALU_DEP_1) | instskip(NEXT) | instid1(VALU_DEP_1)
	v_min_u32_e32 v135, 32, v135
	v_subrev_nc_u32_e32 v144, 28, v135
	v_sub_nc_u32_e32 v135, 29, v135
	s_delay_alu instid0(VALU_DEP_1) | instskip(NEXT) | instid1(VALU_DEP_1)
	v_dual_cndmask_b32 v135, v145, v135 :: v_dual_lshlrev_b32 v144, v144, v13
	v_and_b32_e32 v144, 7, v144
	s_delay_alu instid0(VALU_DEP_2) | instskip(NEXT) | instid1(VALU_DEP_2)
	v_lshl_add_u32 v135, v135, 23, 0x3b800000
	v_cndmask_b32_e32 v134, v134, v144, vcc_lo
	v_and_b32_e32 v144, 0x80000000, v146
	s_delay_alu instid0(VALU_DEP_2) | instskip(NEXT) | instid1(VALU_DEP_1)
	v_lshlrev_b32_e32 v134, 20, v134
	v_or3_b32 v134, v144, v135, v134
.LBB6_11157:                            ;   in Loop: Header=BB6_9656 Depth=2
	s_or_b32 exec_lo, exec_lo, s23
	s_delay_alu instid0(VALU_DEP_1) | instskip(NEXT) | instid1(VALU_DEP_1)
	v_mul_f32_e32 v135, s22, v134
	v_and_b32_e32 v134, 0x7f800000, v135
	s_delay_alu instid0(VALU_DEP_1)
	v_cmp_ne_u32_e32 vcc_lo, 0x7f800000, v134
	v_mov_b32_e32 v134, 0x80
	s_and_saveexec_b32 s23, vcc_lo
	s_cbranch_execz .LBB6_11165
; %bb.11158:                            ;   in Loop: Header=BB6_9656 Depth=2
	v_mov_b32_e32 v134, 0
	s_mov_b32 s24, exec_lo
	v_cmpx_ne_u32_e32 0, v135
	s_cbranch_execz .LBB6_11164
; %bb.11159:                            ;   in Loop: Header=BB6_9656 Depth=2
	v_bfe_u32 v134, v135, 23, 8
	s_delay_alu instid0(VALU_DEP_1) | instskip(SKIP_1) | instid1(VALU_DEP_2)
	v_sub_nc_u32_e32 v145, 0x78, v134
	v_cmp_gt_u32_e32 vcc_lo, 0x79, v134
	v_dual_cndmask_b32 v145, 0, v145 :: v_dual_and_b32 v144, 0x7fffff, v135
	s_delay_alu instid0(VALU_DEP_1) | instskip(SKIP_2) | instid1(VALU_DEP_4)
	v_or_b32_e32 v146, 0x800000, v144
	v_cmp_eq_u32_e32 vcc_lo, 0, v134
	v_add_nc_u32_e32 v134, 0xffffff89, v134
	v_cndmask_b32_e64 v145, v145, 0x77, vcc_lo
	s_delay_alu instid0(VALU_DEP_2) | instskip(SKIP_1) | instid1(VALU_DEP_3)
	v_cndmask_b32_e64 v134, v134, 0xffffff8a, vcc_lo
	v_cndmask_b32_e32 v144, v146, v144, vcc_lo
	v_lshl_add_u32 v146, 0x100000, v145, -1
	v_lshlrev_b32_e64 v111, v145, 0x80000
	s_delay_alu instid0(VALU_DEP_3) | instskip(SKIP_1) | instid1(VALU_DEP_4)
	v_lshrrev_b32_e32 v108, v145, v144
	v_add_nc_u32_e32 v145, v145, v134
	v_and_b32_e32 v144, v146, v144
	s_delay_alu instid0(VALU_DEP_3) | instskip(NEXT) | instid1(VALU_DEP_2)
	v_bfe_u32 v109, v108, 20, 1
	v_cmp_eq_u32_e64 s10, v144, v111
	s_delay_alu instid0(VALU_DEP_2) | instskip(NEXT) | instid1(VALU_DEP_1)
	v_add_nc_u32_e32 v146, -1, v109
	v_cndmask_b32_e64 v144, 0, v146, s10
	v_lshrrev_b32_e32 v146, 23, v108
	s_mov_b32 s10, exec_lo
	s_delay_alu instid0(VALU_DEP_2) | instskip(NEXT) | instid1(VALU_DEP_2)
	v_add_nc_u32_e32 v144, v144, v108
	v_xor_b32_e32 v146, 1, v146
	s_delay_alu instid0(VALU_DEP_2) | instskip(NEXT) | instid1(VALU_DEP_1)
	v_and_b32_e32 v134, 0xfffff, v144
	v_add_nc_u32_e32 v144, v134, v108
                                        ; implicit-def: $vgpr134
	s_delay_alu instid0(VALU_DEP_3)
	v_cmpx_ne_u32_e64 v145, v146
	s_xor_b32 s10, exec_lo, s10
; %bb.11160:                            ;   in Loop: Header=BB6_9656 Depth=2
	s_delay_alu instid0(VALU_DEP_2) | instskip(SKIP_2) | instid1(VALU_DEP_2)
	v_cmp_lt_u32_e32 vcc_lo, 0xffffff, v144
	v_sub_nc_u32_e32 v134, v145, v146
	v_cndmask_b32_e64 v145, 0, 1, vcc_lo
	v_add_co_ci_u32_e32 v134, vcc_lo, 0, v134, vcc_lo
	s_delay_alu instid0(VALU_DEP_2)
	v_lshrrev_b32_e32 v144, v145, v144
; %bb.11161:                            ;   in Loop: Header=BB6_9656 Depth=2
	s_and_not1_saveexec_b32 s10, s10
; %bb.11162:                            ;   in Loop: Header=BB6_9656 Depth=2
	s_delay_alu instid0(VALU_DEP_1)
	v_bfe_u32 v134, v144, 23, 1
; %bb.11163:                            ;   in Loop: Header=BB6_9656 Depth=2
	s_or_b32 exec_lo, exec_lo, s10
	v_lshrrev_b32_e32 v144, 20, v144
	s_delay_alu instid0(VALU_DEP_2) | instskip(SKIP_3) | instid1(VALU_DEP_3)
	v_cmp_gt_i32_e32 vcc_lo, 16, v134
	v_min_i32_e32 v145, 15, v134
	v_lshrrev_b32_e32 v135, 24, v135
	v_dual_mov_b32 v173, v40 :: v_dual_mov_b32 v184, v94
	v_dual_cndmask_b32 v144, 7, v144 :: v_dual_lshlrev_b32 v145, 3, v145
	s_delay_alu instid0(VALU_DEP_3) | instskip(SKIP_1) | instid1(VALU_DEP_3)
	v_dual_mov_b32 v172, v41 :: v_dual_and_b32 v135, 0x80, v135
	v_mov_b32_e32 v171, v84
	v_or_b32_e32 v134, v134, v144
	v_and_b32_e32 v146, 7, v144
	v_dual_mov_b32 v174, v92 :: v_dual_mov_b32 v175, v93
	v_dual_mov_b32 v185, v95 :: v_dual_mov_b32 v186, v106
	s_delay_alu instid0(VALU_DEP_4) | instskip(SKIP_3) | instid1(VALU_DEP_3)
	v_cmp_ne_u32_e32 vcc_lo, 0, v134
	v_and_b32_e32 v145, 0xf8, v145
	v_dual_mov_b32 v187, v104 :: v_dual_mov_b32 v188, v107
	v_dual_mov_b32 v189, v105 :: v_dual_mov_b32 v108, v158
	v_or3_b32 v135, v145, v135, v146
	v_dual_mov_b32 v109, v83 :: v_dual_mov_b32 v190, v110
	v_dual_mov_b32 v111, v86 :: v_dual_mov_b32 v120, v87
	s_delay_alu instid0(VALU_DEP_3)
	v_dual_cndmask_b32 v134, 0, v135 :: v_dual_mov_b32 v121, v96
	v_dual_mov_b32 v122, v82 :: v_dual_mov_b32 v123, v97
	v_dual_mov_b32 v124, v99 :: v_dual_mov_b32 v125, v100
	;; [unrolled: 1-line block ×10, first 2 shown]
.LBB6_11164:                            ;   in Loop: Header=BB6_9656 Depth=2
	s_or_b32 exec_lo, exec_lo, s24
.LBB6_11165:                            ;   in Loop: Header=BB6_9656 Depth=2
	s_delay_alu instid0(SALU_CYCLE_1) | instskip(SKIP_3) | instid1(VALU_DEP_1)
	s_or_b32 exec_lo, exec_lo, s23
	v_lshrrev_b16 v135, 8, v13
	s_mov_b32 s10, 0
	s_mov_b32 s24, exec_lo
                                        ; implicit-def: $sgpr23
	v_cmpx_lt_i16_e64 0x7f, v135
	s_xor_b32 s24, exec_lo, s24
	s_cbranch_execnz .LBB6_11699
; %bb.11166:                            ;   in Loop: Header=BB6_9656 Depth=2
	s_or_saveexec_b32 s24, s24
	v_mov_b32_e32 v144, s23
	s_xor_b32 exec_lo, exec_lo, s24
	s_cbranch_execnz .LBB6_11702
.LBB6_11167:                            ;   in Loop: Header=BB6_9656 Depth=2
	s_or_b32 exec_lo, exec_lo, s24
	s_and_saveexec_b32 s23, s10
	s_cbranch_execz .LBB6_11169
.LBB6_11168:                            ;   in Loop: Header=BB6_9656 Depth=2
	v_and_b32_e32 v144, 0xffff, v135
	v_lshlrev_b32_e32 v135, 24, v135
	s_delay_alu instid0(VALU_DEP_2) | instskip(NEXT) | instid1(VALU_DEP_2)
	v_and_b32_e32 v145, 7, v144
	v_and_b32_e32 v135, 0x80000000, v135
	s_delay_alu instid0(VALU_DEP_2) | instskip(NEXT) | instid1(VALU_DEP_1)
	v_clz_i32_u32_e32 v146, v145
	v_min_u32_e32 v146, 32, v146
	s_delay_alu instid0(VALU_DEP_1) | instskip(SKIP_1) | instid1(VALU_DEP_2)
	v_subrev_nc_u32_e32 v147, 28, v146
	v_sub_nc_u32_e32 v146, 29, v146
	v_lshlrev_b32_e32 v147, v147, v144
	v_bfe_u32 v144, v144, 3, 4
	s_delay_alu instid0(VALU_DEP_2) | instskip(NEXT) | instid1(VALU_DEP_2)
	v_and_b32_e32 v147, 7, v147
	v_cmp_eq_u32_e32 vcc_lo, 0, v144
	s_delay_alu instid0(VALU_DEP_2) | instskip(NEXT) | instid1(VALU_DEP_1)
	v_dual_cndmask_b32 v144, v144, v146 :: v_dual_cndmask_b32 v145, v145, v147
	v_lshl_add_u32 v144, v144, 23, 0x3b800000
	s_delay_alu instid0(VALU_DEP_2) | instskip(NEXT) | instid1(VALU_DEP_1)
	v_lshlrev_b32_e32 v145, 20, v145
	v_or3_b32 v144, v135, v144, v145
.LBB6_11169:                            ;   in Loop: Header=BB6_9656 Depth=2
	s_or_b32 exec_lo, exec_lo, s23
	s_delay_alu instid0(VALU_DEP_1) | instskip(NEXT) | instid1(VALU_DEP_1)
	v_mul_f32_e32 v144, s22, v144
	v_and_b32_e32 v135, 0x7f800000, v144
	s_delay_alu instid0(VALU_DEP_1)
	v_cmp_ne_u32_e32 vcc_lo, 0x7f800000, v135
	v_mov_b32_e32 v135, 0x8000
	s_and_saveexec_b32 s23, vcc_lo
	s_cbranch_execz .LBB6_11177
; %bb.11170:                            ;   in Loop: Header=BB6_9656 Depth=2
	v_mov_b32_e32 v135, 0
	s_mov_b32 s24, exec_lo
	v_cmpx_ne_u32_e32 0, v144
	s_cbranch_execz .LBB6_11176
; %bb.11171:                            ;   in Loop: Header=BB6_9656 Depth=2
	v_bfe_u32 v135, v144, 23, 8
	s_delay_alu instid0(VALU_DEP_1) | instskip(SKIP_1) | instid1(VALU_DEP_2)
	v_sub_nc_u32_e32 v146, 0x78, v135
	v_cmp_gt_u32_e32 vcc_lo, 0x79, v135
	v_dual_cndmask_b32 v146, 0, v146 :: v_dual_and_b32 v145, 0x7fffff, v144
	s_delay_alu instid0(VALU_DEP_1) | instskip(SKIP_2) | instid1(VALU_DEP_4)
	v_or_b32_e32 v147, 0x800000, v145
	v_cmp_eq_u32_e32 vcc_lo, 0, v135
	v_add_nc_u32_e32 v135, 0xffffff89, v135
	v_cndmask_b32_e64 v146, v146, 0x77, vcc_lo
	s_delay_alu instid0(VALU_DEP_2) | instskip(SKIP_1) | instid1(VALU_DEP_3)
	v_cndmask_b32_e64 v135, v135, 0xffffff8a, vcc_lo
	v_cndmask_b32_e32 v145, v147, v145, vcc_lo
	v_lshl_add_u32 v108, 0x100000, v146, -1
	v_lshlrev_b32_e64 v111, v146, 0x80000
	s_delay_alu instid0(VALU_DEP_3) | instskip(SKIP_1) | instid1(VALU_DEP_4)
	v_lshrrev_b32_e32 v147, v146, v145
	v_add_nc_u32_e32 v146, v146, v135
	v_and_b32_e32 v145, v108, v145
	s_delay_alu instid0(VALU_DEP_3) | instskip(NEXT) | instid1(VALU_DEP_2)
	v_bfe_u32 v109, v147, 20, 1
	v_cmp_eq_u32_e64 s10, v145, v111
	s_delay_alu instid0(VALU_DEP_2) | instskip(NEXT) | instid1(VALU_DEP_1)
	v_add_nc_u32_e32 v108, -1, v109
	v_cndmask_b32_e64 v145, 0, v108, s10
	v_lshrrev_b32_e32 v108, 23, v147
	s_mov_b32 s10, exec_lo
	s_delay_alu instid0(VALU_DEP_2) | instskip(NEXT) | instid1(VALU_DEP_2)
	v_add_nc_u32_e32 v145, v145, v147
	v_xor_b32_e32 v108, 1, v108
	s_delay_alu instid0(VALU_DEP_2) | instskip(NEXT) | instid1(VALU_DEP_1)
	v_and_b32_e32 v135, 0xfffff, v145
	v_add_nc_u32_e32 v145, v135, v147
                                        ; implicit-def: $vgpr135
	s_delay_alu instid0(VALU_DEP_3)
	v_cmpx_ne_u32_e64 v146, v108
	s_xor_b32 s10, exec_lo, s10
; %bb.11172:                            ;   in Loop: Header=BB6_9656 Depth=2
	s_delay_alu instid0(VALU_DEP_2) | instskip(SKIP_2) | instid1(VALU_DEP_2)
	v_cmp_lt_u32_e32 vcc_lo, 0xffffff, v145
	v_sub_nc_u32_e32 v135, v146, v108
	v_cndmask_b32_e64 v146, 0, 1, vcc_lo
	v_add_co_ci_u32_e32 v135, vcc_lo, 0, v135, vcc_lo
	s_delay_alu instid0(VALU_DEP_2)
	v_lshrrev_b32_e32 v145, v146, v145
; %bb.11173:                            ;   in Loop: Header=BB6_9656 Depth=2
	s_and_not1_saveexec_b32 s10, s10
; %bb.11174:                            ;   in Loop: Header=BB6_9656 Depth=2
	s_delay_alu instid0(VALU_DEP_1)
	v_bfe_u32 v135, v145, 23, 1
; %bb.11175:                            ;   in Loop: Header=BB6_9656 Depth=2
	s_or_b32 exec_lo, exec_lo, s10
	v_lshrrev_b32_e32 v145, 20, v145
	s_delay_alu instid0(VALU_DEP_2) | instskip(SKIP_3) | instid1(VALU_DEP_3)
	v_cmp_gt_i32_e32 vcc_lo, 16, v135
	v_min_i32_e32 v146, 15, v135
	v_lshrrev_b32_e32 v144, 24, v144
	v_dual_mov_b32 v174, v92 :: v_dual_mov_b32 v175, v93
	v_dual_cndmask_b32 v145, 7, v145 :: v_dual_lshlrev_b32 v146, 3, v146
	s_delay_alu instid0(VALU_DEP_3) | instskip(SKIP_1) | instid1(VALU_DEP_3)
	v_dual_mov_b32 v171, v84 :: v_dual_and_b32 v144, 0x80, v144
	v_mov_b32_e32 v172, v41
	v_or_b32_e32 v135, v135, v145
	v_dual_mov_b32 v184, v94 :: v_dual_and_b32 v147, 7, v145
	v_mov_b32_e32 v185, v95
	v_dual_mov_b32 v187, v104 :: v_dual_mov_b32 v186, v106
	s_delay_alu instid0(VALU_DEP_4) | instskip(SKIP_3) | instid1(VALU_DEP_3)
	v_cmp_ne_u32_e32 vcc_lo, 0, v135
	v_dual_mov_b32 v189, v105 :: v_dual_and_b32 v146, 0xf8, v146
	v_mov_b32_e32 v188, v107
	v_dual_mov_b32 v108, v158 :: v_dual_mov_b32 v109, v83
	v_or3_b32 v144, v144, v146, v147
	v_dual_mov_b32 v190, v110 :: v_dual_mov_b32 v121, v96
	v_mov_b32_e32 v173, v40
	v_dual_mov_b32 v111, v86 :: v_dual_mov_b32 v120, v87
	s_delay_alu instid0(VALU_DEP_4) | instskip(SKIP_2) | instid1(VALU_DEP_3)
	v_lshlrev_b32_e32 v144, 8, v144
	v_dual_mov_b32 v122, v82 :: v_dual_mov_b32 v123, v97
	v_dual_mov_b32 v124, v99 :: v_dual_mov_b32 v125, v100
	v_dual_cndmask_b32 v135, 0, v144 :: v_dual_mov_b32 v126, v101
	v_dual_mov_b32 v127, v102 :: v_dual_mov_b32 v136, v112
	v_dual_mov_b32 v137, v114 :: v_dual_mov_b32 v138, v103
	v_dual_mov_b32 v139, v113 :: v_dual_mov_b32 v140, v116
	v_dual_mov_b32 v141, v117 :: v_dual_mov_b32 v142, v115
	v_dual_mov_b32 v143, v118 :: v_dual_mov_b32 v152, v119
	v_dual_mov_b32 v153, v128 :: v_dual_mov_b32 v154, v66
	v_dual_mov_b32 v155, v129 :: v_dual_mov_b32 v156, v130
	v_mov_b32_e32 v157, v131
.LBB6_11176:                            ;   in Loop: Header=BB6_9656 Depth=2
	s_or_b32 exec_lo, exec_lo, s24
.LBB6_11177:                            ;   in Loop: Header=BB6_9656 Depth=2
	s_delay_alu instid0(SALU_CYCLE_1) | instskip(SKIP_3) | instid1(VALU_DEP_1)
	s_or_b32 exec_lo, exec_lo, s23
	v_lshrrev_b32_e32 v144, 16, v13
	s_mov_b32 s10, 0
	s_mov_b32 s24, exec_lo
                                        ; implicit-def: $sgpr23
	v_and_b32_e32 v146, 0xff, v144
	s_delay_alu instid0(VALU_DEP_1)
	v_cmpx_lt_i16_e64 0x7f, v146
	s_xor_b32 s24, exec_lo, s24
	s_cbranch_execnz .LBB6_11703
; %bb.11178:                            ;   in Loop: Header=BB6_9656 Depth=2
	s_or_saveexec_b32 s24, s24
	v_mov_b32_e32 v145, s23
	s_xor_b32 exec_lo, exec_lo, s24
	s_cbranch_execnz .LBB6_11706
.LBB6_11179:                            ;   in Loop: Header=BB6_9656 Depth=2
	s_or_b32 exec_lo, exec_lo, s24
	s_and_saveexec_b32 s23, s10
	s_cbranch_execz .LBB6_11181
.LBB6_11180:                            ;   in Loop: Header=BB6_9656 Depth=2
	v_bfe_u32 v145, v13, 16, 3
	v_lshlrev_b32_e32 v148, 8, v13
	s_delay_alu instid0(VALU_DEP_2) | instskip(NEXT) | instid1(VALU_DEP_1)
	v_clz_i32_u32_e32 v146, v145
	v_min_u32_e32 v146, 32, v146
	s_delay_alu instid0(VALU_DEP_1) | instskip(SKIP_1) | instid1(VALU_DEP_2)
	v_subrev_nc_u32_e32 v147, 28, v146
	v_sub_nc_u32_e32 v146, 29, v146
	v_lshlrev_b32_e32 v144, v147, v144
	v_bfe_u32 v147, v13, 19, 4
	s_delay_alu instid0(VALU_DEP_2) | instskip(NEXT) | instid1(VALU_DEP_2)
	v_and_b32_e32 v144, 7, v144
	v_cmp_eq_u32_e32 vcc_lo, 0, v147
	v_cndmask_b32_e32 v146, v147, v146, vcc_lo
	s_delay_alu instid0(VALU_DEP_3) | instskip(SKIP_1) | instid1(VALU_DEP_3)
	v_cndmask_b32_e32 v144, v145, v144, vcc_lo
	v_and_b32_e32 v145, 0x80000000, v148
	v_lshl_add_u32 v146, v146, 23, 0x3b800000
	s_delay_alu instid0(VALU_DEP_3) | instskip(NEXT) | instid1(VALU_DEP_1)
	v_lshlrev_b32_e32 v144, 20, v144
	v_or3_b32 v145, v145, v146, v144
.LBB6_11181:                            ;   in Loop: Header=BB6_9656 Depth=2
	s_or_b32 exec_lo, exec_lo, s23
	s_delay_alu instid0(VALU_DEP_1) | instskip(NEXT) | instid1(VALU_DEP_1)
	v_mul_f32_e32 v145, s22, v145
	v_and_b32_e32 v144, 0x7f800000, v145
	s_delay_alu instid0(VALU_DEP_1)
	v_cmp_ne_u32_e32 vcc_lo, 0x7f800000, v144
	v_mov_b32_e32 v144, 0x80
	s_and_saveexec_b32 s23, vcc_lo
	s_cbranch_execz .LBB6_11189
; %bb.11182:                            ;   in Loop: Header=BB6_9656 Depth=2
	v_mov_b32_e32 v144, 0
	s_mov_b32 s24, exec_lo
	v_cmpx_ne_u32_e32 0, v145
	s_cbranch_execz .LBB6_11188
; %bb.11183:                            ;   in Loop: Header=BB6_9656 Depth=2
	v_bfe_u32 v146, v145, 23, 8
	v_and_b32_e32 v144, 0x7fffff, v145
                                        ; implicit-def: $vgpr109
	s_delay_alu instid0(VALU_DEP_2) | instskip(SKIP_2) | instid1(VALU_DEP_4)
	v_cmp_gt_u32_e64 s10, 0x79, v146
	v_sub_nc_u32_e32 v147, 0x78, v146
	v_cmp_eq_u32_e32 vcc_lo, 0, v146
	v_or_b32_e32 v148, 0x800000, v144
	v_add_nc_u32_e32 v146, 0xffffff89, v146
	s_delay_alu instid0(VALU_DEP_4) | instskip(NEXT) | instid1(VALU_DEP_3)
	v_cndmask_b32_e64 v147, 0, v147, s10
	v_cndmask_b32_e32 v144, v148, v144, vcc_lo
	s_delay_alu instid0(VALU_DEP_2) | instskip(NEXT) | instid1(VALU_DEP_1)
	v_cndmask_b32_e64 v147, v147, 0x77, vcc_lo
	v_lshl_add_u32 v148, 0x100000, v147, -1
	v_lshlrev_b32_e64 v108, v147, 0x80000
	s_delay_alu instid0(VALU_DEP_2) | instskip(NEXT) | instid1(VALU_DEP_1)
	v_and_b32_e32 v148, v148, v144
	v_cmp_eq_u32_e64 s10, v148, v108
	v_lshrrev_b32_e32 v148, v147, v144
	v_cndmask_b32_e64 v144, v146, 0xffffff8a, vcc_lo
	s_delay_alu instid0(VALU_DEP_2) | instskip(NEXT) | instid1(VALU_DEP_2)
	v_lshrrev_b32_e32 v146, 23, v148
	v_add_nc_u32_e32 v144, v147, v144
	s_delay_alu instid0(VALU_DEP_2) | instskip(SKIP_1) | instid1(VALU_DEP_1)
	v_xor_b32_e32 v108, 1, v146
	v_bfe_u32 v146, v148, 20, 1
	v_add_nc_u32_e32 v146, -1, v146
	s_delay_alu instid0(VALU_DEP_1) | instskip(SKIP_1) | instid1(VALU_DEP_1)
	v_cndmask_b32_e64 v146, 0, v146, s10
	s_mov_b32 s10, exec_lo
	v_add_nc_u32_e32 v146, v146, v148
	s_delay_alu instid0(VALU_DEP_1) | instskip(NEXT) | instid1(VALU_DEP_1)
	v_and_b32_e32 v146, 0xfffff, v146
	v_add_nc_u32_e32 v111, v146, v148
	v_cmpx_ne_u32_e64 v144, v108
	s_xor_b32 s10, exec_lo, s10
; %bb.11184:                            ;   in Loop: Header=BB6_9656 Depth=2
	s_delay_alu instid0(VALU_DEP_2) | instskip(SKIP_2) | instid1(VALU_DEP_2)
	v_cmp_lt_u32_e32 vcc_lo, 0xffffff, v111
	v_sub_nc_u32_e32 v144, v144, v108
	v_cndmask_b32_e64 v146, 0, 1, vcc_lo
	v_add_co_ci_u32_e32 v109, vcc_lo, 0, v144, vcc_lo
	s_delay_alu instid0(VALU_DEP_2)
	v_lshrrev_b32_e32 v111, v146, v111
; %bb.11185:                            ;   in Loop: Header=BB6_9656 Depth=2
	s_and_not1_saveexec_b32 s10, s10
; %bb.11186:                            ;   in Loop: Header=BB6_9656 Depth=2
	s_delay_alu instid0(VALU_DEP_1)
	v_bfe_u32 v109, v111, 23, 1
; %bb.11187:                            ;   in Loop: Header=BB6_9656 Depth=2
	s_or_b32 exec_lo, exec_lo, s10
	v_lshrrev_b32_e32 v144, 20, v111
	s_delay_alu instid0(VALU_DEP_2) | instskip(SKIP_3) | instid1(VALU_DEP_4)
	v_min_i32_e32 v146, 15, v109
	v_cmp_gt_i32_e32 vcc_lo, 16, v109
	v_lshrrev_b32_e32 v145, 24, v145
	v_dual_mov_b32 v172, v41 :: v_dual_mov_b32 v185, v95
	v_dual_mov_b32 v171, v84 :: v_dual_lshlrev_b32 v146, 3, v146
	s_delay_alu instid0(VALU_DEP_3) | instskip(NEXT) | instid1(VALU_DEP_2)
	v_dual_cndmask_b32 v144, 7, v144 :: v_dual_and_b32 v145, 0x80, v145
	v_dual_mov_b32 v173, v40 :: v_dual_and_b32 v146, 0xf8, v146
	v_dual_mov_b32 v174, v92 :: v_dual_mov_b32 v175, v93
	s_delay_alu instid0(VALU_DEP_3) | instskip(SKIP_3) | instid1(VALU_DEP_4)
	v_and_b32_e32 v147, 7, v144
	v_or_b32_e32 v144, v109, v144
	v_dual_mov_b32 v184, v94 :: v_dual_mov_b32 v187, v104
	v_dual_mov_b32 v189, v105 :: v_dual_mov_b32 v186, v106
	v_or3_b32 v145, v146, v145, v147
	s_delay_alu instid0(VALU_DEP_4) | instskip(SKIP_2) | instid1(VALU_DEP_4)
	v_cmp_ne_u32_e32 vcc_lo, 0, v144
	v_dual_mov_b32 v188, v107 :: v_dual_mov_b32 v111, v86
	v_dual_mov_b32 v108, v158 :: v_dual_mov_b32 v109, v83
	v_cndmask_b32_e32 v144, 0, v145, vcc_lo
	v_dual_mov_b32 v190, v110 :: v_dual_mov_b32 v121, v96
	v_dual_mov_b32 v120, v87 :: v_dual_mov_b32 v123, v97
	;; [unrolled: 1-line block ×11, first 2 shown]
	v_mov_b32_e32 v156, v130
.LBB6_11188:                            ;   in Loop: Header=BB6_9656 Depth=2
	s_or_b32 exec_lo, exec_lo, s24
.LBB6_11189:                            ;   in Loop: Header=BB6_9656 Depth=2
	s_delay_alu instid0(SALU_CYCLE_1) | instskip(SKIP_3) | instid1(VALU_DEP_1)
	s_or_b32 exec_lo, exec_lo, s23
	v_lshrrev_b32_e32 v145, 24, v13
	s_mov_b32 s10, 0
	s_mov_b32 s24, exec_lo
                                        ; implicit-def: $sgpr23
	v_cmpx_lt_i16_e64 0x7f, v145
	s_xor_b32 s24, exec_lo, s24
	s_cbranch_execnz .LBB6_11707
; %bb.11190:                            ;   in Loop: Header=BB6_9656 Depth=2
	s_or_saveexec_b32 s24, s24
	v_mov_b32_e32 v146, s23
	s_xor_b32 exec_lo, exec_lo, s24
	s_cbranch_execnz .LBB6_11710
.LBB6_11191:                            ;   in Loop: Header=BB6_9656 Depth=2
	s_or_b32 exec_lo, exec_lo, s24
	s_and_saveexec_b32 s23, s10
	s_cbranch_execz .LBB6_11193
.LBB6_11192:                            ;   in Loop: Header=BB6_9656 Depth=2
	v_bfe_u32 v146, v13, 24, 3
	s_delay_alu instid0(VALU_DEP_1) | instskip(NEXT) | instid1(VALU_DEP_1)
	v_clz_i32_u32_e32 v147, v146
	v_min_u32_e32 v147, 32, v147
	s_delay_alu instid0(VALU_DEP_1) | instskip(SKIP_1) | instid1(VALU_DEP_2)
	v_subrev_nc_u32_e32 v148, 28, v147
	v_sub_nc_u32_e32 v147, 29, v147
	v_lshlrev_b32_e32 v145, v148, v145
	v_bfe_u32 v148, v13, 27, 4
	v_and_b32_e32 v13, 0x80000000, v13
	s_delay_alu instid0(VALU_DEP_3) | instskip(NEXT) | instid1(VALU_DEP_3)
	v_and_b32_e32 v145, 7, v145
	v_cmp_eq_u32_e32 vcc_lo, 0, v148
	v_cndmask_b32_e32 v147, v148, v147, vcc_lo
	s_delay_alu instid0(VALU_DEP_3) | instskip(NEXT) | instid1(VALU_DEP_2)
	v_cndmask_b32_e32 v145, v146, v145, vcc_lo
	v_lshl_add_u32 v146, v147, 23, 0x3b800000
	s_delay_alu instid0(VALU_DEP_2) | instskip(NEXT) | instid1(VALU_DEP_1)
	v_lshlrev_b32_e32 v145, 20, v145
	v_or3_b32 v146, v13, v146, v145
.LBB6_11193:                            ;   in Loop: Header=BB6_9656 Depth=2
	s_or_b32 exec_lo, exec_lo, s23
	s_delay_alu instid0(VALU_DEP_1) | instskip(NEXT) | instid1(VALU_DEP_1)
	v_mul_f32_e32 v145, s22, v146
	v_and_b32_e32 v13, 0x7f800000, v145
	s_delay_alu instid0(VALU_DEP_1)
	v_cmp_ne_u32_e32 vcc_lo, 0x7f800000, v13
	v_mov_b32_e32 v13, 0x8000
	s_and_saveexec_b32 s22, vcc_lo
	s_cbranch_execz .LBB6_9655
; %bb.11194:                            ;   in Loop: Header=BB6_9656 Depth=2
	v_mov_b32_e32 v13, 0
	s_mov_b32 s23, exec_lo
	v_cmpx_ne_u32_e32 0, v145
	s_cbranch_execz .LBB6_9654
; %bb.11195:                            ;   in Loop: Header=BB6_9656 Depth=2
	v_bfe_u32 v146, v145, 23, 8
	v_and_b32_e32 v13, 0x7fffff, v145
                                        ; implicit-def: $vgpr109
	s_delay_alu instid0(VALU_DEP_2) | instskip(SKIP_2) | instid1(VALU_DEP_4)
	v_cmp_gt_u32_e64 s10, 0x79, v146
	v_sub_nc_u32_e32 v147, 0x78, v146
	v_cmp_eq_u32_e32 vcc_lo, 0, v146
	v_or_b32_e32 v148, 0x800000, v13
	v_add_nc_u32_e32 v146, 0xffffff89, v146
	s_delay_alu instid0(VALU_DEP_4) | instskip(NEXT) | instid1(VALU_DEP_3)
	v_cndmask_b32_e64 v147, 0, v147, s10
	v_cndmask_b32_e32 v13, v148, v13, vcc_lo
	s_delay_alu instid0(VALU_DEP_2) | instskip(NEXT) | instid1(VALU_DEP_1)
	v_cndmask_b32_e64 v147, v147, 0x77, vcc_lo
	v_lshl_add_u32 v148, 0x100000, v147, -1
	v_lshlrev_b32_e64 v108, v147, 0x80000
	s_delay_alu instid0(VALU_DEP_2) | instskip(NEXT) | instid1(VALU_DEP_1)
	v_and_b32_e32 v148, v148, v13
	v_cmp_eq_u32_e64 s10, v148, v108
	v_lshrrev_b32_e32 v148, v147, v13
	v_cndmask_b32_e64 v13, v146, 0xffffff8a, vcc_lo
	s_delay_alu instid0(VALU_DEP_2) | instskip(NEXT) | instid1(VALU_DEP_2)
	v_lshrrev_b32_e32 v146, 23, v148
	v_add_nc_u32_e32 v13, v147, v13
	s_delay_alu instid0(VALU_DEP_2) | instskip(SKIP_1) | instid1(VALU_DEP_1)
	v_xor_b32_e32 v108, 1, v146
	v_bfe_u32 v146, v148, 20, 1
	v_add_nc_u32_e32 v146, -1, v146
	s_delay_alu instid0(VALU_DEP_1) | instskip(SKIP_1) | instid1(VALU_DEP_1)
	v_cndmask_b32_e64 v146, 0, v146, s10
	s_mov_b32 s10, exec_lo
	v_add_nc_u32_e32 v146, v146, v148
	s_delay_alu instid0(VALU_DEP_1) | instskip(NEXT) | instid1(VALU_DEP_1)
	v_and_b32_e32 v146, 0xfffff, v146
	v_add_nc_u32_e32 v111, v146, v148
	v_cmpx_ne_u32_e64 v13, v108
	s_xor_b32 s10, exec_lo, s10
; %bb.11196:                            ;   in Loop: Header=BB6_9656 Depth=2
	s_delay_alu instid0(VALU_DEP_2) | instskip(SKIP_2) | instid1(VALU_DEP_2)
	v_cmp_lt_u32_e32 vcc_lo, 0xffffff, v111
	v_sub_nc_u32_e32 v13, v13, v108
	v_cndmask_b32_e64 v146, 0, 1, vcc_lo
	v_add_co_ci_u32_e32 v109, vcc_lo, 0, v13, vcc_lo
	s_delay_alu instid0(VALU_DEP_2)
	v_lshrrev_b32_e32 v111, v146, v111
; %bb.11197:                            ;   in Loop: Header=BB6_9656 Depth=2
	s_and_not1_saveexec_b32 s10, s10
	s_cbranch_execz .LBB6_9653
; %bb.11198:                            ;   in Loop: Header=BB6_9656 Depth=2
	s_delay_alu instid0(VALU_DEP_1)
	v_bfe_u32 v109, v111, 23, 1
	s_branch .LBB6_9653
.LBB6_11199:                            ;   in Loop: Header=BB6_9656 Depth=2
	s_mov_b32 s10, -1
	s_mov_b32 s25, exec_lo
                                        ; implicit-def: $sgpr23
	v_cmpx_eq_u16_e32 0x80, v82
; %bb.11200:                            ;   in Loop: Header=BB6_9656 Depth=2
	s_mov_b32 s23, 0x7f800001
	s_xor_b32 s10, exec_lo, -1
; %bb.11201:                            ;   in Loop: Header=BB6_9656 Depth=2
	s_or_b32 exec_lo, exec_lo, s25
	s_delay_alu instid0(SALU_CYCLE_1)
	s_and_b32 s10, s10, exec_lo
                                        ; implicit-def: $vgpr82
	s_or_saveexec_b32 s24, s24
	v_mov_b32_e32 v66, s23
	s_xor_b32 exec_lo, exec_lo, s24
	s_cbranch_execz .LBB6_9667
.LBB6_11202:                            ;   in Loop: Header=BB6_9656 Depth=2
	v_cmp_ne_u16_e32 vcc_lo, 0, v82
	v_mov_b32_e32 v66, 0
	s_and_not1_b32 s10, s10, exec_lo
	s_and_b32 s23, vcc_lo, exec_lo
	s_delay_alu instid0(SALU_CYCLE_1)
	s_or_b32 s10, s10, s23
	s_or_b32 exec_lo, exec_lo, s24
	s_and_saveexec_b32 s23, s10
	s_cbranch_execnz .LBB6_9668
	s_branch .LBB6_9669
.LBB6_11203:                            ;   in Loop: Header=BB6_9656 Depth=2
	s_mov_b32 s10, -1
	s_mov_b32 s25, exec_lo
                                        ; implicit-def: $sgpr23
	v_cmpx_eq_u16_e32 0x80, v66
; %bb.11204:                            ;   in Loop: Header=BB6_9656 Depth=2
	s_mov_b32 s23, 0x7f800001
	s_xor_b32 s10, exec_lo, -1
; %bb.11205:                            ;   in Loop: Header=BB6_9656 Depth=2
	s_or_b32 exec_lo, exec_lo, s25
	s_delay_alu instid0(SALU_CYCLE_1)
	s_and_b32 s10, s10, exec_lo
	s_or_saveexec_b32 s24, s24
	v_mov_b32_e32 v82, s23
	s_xor_b32 exec_lo, exec_lo, s24
	s_cbranch_execz .LBB6_9679
.LBB6_11206:                            ;   in Loop: Header=BB6_9656 Depth=2
	v_cmp_ne_u16_e32 vcc_lo, 0, v66
	v_mov_b32_e32 v82, 0
	s_and_not1_b32 s10, s10, exec_lo
	s_and_b32 s23, vcc_lo, exec_lo
	s_delay_alu instid0(SALU_CYCLE_1)
	s_or_b32 s10, s10, s23
	s_or_b32 exec_lo, exec_lo, s24
	s_and_saveexec_b32 s23, s10
	s_cbranch_execnz .LBB6_9680
	s_branch .LBB6_9681
.LBB6_11207:                            ;   in Loop: Header=BB6_9656 Depth=2
	s_mov_b32 s10, -1
	s_mov_b32 s25, exec_lo
                                        ; implicit-def: $sgpr23
	v_cmpx_eq_u16_e32 0x80, v83
; %bb.11208:                            ;   in Loop: Header=BB6_9656 Depth=2
	s_mov_b32 s23, 0x7f800001
	s_xor_b32 s10, exec_lo, -1
; %bb.11209:                            ;   in Loop: Header=BB6_9656 Depth=2
	s_or_b32 exec_lo, exec_lo, s25
	s_delay_alu instid0(SALU_CYCLE_1)
	s_and_b32 s10, s10, exec_lo
                                        ; implicit-def: $vgpr83
	s_or_saveexec_b32 s24, s24
	v_mov_b32_e32 v82, s23
	s_xor_b32 exec_lo, exec_lo, s24
	s_cbranch_execz .LBB6_9691
.LBB6_11210:                            ;   in Loop: Header=BB6_9656 Depth=2
	v_cmp_ne_u16_e32 vcc_lo, 0, v83
	v_mov_b32_e32 v82, 0
	s_and_not1_b32 s10, s10, exec_lo
	s_and_b32 s23, vcc_lo, exec_lo
	s_delay_alu instid0(SALU_CYCLE_1)
	s_or_b32 s10, s10, s23
	s_or_b32 exec_lo, exec_lo, s24
	s_and_saveexec_b32 s23, s10
	s_cbranch_execnz .LBB6_9692
	s_branch .LBB6_9693
.LBB6_11211:                            ;   in Loop: Header=BB6_9656 Depth=2
	s_mov_b32 s10, -1
	s_mov_b32 s25, exec_lo
                                        ; implicit-def: $sgpr23
	v_cmpx_eq_u16_e32 0x80, v66
; %bb.11212:                            ;   in Loop: Header=BB6_9656 Depth=2
	s_mov_b32 s23, 0x7f800001
	s_xor_b32 s10, exec_lo, -1
; %bb.11213:                            ;   in Loop: Header=BB6_9656 Depth=2
	s_or_b32 exec_lo, exec_lo, s25
	s_delay_alu instid0(SALU_CYCLE_1)
	s_and_b32 s10, s10, exec_lo
	s_or_saveexec_b32 s24, s24
	v_mov_b32_e32 v82, s23
	s_xor_b32 exec_lo, exec_lo, s24
	s_cbranch_execz .LBB6_9703
.LBB6_11214:                            ;   in Loop: Header=BB6_9656 Depth=2
	v_cmp_ne_u16_e32 vcc_lo, 0, v66
	v_mov_b32_e32 v82, 0
	s_and_not1_b32 s10, s10, exec_lo
	s_and_b32 s23, vcc_lo, exec_lo
	s_delay_alu instid0(SALU_CYCLE_1)
	s_or_b32 s10, s10, s23
	s_or_b32 exec_lo, exec_lo, s24
	s_and_saveexec_b32 s23, s10
	s_cbranch_execnz .LBB6_9704
	s_branch .LBB6_9705
.LBB6_11215:                            ;   in Loop: Header=BB6_9656 Depth=2
	s_mov_b32 s10, -1
	s_mov_b32 s25, exec_lo
                                        ; implicit-def: $sgpr23
	v_cmpx_eq_u16_e32 0x80, v66
; %bb.11216:                            ;   in Loop: Header=BB6_9656 Depth=2
	s_mov_b32 s23, 0x7f800001
	s_xor_b32 s10, exec_lo, -1
; %bb.11217:                            ;   in Loop: Header=BB6_9656 Depth=2
	s_or_b32 exec_lo, exec_lo, s25
	s_delay_alu instid0(SALU_CYCLE_1)
	s_and_b32 s10, s10, exec_lo
                                        ; implicit-def: $vgpr66
	s_or_saveexec_b32 s24, s24
	v_mov_b32_e32 v10, s23
	s_xor_b32 exec_lo, exec_lo, s24
	s_cbranch_execz .LBB6_9715
.LBB6_11218:                            ;   in Loop: Header=BB6_9656 Depth=2
	v_cmp_ne_u16_e32 vcc_lo, 0, v66
	v_mov_b32_e32 v10, 0
	s_and_not1_b32 s10, s10, exec_lo
	s_and_b32 s23, vcc_lo, exec_lo
	s_delay_alu instid0(SALU_CYCLE_1)
	s_or_b32 s10, s10, s23
	s_or_b32 exec_lo, exec_lo, s24
	s_and_saveexec_b32 s23, s10
	s_cbranch_execnz .LBB6_9716
	s_branch .LBB6_9717
.LBB6_11219:                            ;   in Loop: Header=BB6_9656 Depth=2
	s_mov_b32 s10, -1
	s_mov_b32 s25, exec_lo
                                        ; implicit-def: $sgpr23
	v_cmpx_eq_u16_e32 0x80, v10
; %bb.11220:                            ;   in Loop: Header=BB6_9656 Depth=2
	s_mov_b32 s23, 0x7f800001
	s_xor_b32 s10, exec_lo, -1
; %bb.11221:                            ;   in Loop: Header=BB6_9656 Depth=2
	s_or_b32 exec_lo, exec_lo, s25
	s_delay_alu instid0(SALU_CYCLE_1)
	s_and_b32 s10, s10, exec_lo
	s_or_saveexec_b32 s24, s24
	v_mov_b32_e32 v66, s23
	s_xor_b32 exec_lo, exec_lo, s24
	s_cbranch_execz .LBB6_9727
.LBB6_11222:                            ;   in Loop: Header=BB6_9656 Depth=2
	v_cmp_ne_u16_e32 vcc_lo, 0, v10
	v_mov_b32_e32 v66, 0
	s_and_not1_b32 s10, s10, exec_lo
	s_and_b32 s23, vcc_lo, exec_lo
	s_delay_alu instid0(SALU_CYCLE_1)
	s_or_b32 s10, s10, s23
	s_or_b32 exec_lo, exec_lo, s24
	s_and_saveexec_b32 s23, s10
	s_cbranch_execnz .LBB6_9728
	s_branch .LBB6_9729
.LBB6_11223:                            ;   in Loop: Header=BB6_9656 Depth=2
	s_mov_b32 s10, -1
	s_mov_b32 s25, exec_lo
                                        ; implicit-def: $sgpr23
	v_cmpx_eq_u16_e32 0x80, v82
; %bb.11224:                            ;   in Loop: Header=BB6_9656 Depth=2
	s_mov_b32 s23, 0x7f800001
	s_xor_b32 s10, exec_lo, -1
; %bb.11225:                            ;   in Loop: Header=BB6_9656 Depth=2
	s_or_b32 exec_lo, exec_lo, s25
	s_delay_alu instid0(SALU_CYCLE_1)
	s_and_b32 s10, s10, exec_lo
                                        ; implicit-def: $vgpr82
	s_or_saveexec_b32 s24, s24
	v_mov_b32_e32 v66, s23
	s_xor_b32 exec_lo, exec_lo, s24
	s_cbranch_execz .LBB6_9739
.LBB6_11226:                            ;   in Loop: Header=BB6_9656 Depth=2
	v_cmp_ne_u16_e32 vcc_lo, 0, v82
	v_mov_b32_e32 v66, 0
	s_and_not1_b32 s10, s10, exec_lo
	s_and_b32 s23, vcc_lo, exec_lo
	s_delay_alu instid0(SALU_CYCLE_1)
	s_or_b32 s10, s10, s23
	s_or_b32 exec_lo, exec_lo, s24
	s_and_saveexec_b32 s23, s10
	s_cbranch_execnz .LBB6_9740
	s_branch .LBB6_9741
.LBB6_11227:                            ;   in Loop: Header=BB6_9656 Depth=2
	s_mov_b32 s10, -1
	s_mov_b32 s25, exec_lo
                                        ; implicit-def: $sgpr23
	v_cmpx_eq_u16_e32 0x80, v10
; %bb.11228:                            ;   in Loop: Header=BB6_9656 Depth=2
	s_mov_b32 s23, 0x7f800001
	s_xor_b32 s10, exec_lo, -1
; %bb.11229:                            ;   in Loop: Header=BB6_9656 Depth=2
	s_or_b32 exec_lo, exec_lo, s25
	s_delay_alu instid0(SALU_CYCLE_1)
	s_and_b32 s10, s10, exec_lo
	s_or_saveexec_b32 s24, s24
	v_mov_b32_e32 v66, s23
	s_xor_b32 exec_lo, exec_lo, s24
	s_cbranch_execz .LBB6_9751
.LBB6_11230:                            ;   in Loop: Header=BB6_9656 Depth=2
	v_cmp_ne_u16_e32 vcc_lo, 0, v10
	v_mov_b32_e32 v66, 0
	s_and_not1_b32 s10, s10, exec_lo
	s_and_b32 s23, vcc_lo, exec_lo
	s_delay_alu instid0(SALU_CYCLE_1)
	s_or_b32 s10, s10, s23
	s_or_b32 exec_lo, exec_lo, s24
	s_and_saveexec_b32 s23, s10
	s_cbranch_execnz .LBB6_9752
	s_branch .LBB6_9753
.LBB6_11231:                            ;   in Loop: Header=BB6_9656 Depth=2
	s_mov_b32 s10, -1
	s_mov_b32 s25, exec_lo
                                        ; implicit-def: $sgpr23
	v_cmpx_eq_u16_e32 0x80, v11
; %bb.11232:                            ;   in Loop: Header=BB6_9656 Depth=2
	s_mov_b32 s23, 0x7f800001
	s_xor_b32 s10, exec_lo, -1
; %bb.11233:                            ;   in Loop: Header=BB6_9656 Depth=2
	s_or_b32 exec_lo, exec_lo, s25
	s_delay_alu instid0(SALU_CYCLE_1)
	s_and_b32 s10, s10, exec_lo
                                        ; implicit-def: $vgpr11
	s_or_saveexec_b32 s24, s24
	v_mov_b32_e32 v10, s23
	s_xor_b32 exec_lo, exec_lo, s24
	s_cbranch_execz .LBB6_9763
.LBB6_11234:                            ;   in Loop: Header=BB6_9656 Depth=2
	v_cmp_ne_u16_e32 vcc_lo, 0, v11
	v_mov_b32_e32 v10, 0
	s_and_not1_b32 s10, s10, exec_lo
	s_and_b32 s23, vcc_lo, exec_lo
	s_delay_alu instid0(SALU_CYCLE_1)
	s_or_b32 s10, s10, s23
	s_or_b32 exec_lo, exec_lo, s24
	s_and_saveexec_b32 s23, s10
	s_cbranch_execnz .LBB6_9764
	s_branch .LBB6_9765
.LBB6_11235:                            ;   in Loop: Header=BB6_9656 Depth=2
	s_mov_b32 s10, -1
	s_mov_b32 s25, exec_lo
                                        ; implicit-def: $sgpr23
	v_cmpx_eq_u16_e32 0x80, v10
; %bb.11236:                            ;   in Loop: Header=BB6_9656 Depth=2
	s_mov_b32 s23, 0x7f800001
	s_xor_b32 s10, exec_lo, -1
; %bb.11237:                            ;   in Loop: Header=BB6_9656 Depth=2
	s_or_b32 exec_lo, exec_lo, s25
	s_delay_alu instid0(SALU_CYCLE_1)
	s_and_b32 s10, s10, exec_lo
	s_or_saveexec_b32 s24, s24
	v_mov_b32_e32 v11, s23
	s_xor_b32 exec_lo, exec_lo, s24
	s_cbranch_execz .LBB6_9775
.LBB6_11238:                            ;   in Loop: Header=BB6_9656 Depth=2
	v_cmp_ne_u16_e32 vcc_lo, 0, v10
	v_mov_b32_e32 v11, 0
	s_and_not1_b32 s10, s10, exec_lo
	s_and_b32 s23, vcc_lo, exec_lo
	s_delay_alu instid0(SALU_CYCLE_1)
	s_or_b32 s10, s10, s23
	s_or_b32 exec_lo, exec_lo, s24
	s_and_saveexec_b32 s23, s10
	s_cbranch_execnz .LBB6_9776
	s_branch .LBB6_9777
.LBB6_11239:                            ;   in Loop: Header=BB6_9656 Depth=2
	s_mov_b32 s10, -1
	s_mov_b32 s25, exec_lo
                                        ; implicit-def: $sgpr23
	v_cmpx_eq_u16_e32 0x80, v66
; %bb.11240:                            ;   in Loop: Header=BB6_9656 Depth=2
	s_mov_b32 s23, 0x7f800001
	s_xor_b32 s10, exec_lo, -1
; %bb.11241:                            ;   in Loop: Header=BB6_9656 Depth=2
	s_or_b32 exec_lo, exec_lo, s25
	s_delay_alu instid0(SALU_CYCLE_1)
	s_and_b32 s10, s10, exec_lo
                                        ; implicit-def: $vgpr66
	s_or_saveexec_b32 s24, s24
	v_mov_b32_e32 v11, s23
	s_xor_b32 exec_lo, exec_lo, s24
	s_cbranch_execz .LBB6_9787
.LBB6_11242:                            ;   in Loop: Header=BB6_9656 Depth=2
	v_cmp_ne_u16_e32 vcc_lo, 0, v66
	v_mov_b32_e32 v11, 0
	s_and_not1_b32 s10, s10, exec_lo
	s_and_b32 s23, vcc_lo, exec_lo
	s_delay_alu instid0(SALU_CYCLE_1)
	s_or_b32 s10, s10, s23
	s_or_b32 exec_lo, exec_lo, s24
	s_and_saveexec_b32 s23, s10
	s_cbranch_execnz .LBB6_9788
	s_branch .LBB6_9789
.LBB6_11243:                            ;   in Loop: Header=BB6_9656 Depth=2
	s_mov_b32 s10, -1
	s_mov_b32 s25, exec_lo
                                        ; implicit-def: $sgpr23
	v_cmpx_eq_u16_e32 0x80, v10
; %bb.11244:                            ;   in Loop: Header=BB6_9656 Depth=2
	s_mov_b32 s23, 0x7f800001
	s_xor_b32 s10, exec_lo, -1
; %bb.11245:                            ;   in Loop: Header=BB6_9656 Depth=2
	s_or_b32 exec_lo, exec_lo, s25
	s_delay_alu instid0(SALU_CYCLE_1)
	s_and_b32 s10, s10, exec_lo
	s_or_saveexec_b32 s24, s24
	v_mov_b32_e32 v11, s23
	s_xor_b32 exec_lo, exec_lo, s24
	s_cbranch_execz .LBB6_9799
.LBB6_11246:                            ;   in Loop: Header=BB6_9656 Depth=2
	v_cmp_ne_u16_e32 vcc_lo, 0, v10
	v_mov_b32_e32 v11, 0
	s_and_not1_b32 s10, s10, exec_lo
	s_and_b32 s23, vcc_lo, exec_lo
	s_delay_alu instid0(SALU_CYCLE_1)
	s_or_b32 s10, s10, s23
	s_or_b32 exec_lo, exec_lo, s24
	s_and_saveexec_b32 s23, s10
	s_cbranch_execnz .LBB6_9800
	s_branch .LBB6_9801
.LBB6_11247:                            ;   in Loop: Header=BB6_9656 Depth=2
	s_mov_b32 s10, -1
	s_mov_b32 s25, exec_lo
                                        ; implicit-def: $sgpr23
	v_cmpx_eq_u16_e32 0x80, v11
; %bb.11248:                            ;   in Loop: Header=BB6_9656 Depth=2
	s_mov_b32 s23, 0x7f800001
	s_xor_b32 s10, exec_lo, -1
; %bb.11249:                            ;   in Loop: Header=BB6_9656 Depth=2
	s_or_b32 exec_lo, exec_lo, s25
	s_delay_alu instid0(SALU_CYCLE_1)
	s_and_b32 s10, s10, exec_lo
                                        ; implicit-def: $vgpr11
	s_or_saveexec_b32 s24, s24
	v_mov_b32_e32 v10, s23
	s_xor_b32 exec_lo, exec_lo, s24
	s_cbranch_execz .LBB6_9811
.LBB6_11250:                            ;   in Loop: Header=BB6_9656 Depth=2
	v_cmp_ne_u16_e32 vcc_lo, 0, v11
	v_mov_b32_e32 v10, 0
	s_and_not1_b32 s10, s10, exec_lo
	s_and_b32 s23, vcc_lo, exec_lo
	s_delay_alu instid0(SALU_CYCLE_1)
	s_or_b32 s10, s10, s23
	s_or_b32 exec_lo, exec_lo, s24
	s_and_saveexec_b32 s23, s10
	s_cbranch_execnz .LBB6_9812
	s_branch .LBB6_9813
.LBB6_11251:                            ;   in Loop: Header=BB6_9656 Depth=2
	s_mov_b32 s10, -1
	s_mov_b32 s25, exec_lo
                                        ; implicit-def: $sgpr23
	v_cmpx_eq_u16_e32 0x80, v10
; %bb.11252:                            ;   in Loop: Header=BB6_9656 Depth=2
	s_mov_b32 s23, 0x7f800001
	s_xor_b32 s10, exec_lo, -1
; %bb.11253:                            ;   in Loop: Header=BB6_9656 Depth=2
	s_or_b32 exec_lo, exec_lo, s25
	s_delay_alu instid0(SALU_CYCLE_1)
	s_and_b32 s10, s10, exec_lo
	s_or_saveexec_b32 s24, s24
	v_mov_b32_e32 v11, s23
	s_xor_b32 exec_lo, exec_lo, s24
	s_cbranch_execz .LBB6_9823
.LBB6_11254:                            ;   in Loop: Header=BB6_9656 Depth=2
	v_cmp_ne_u16_e32 vcc_lo, 0, v10
	v_mov_b32_e32 v11, 0
	s_and_not1_b32 s10, s10, exec_lo
	s_and_b32 s23, vcc_lo, exec_lo
	s_delay_alu instid0(SALU_CYCLE_1)
	s_or_b32 s10, s10, s23
	s_or_b32 exec_lo, exec_lo, s24
	s_and_saveexec_b32 s23, s10
	s_cbranch_execnz .LBB6_9824
	s_branch .LBB6_9825
.LBB6_11255:                            ;   in Loop: Header=BB6_9656 Depth=2
	s_mov_b32 s10, -1
	s_mov_b32 s25, exec_lo
                                        ; implicit-def: $sgpr23
	v_cmpx_eq_u16_e32 0x80, v12
; %bb.11256:                            ;   in Loop: Header=BB6_9656 Depth=2
	s_mov_b32 s23, 0x7f800001
	s_xor_b32 s10, exec_lo, -1
; %bb.11257:                            ;   in Loop: Header=BB6_9656 Depth=2
	s_or_b32 exec_lo, exec_lo, s25
	s_delay_alu instid0(SALU_CYCLE_1)
	s_and_b32 s10, s10, exec_lo
                                        ; implicit-def: $vgpr12
	s_or_saveexec_b32 s24, s24
	v_mov_b32_e32 v11, s23
	s_xor_b32 exec_lo, exec_lo, s24
	s_cbranch_execz .LBB6_9835
.LBB6_11258:                            ;   in Loop: Header=BB6_9656 Depth=2
	v_cmp_ne_u16_e32 vcc_lo, 0, v12
	v_mov_b32_e32 v11, 0
	s_and_not1_b32 s10, s10, exec_lo
	s_and_b32 s23, vcc_lo, exec_lo
	s_delay_alu instid0(SALU_CYCLE_1)
	s_or_b32 s10, s10, s23
	s_or_b32 exec_lo, exec_lo, s24
	s_and_saveexec_b32 s23, s10
	s_cbranch_execnz .LBB6_9836
	s_branch .LBB6_9837
.LBB6_11259:                            ;   in Loop: Header=BB6_9656 Depth=2
	s_mov_b32 s10, -1
	s_mov_b32 s25, exec_lo
                                        ; implicit-def: $sgpr23
	v_cmpx_eq_u16_e32 0x80, v10
; %bb.11260:                            ;   in Loop: Header=BB6_9656 Depth=2
	s_mov_b32 s23, 0x7f800001
	s_xor_b32 s10, exec_lo, -1
; %bb.11261:                            ;   in Loop: Header=BB6_9656 Depth=2
	s_or_b32 exec_lo, exec_lo, s25
	s_delay_alu instid0(SALU_CYCLE_1)
	s_and_b32 s10, s10, exec_lo
	s_or_saveexec_b32 s24, s24
	v_mov_b32_e32 v11, s23
	s_xor_b32 exec_lo, exec_lo, s24
	s_cbranch_execz .LBB6_9847
.LBB6_11262:                            ;   in Loop: Header=BB6_9656 Depth=2
	v_cmp_ne_u16_e32 vcc_lo, 0, v10
	v_mov_b32_e32 v11, 0
	s_and_not1_b32 s10, s10, exec_lo
	s_and_b32 s23, vcc_lo, exec_lo
	s_delay_alu instid0(SALU_CYCLE_1)
	s_or_b32 s10, s10, s23
	s_or_b32 exec_lo, exec_lo, s24
	s_and_saveexec_b32 s23, s10
	s_cbranch_execnz .LBB6_9848
	s_branch .LBB6_9849
.LBB6_11263:                            ;   in Loop: Header=BB6_9656 Depth=2
	s_mov_b32 s10, -1
	s_mov_b32 s25, exec_lo
                                        ; implicit-def: $sgpr23
	v_cmpx_eq_u16_e32 0x80, v82
; %bb.11264:                            ;   in Loop: Header=BB6_9656 Depth=2
	s_mov_b32 s23, 0x7f800001
	s_xor_b32 s10, exec_lo, -1
; %bb.11265:                            ;   in Loop: Header=BB6_9656 Depth=2
	s_or_b32 exec_lo, exec_lo, s25
	s_delay_alu instid0(SALU_CYCLE_1)
	s_and_b32 s10, s10, exec_lo
                                        ; implicit-def: $vgpr82
	s_or_saveexec_b32 s24, s24
	v_mov_b32_e32 v66, s23
	s_xor_b32 exec_lo, exec_lo, s24
	s_cbranch_execz .LBB6_9859
.LBB6_11266:                            ;   in Loop: Header=BB6_9656 Depth=2
	v_cmp_ne_u16_e32 vcc_lo, 0, v82
	v_mov_b32_e32 v66, 0
	s_and_not1_b32 s10, s10, exec_lo
	s_and_b32 s23, vcc_lo, exec_lo
	s_delay_alu instid0(SALU_CYCLE_1)
	s_or_b32 s10, s10, s23
	s_or_b32 exec_lo, exec_lo, s24
	s_and_saveexec_b32 s23, s10
	s_cbranch_execnz .LBB6_9860
	s_branch .LBB6_9861
.LBB6_11267:                            ;   in Loop: Header=BB6_9656 Depth=2
	s_mov_b32 s10, -1
	s_mov_b32 s25, exec_lo
                                        ; implicit-def: $sgpr23
	v_cmpx_eq_u16_e32 0x80, v66
; %bb.11268:                            ;   in Loop: Header=BB6_9656 Depth=2
	s_mov_b32 s23, 0x7f800001
	s_xor_b32 s10, exec_lo, -1
; %bb.11269:                            ;   in Loop: Header=BB6_9656 Depth=2
	s_or_b32 exec_lo, exec_lo, s25
	s_delay_alu instid0(SALU_CYCLE_1)
	s_and_b32 s10, s10, exec_lo
	s_or_saveexec_b32 s24, s24
	v_mov_b32_e32 v82, s23
	s_xor_b32 exec_lo, exec_lo, s24
	s_cbranch_execz .LBB6_9871
.LBB6_11270:                            ;   in Loop: Header=BB6_9656 Depth=2
	v_cmp_ne_u16_e32 vcc_lo, 0, v66
	v_mov_b32_e32 v82, 0
	s_and_not1_b32 s10, s10, exec_lo
	s_and_b32 s23, vcc_lo, exec_lo
	s_delay_alu instid0(SALU_CYCLE_1)
	s_or_b32 s10, s10, s23
	s_or_b32 exec_lo, exec_lo, s24
	s_and_saveexec_b32 s23, s10
	s_cbranch_execnz .LBB6_9872
	s_branch .LBB6_9873
.LBB6_11271:                            ;   in Loop: Header=BB6_9656 Depth=2
	s_mov_b32 s10, -1
	s_mov_b32 s25, exec_lo
                                        ; implicit-def: $sgpr23
	v_cmpx_eq_u16_e32 0x80, v83
; %bb.11272:                            ;   in Loop: Header=BB6_9656 Depth=2
	s_mov_b32 s23, 0x7f800001
	s_xor_b32 s10, exec_lo, -1
; %bb.11273:                            ;   in Loop: Header=BB6_9656 Depth=2
	s_or_b32 exec_lo, exec_lo, s25
	s_delay_alu instid0(SALU_CYCLE_1)
	s_and_b32 s10, s10, exec_lo
                                        ; implicit-def: $vgpr83
	s_or_saveexec_b32 s24, s24
	v_mov_b32_e32 v82, s23
	s_xor_b32 exec_lo, exec_lo, s24
	s_cbranch_execz .LBB6_9883
.LBB6_11274:                            ;   in Loop: Header=BB6_9656 Depth=2
	v_cmp_ne_u16_e32 vcc_lo, 0, v83
	v_mov_b32_e32 v82, 0
	s_and_not1_b32 s10, s10, exec_lo
	s_and_b32 s23, vcc_lo, exec_lo
	s_delay_alu instid0(SALU_CYCLE_1)
	s_or_b32 s10, s10, s23
	s_or_b32 exec_lo, exec_lo, s24
	s_and_saveexec_b32 s23, s10
	s_cbranch_execnz .LBB6_9884
	s_branch .LBB6_9885
.LBB6_11275:                            ;   in Loop: Header=BB6_9656 Depth=2
	s_mov_b32 s10, -1
	s_mov_b32 s25, exec_lo
                                        ; implicit-def: $sgpr23
	v_cmpx_eq_u16_e32 0x80, v66
; %bb.11276:                            ;   in Loop: Header=BB6_9656 Depth=2
	s_mov_b32 s23, 0x7f800001
	s_xor_b32 s10, exec_lo, -1
; %bb.11277:                            ;   in Loop: Header=BB6_9656 Depth=2
	s_or_b32 exec_lo, exec_lo, s25
	s_delay_alu instid0(SALU_CYCLE_1)
	s_and_b32 s10, s10, exec_lo
	s_or_saveexec_b32 s24, s24
	v_mov_b32_e32 v82, s23
	s_xor_b32 exec_lo, exec_lo, s24
	s_cbranch_execz .LBB6_9895
.LBB6_11278:                            ;   in Loop: Header=BB6_9656 Depth=2
	v_cmp_ne_u16_e32 vcc_lo, 0, v66
	v_mov_b32_e32 v82, 0
	s_and_not1_b32 s10, s10, exec_lo
	s_and_b32 s23, vcc_lo, exec_lo
	s_delay_alu instid0(SALU_CYCLE_1)
	s_or_b32 s10, s10, s23
	s_or_b32 exec_lo, exec_lo, s24
	s_and_saveexec_b32 s23, s10
	s_cbranch_execnz .LBB6_9896
	s_branch .LBB6_9897
.LBB6_11279:                            ;   in Loop: Header=BB6_9656 Depth=2
	s_mov_b32 s10, -1
	s_mov_b32 s25, exec_lo
                                        ; implicit-def: $sgpr23
	v_cmpx_eq_u16_e32 0x80, v66
; %bb.11280:                            ;   in Loop: Header=BB6_9656 Depth=2
	s_mov_b32 s23, 0x7f800001
	s_xor_b32 s10, exec_lo, -1
; %bb.11281:                            ;   in Loop: Header=BB6_9656 Depth=2
	s_or_b32 exec_lo, exec_lo, s25
	s_delay_alu instid0(SALU_CYCLE_1)
	s_and_b32 s10, s10, exec_lo
                                        ; implicit-def: $vgpr66
	s_or_saveexec_b32 s24, s24
	v_mov_b32_e32 v10, s23
	s_xor_b32 exec_lo, exec_lo, s24
	s_cbranch_execz .LBB6_9907
.LBB6_11282:                            ;   in Loop: Header=BB6_9656 Depth=2
	v_cmp_ne_u16_e32 vcc_lo, 0, v66
	v_mov_b32_e32 v10, 0
	s_and_not1_b32 s10, s10, exec_lo
	s_and_b32 s23, vcc_lo, exec_lo
	s_delay_alu instid0(SALU_CYCLE_1)
	s_or_b32 s10, s10, s23
	s_or_b32 exec_lo, exec_lo, s24
	s_and_saveexec_b32 s23, s10
	s_cbranch_execnz .LBB6_9908
	s_branch .LBB6_9909
.LBB6_11283:                            ;   in Loop: Header=BB6_9656 Depth=2
	s_mov_b32 s10, -1
	s_mov_b32 s25, exec_lo
                                        ; implicit-def: $sgpr23
	v_cmpx_eq_u16_e32 0x80, v10
; %bb.11284:                            ;   in Loop: Header=BB6_9656 Depth=2
	s_mov_b32 s23, 0x7f800001
	s_xor_b32 s10, exec_lo, -1
; %bb.11285:                            ;   in Loop: Header=BB6_9656 Depth=2
	s_or_b32 exec_lo, exec_lo, s25
	s_delay_alu instid0(SALU_CYCLE_1)
	s_and_b32 s10, s10, exec_lo
	s_or_saveexec_b32 s24, s24
	v_mov_b32_e32 v66, s23
	s_xor_b32 exec_lo, exec_lo, s24
	s_cbranch_execz .LBB6_9919
.LBB6_11286:                            ;   in Loop: Header=BB6_9656 Depth=2
	v_cmp_ne_u16_e32 vcc_lo, 0, v10
	v_mov_b32_e32 v66, 0
	s_and_not1_b32 s10, s10, exec_lo
	s_and_b32 s23, vcc_lo, exec_lo
	s_delay_alu instid0(SALU_CYCLE_1)
	s_or_b32 s10, s10, s23
	s_or_b32 exec_lo, exec_lo, s24
	s_and_saveexec_b32 s23, s10
	s_cbranch_execnz .LBB6_9920
	s_branch .LBB6_9921
.LBB6_11287:                            ;   in Loop: Header=BB6_9656 Depth=2
	s_mov_b32 s10, -1
	s_mov_b32 s25, exec_lo
                                        ; implicit-def: $sgpr23
	v_cmpx_eq_u16_e32 0x80, v82
; %bb.11288:                            ;   in Loop: Header=BB6_9656 Depth=2
	s_mov_b32 s23, 0x7f800001
	s_xor_b32 s10, exec_lo, -1
; %bb.11289:                            ;   in Loop: Header=BB6_9656 Depth=2
	s_or_b32 exec_lo, exec_lo, s25
	s_delay_alu instid0(SALU_CYCLE_1)
	s_and_b32 s10, s10, exec_lo
                                        ; implicit-def: $vgpr82
	s_or_saveexec_b32 s24, s24
	v_mov_b32_e32 v66, s23
	s_xor_b32 exec_lo, exec_lo, s24
	s_cbranch_execz .LBB6_9931
.LBB6_11290:                            ;   in Loop: Header=BB6_9656 Depth=2
	v_cmp_ne_u16_e32 vcc_lo, 0, v82
	v_mov_b32_e32 v66, 0
	s_and_not1_b32 s10, s10, exec_lo
	s_and_b32 s23, vcc_lo, exec_lo
	s_delay_alu instid0(SALU_CYCLE_1)
	s_or_b32 s10, s10, s23
	s_or_b32 exec_lo, exec_lo, s24
	s_and_saveexec_b32 s23, s10
	s_cbranch_execnz .LBB6_9932
	s_branch .LBB6_9933
.LBB6_11291:                            ;   in Loop: Header=BB6_9656 Depth=2
	s_mov_b32 s10, -1
	s_mov_b32 s25, exec_lo
                                        ; implicit-def: $sgpr23
	v_cmpx_eq_u16_e32 0x80, v10
; %bb.11292:                            ;   in Loop: Header=BB6_9656 Depth=2
	s_mov_b32 s23, 0x7f800001
	s_xor_b32 s10, exec_lo, -1
; %bb.11293:                            ;   in Loop: Header=BB6_9656 Depth=2
	s_or_b32 exec_lo, exec_lo, s25
	s_delay_alu instid0(SALU_CYCLE_1)
	s_and_b32 s10, s10, exec_lo
	s_or_saveexec_b32 s24, s24
	v_mov_b32_e32 v66, s23
	s_xor_b32 exec_lo, exec_lo, s24
	s_cbranch_execz .LBB6_9943
.LBB6_11294:                            ;   in Loop: Header=BB6_9656 Depth=2
	v_cmp_ne_u16_e32 vcc_lo, 0, v10
	v_mov_b32_e32 v66, 0
	s_and_not1_b32 s10, s10, exec_lo
	s_and_b32 s23, vcc_lo, exec_lo
	s_delay_alu instid0(SALU_CYCLE_1)
	s_or_b32 s10, s10, s23
	s_or_b32 exec_lo, exec_lo, s24
	s_and_saveexec_b32 s23, s10
	s_cbranch_execnz .LBB6_9944
	s_branch .LBB6_9945
.LBB6_11295:                            ;   in Loop: Header=BB6_9656 Depth=2
	s_mov_b32 s10, -1
	s_mov_b32 s25, exec_lo
                                        ; implicit-def: $sgpr23
	v_cmpx_eq_u16_e32 0x80, v11
; %bb.11296:                            ;   in Loop: Header=BB6_9656 Depth=2
	s_mov_b32 s23, 0x7f800001
	s_xor_b32 s10, exec_lo, -1
; %bb.11297:                            ;   in Loop: Header=BB6_9656 Depth=2
	s_or_b32 exec_lo, exec_lo, s25
	s_delay_alu instid0(SALU_CYCLE_1)
	s_and_b32 s10, s10, exec_lo
                                        ; implicit-def: $vgpr11
	s_or_saveexec_b32 s24, s24
	v_mov_b32_e32 v10, s23
	s_xor_b32 exec_lo, exec_lo, s24
	s_cbranch_execz .LBB6_9955
.LBB6_11298:                            ;   in Loop: Header=BB6_9656 Depth=2
	v_cmp_ne_u16_e32 vcc_lo, 0, v11
	v_mov_b32_e32 v10, 0
	s_and_not1_b32 s10, s10, exec_lo
	s_and_b32 s23, vcc_lo, exec_lo
	s_delay_alu instid0(SALU_CYCLE_1)
	s_or_b32 s10, s10, s23
	s_or_b32 exec_lo, exec_lo, s24
	s_and_saveexec_b32 s23, s10
	s_cbranch_execnz .LBB6_9956
	s_branch .LBB6_9957
.LBB6_11299:                            ;   in Loop: Header=BB6_9656 Depth=2
	s_mov_b32 s10, -1
	s_mov_b32 s25, exec_lo
                                        ; implicit-def: $sgpr23
	v_cmpx_eq_u16_e32 0x80, v10
; %bb.11300:                            ;   in Loop: Header=BB6_9656 Depth=2
	s_mov_b32 s23, 0x7f800001
	s_xor_b32 s10, exec_lo, -1
; %bb.11301:                            ;   in Loop: Header=BB6_9656 Depth=2
	s_or_b32 exec_lo, exec_lo, s25
	s_delay_alu instid0(SALU_CYCLE_1)
	s_and_b32 s10, s10, exec_lo
	s_or_saveexec_b32 s24, s24
	v_mov_b32_e32 v11, s23
	s_xor_b32 exec_lo, exec_lo, s24
	s_cbranch_execz .LBB6_9967
.LBB6_11302:                            ;   in Loop: Header=BB6_9656 Depth=2
	v_cmp_ne_u16_e32 vcc_lo, 0, v10
	v_mov_b32_e32 v11, 0
	s_and_not1_b32 s10, s10, exec_lo
	s_and_b32 s23, vcc_lo, exec_lo
	s_delay_alu instid0(SALU_CYCLE_1)
	s_or_b32 s10, s10, s23
	s_or_b32 exec_lo, exec_lo, s24
	s_and_saveexec_b32 s23, s10
	s_cbranch_execnz .LBB6_9968
	s_branch .LBB6_9969
.LBB6_11303:                            ;   in Loop: Header=BB6_9656 Depth=2
	s_mov_b32 s10, -1
	s_mov_b32 s25, exec_lo
                                        ; implicit-def: $sgpr23
	v_cmpx_eq_u16_e32 0x80, v66
; %bb.11304:                            ;   in Loop: Header=BB6_9656 Depth=2
	s_mov_b32 s23, 0x7f800001
	s_xor_b32 s10, exec_lo, -1
; %bb.11305:                            ;   in Loop: Header=BB6_9656 Depth=2
	s_or_b32 exec_lo, exec_lo, s25
	s_delay_alu instid0(SALU_CYCLE_1)
	s_and_b32 s10, s10, exec_lo
                                        ; implicit-def: $vgpr66
	s_or_saveexec_b32 s24, s24
	v_mov_b32_e32 v11, s23
	s_xor_b32 exec_lo, exec_lo, s24
	s_cbranch_execz .LBB6_9979
.LBB6_11306:                            ;   in Loop: Header=BB6_9656 Depth=2
	v_cmp_ne_u16_e32 vcc_lo, 0, v66
	v_mov_b32_e32 v11, 0
	s_and_not1_b32 s10, s10, exec_lo
	s_and_b32 s23, vcc_lo, exec_lo
	s_delay_alu instid0(SALU_CYCLE_1)
	s_or_b32 s10, s10, s23
	s_or_b32 exec_lo, exec_lo, s24
	s_and_saveexec_b32 s23, s10
	s_cbranch_execnz .LBB6_9980
	s_branch .LBB6_9981
.LBB6_11307:                            ;   in Loop: Header=BB6_9656 Depth=2
	s_mov_b32 s10, -1
	s_mov_b32 s25, exec_lo
                                        ; implicit-def: $sgpr23
	v_cmpx_eq_u16_e32 0x80, v10
; %bb.11308:                            ;   in Loop: Header=BB6_9656 Depth=2
	s_mov_b32 s23, 0x7f800001
	s_xor_b32 s10, exec_lo, -1
; %bb.11309:                            ;   in Loop: Header=BB6_9656 Depth=2
	s_or_b32 exec_lo, exec_lo, s25
	s_delay_alu instid0(SALU_CYCLE_1)
	s_and_b32 s10, s10, exec_lo
	s_or_saveexec_b32 s24, s24
	v_mov_b32_e32 v11, s23
	s_xor_b32 exec_lo, exec_lo, s24
	s_cbranch_execz .LBB6_9991
.LBB6_11310:                            ;   in Loop: Header=BB6_9656 Depth=2
	v_cmp_ne_u16_e32 vcc_lo, 0, v10
	v_mov_b32_e32 v11, 0
	s_and_not1_b32 s10, s10, exec_lo
	s_and_b32 s23, vcc_lo, exec_lo
	s_delay_alu instid0(SALU_CYCLE_1)
	s_or_b32 s10, s10, s23
	s_or_b32 exec_lo, exec_lo, s24
	s_and_saveexec_b32 s23, s10
	s_cbranch_execnz .LBB6_9992
	s_branch .LBB6_9993
.LBB6_11311:                            ;   in Loop: Header=BB6_9656 Depth=2
	s_mov_b32 s10, -1
	s_mov_b32 s25, exec_lo
                                        ; implicit-def: $sgpr23
	v_cmpx_eq_u16_e32 0x80, v11
; %bb.11312:                            ;   in Loop: Header=BB6_9656 Depth=2
	s_mov_b32 s23, 0x7f800001
	s_xor_b32 s10, exec_lo, -1
; %bb.11313:                            ;   in Loop: Header=BB6_9656 Depth=2
	s_or_b32 exec_lo, exec_lo, s25
	s_delay_alu instid0(SALU_CYCLE_1)
	s_and_b32 s10, s10, exec_lo
                                        ; implicit-def: $vgpr11
	s_or_saveexec_b32 s24, s24
	v_mov_b32_e32 v10, s23
	s_xor_b32 exec_lo, exec_lo, s24
	s_cbranch_execz .LBB6_10003
.LBB6_11314:                            ;   in Loop: Header=BB6_9656 Depth=2
	v_cmp_ne_u16_e32 vcc_lo, 0, v11
	v_mov_b32_e32 v10, 0
	s_and_not1_b32 s10, s10, exec_lo
	s_and_b32 s23, vcc_lo, exec_lo
	s_delay_alu instid0(SALU_CYCLE_1)
	s_or_b32 s10, s10, s23
	s_or_b32 exec_lo, exec_lo, s24
	s_and_saveexec_b32 s23, s10
	s_cbranch_execnz .LBB6_10004
	s_branch .LBB6_10005
.LBB6_11315:                            ;   in Loop: Header=BB6_9656 Depth=2
	s_mov_b32 s10, -1
	s_mov_b32 s25, exec_lo
                                        ; implicit-def: $sgpr23
	v_cmpx_eq_u16_e32 0x80, v10
; %bb.11316:                            ;   in Loop: Header=BB6_9656 Depth=2
	s_mov_b32 s23, 0x7f800001
	s_xor_b32 s10, exec_lo, -1
; %bb.11317:                            ;   in Loop: Header=BB6_9656 Depth=2
	s_or_b32 exec_lo, exec_lo, s25
	s_delay_alu instid0(SALU_CYCLE_1)
	s_and_b32 s10, s10, exec_lo
	s_or_saveexec_b32 s24, s24
	v_mov_b32_e32 v11, s23
	s_xor_b32 exec_lo, exec_lo, s24
	s_cbranch_execz .LBB6_10015
.LBB6_11318:                            ;   in Loop: Header=BB6_9656 Depth=2
	v_cmp_ne_u16_e32 vcc_lo, 0, v10
	v_mov_b32_e32 v11, 0
	s_and_not1_b32 s10, s10, exec_lo
	s_and_b32 s23, vcc_lo, exec_lo
	s_delay_alu instid0(SALU_CYCLE_1)
	s_or_b32 s10, s10, s23
	s_or_b32 exec_lo, exec_lo, s24
	s_and_saveexec_b32 s23, s10
	s_cbranch_execnz .LBB6_10016
	s_branch .LBB6_10017
.LBB6_11319:                            ;   in Loop: Header=BB6_9656 Depth=2
	s_mov_b32 s10, -1
	s_mov_b32 s25, exec_lo
                                        ; implicit-def: $sgpr23
	v_cmpx_eq_u16_e32 0x80, v12
; %bb.11320:                            ;   in Loop: Header=BB6_9656 Depth=2
	s_mov_b32 s23, 0x7f800001
	s_xor_b32 s10, exec_lo, -1
; %bb.11321:                            ;   in Loop: Header=BB6_9656 Depth=2
	s_or_b32 exec_lo, exec_lo, s25
	s_delay_alu instid0(SALU_CYCLE_1)
	s_and_b32 s10, s10, exec_lo
                                        ; implicit-def: $vgpr12
	s_or_saveexec_b32 s24, s24
	v_mov_b32_e32 v11, s23
	s_xor_b32 exec_lo, exec_lo, s24
	s_cbranch_execz .LBB6_10027
.LBB6_11322:                            ;   in Loop: Header=BB6_9656 Depth=2
	v_cmp_ne_u16_e32 vcc_lo, 0, v12
	v_mov_b32_e32 v11, 0
	s_and_not1_b32 s10, s10, exec_lo
	s_and_b32 s23, vcc_lo, exec_lo
	s_delay_alu instid0(SALU_CYCLE_1)
	s_or_b32 s10, s10, s23
	s_or_b32 exec_lo, exec_lo, s24
	s_and_saveexec_b32 s23, s10
	s_cbranch_execnz .LBB6_10028
	s_branch .LBB6_10029
.LBB6_11323:                            ;   in Loop: Header=BB6_9656 Depth=2
	s_mov_b32 s10, -1
	s_mov_b32 s25, exec_lo
                                        ; implicit-def: $sgpr23
	v_cmpx_eq_u16_e32 0x80, v10
; %bb.11324:                            ;   in Loop: Header=BB6_9656 Depth=2
	s_mov_b32 s23, 0x7f800001
	s_xor_b32 s10, exec_lo, -1
; %bb.11325:                            ;   in Loop: Header=BB6_9656 Depth=2
	s_or_b32 exec_lo, exec_lo, s25
	s_delay_alu instid0(SALU_CYCLE_1)
	s_and_b32 s10, s10, exec_lo
	s_or_saveexec_b32 s24, s24
	v_mov_b32_e32 v11, s23
	s_xor_b32 exec_lo, exec_lo, s24
	s_cbranch_execz .LBB6_10039
.LBB6_11326:                            ;   in Loop: Header=BB6_9656 Depth=2
	v_cmp_ne_u16_e32 vcc_lo, 0, v10
	v_mov_b32_e32 v11, 0
	s_and_not1_b32 s10, s10, exec_lo
	s_and_b32 s23, vcc_lo, exec_lo
	s_delay_alu instid0(SALU_CYCLE_1)
	s_or_b32 s10, s10, s23
	s_or_b32 exec_lo, exec_lo, s24
	s_and_saveexec_b32 s23, s10
	s_cbranch_execnz .LBB6_10040
	s_branch .LBB6_10041
.LBB6_11327:                            ;   in Loop: Header=BB6_9656 Depth=2
	s_mov_b32 s10, -1
	s_mov_b32 s25, exec_lo
                                        ; implicit-def: $sgpr23
	v_cmpx_eq_u16_e32 0x80, v82
; %bb.11328:                            ;   in Loop: Header=BB6_9656 Depth=2
	s_mov_b32 s23, 0x7f800001
	s_xor_b32 s10, exec_lo, -1
; %bb.11329:                            ;   in Loop: Header=BB6_9656 Depth=2
	s_or_b32 exec_lo, exec_lo, s25
	s_delay_alu instid0(SALU_CYCLE_1)
	s_and_b32 s10, s10, exec_lo
                                        ; implicit-def: $vgpr82
	s_or_saveexec_b32 s24, s24
	v_mov_b32_e32 v66, s23
	s_xor_b32 exec_lo, exec_lo, s24
	s_cbranch_execz .LBB6_10051
.LBB6_11330:                            ;   in Loop: Header=BB6_9656 Depth=2
	v_cmp_ne_u16_e32 vcc_lo, 0, v82
	v_mov_b32_e32 v66, 0
	s_and_not1_b32 s10, s10, exec_lo
	s_and_b32 s23, vcc_lo, exec_lo
	s_delay_alu instid0(SALU_CYCLE_1)
	s_or_b32 s10, s10, s23
	s_or_b32 exec_lo, exec_lo, s24
	s_and_saveexec_b32 s23, s10
	s_cbranch_execnz .LBB6_10052
	s_branch .LBB6_10053
.LBB6_11331:                            ;   in Loop: Header=BB6_9656 Depth=2
	s_mov_b32 s10, -1
	s_mov_b32 s25, exec_lo
                                        ; implicit-def: $sgpr23
	v_cmpx_eq_u16_e32 0x80, v66
; %bb.11332:                            ;   in Loop: Header=BB6_9656 Depth=2
	s_mov_b32 s23, 0x7f800001
	s_xor_b32 s10, exec_lo, -1
; %bb.11333:                            ;   in Loop: Header=BB6_9656 Depth=2
	s_or_b32 exec_lo, exec_lo, s25
	s_delay_alu instid0(SALU_CYCLE_1)
	s_and_b32 s10, s10, exec_lo
	s_or_saveexec_b32 s24, s24
	v_mov_b32_e32 v82, s23
	s_xor_b32 exec_lo, exec_lo, s24
	s_cbranch_execz .LBB6_10063
.LBB6_11334:                            ;   in Loop: Header=BB6_9656 Depth=2
	v_cmp_ne_u16_e32 vcc_lo, 0, v66
	v_mov_b32_e32 v82, 0
	s_and_not1_b32 s10, s10, exec_lo
	s_and_b32 s23, vcc_lo, exec_lo
	s_delay_alu instid0(SALU_CYCLE_1)
	s_or_b32 s10, s10, s23
	s_or_b32 exec_lo, exec_lo, s24
	s_and_saveexec_b32 s23, s10
	s_cbranch_execnz .LBB6_10064
	s_branch .LBB6_10065
.LBB6_11335:                            ;   in Loop: Header=BB6_9656 Depth=2
	s_mov_b32 s10, -1
	s_mov_b32 s25, exec_lo
                                        ; implicit-def: $sgpr23
	v_cmpx_eq_u16_e32 0x80, v83
; %bb.11336:                            ;   in Loop: Header=BB6_9656 Depth=2
	s_mov_b32 s23, 0x7f800001
	s_xor_b32 s10, exec_lo, -1
; %bb.11337:                            ;   in Loop: Header=BB6_9656 Depth=2
	s_or_b32 exec_lo, exec_lo, s25
	s_delay_alu instid0(SALU_CYCLE_1)
	s_and_b32 s10, s10, exec_lo
                                        ; implicit-def: $vgpr83
	s_or_saveexec_b32 s24, s24
	v_mov_b32_e32 v82, s23
	s_xor_b32 exec_lo, exec_lo, s24
	s_cbranch_execz .LBB6_10075
.LBB6_11338:                            ;   in Loop: Header=BB6_9656 Depth=2
	v_cmp_ne_u16_e32 vcc_lo, 0, v83
	v_mov_b32_e32 v82, 0
	s_and_not1_b32 s10, s10, exec_lo
	s_and_b32 s23, vcc_lo, exec_lo
	s_delay_alu instid0(SALU_CYCLE_1)
	s_or_b32 s10, s10, s23
	s_or_b32 exec_lo, exec_lo, s24
	s_and_saveexec_b32 s23, s10
	s_cbranch_execnz .LBB6_10076
	s_branch .LBB6_10077
.LBB6_11339:                            ;   in Loop: Header=BB6_9656 Depth=2
	s_mov_b32 s10, -1
	s_mov_b32 s25, exec_lo
                                        ; implicit-def: $sgpr23
	v_cmpx_eq_u16_e32 0x80, v66
; %bb.11340:                            ;   in Loop: Header=BB6_9656 Depth=2
	s_mov_b32 s23, 0x7f800001
	s_xor_b32 s10, exec_lo, -1
; %bb.11341:                            ;   in Loop: Header=BB6_9656 Depth=2
	s_or_b32 exec_lo, exec_lo, s25
	s_delay_alu instid0(SALU_CYCLE_1)
	s_and_b32 s10, s10, exec_lo
	s_or_saveexec_b32 s24, s24
	v_mov_b32_e32 v82, s23
	s_xor_b32 exec_lo, exec_lo, s24
	s_cbranch_execz .LBB6_10087
.LBB6_11342:                            ;   in Loop: Header=BB6_9656 Depth=2
	v_cmp_ne_u16_e32 vcc_lo, 0, v66
	v_mov_b32_e32 v82, 0
	s_and_not1_b32 s10, s10, exec_lo
	s_and_b32 s23, vcc_lo, exec_lo
	s_delay_alu instid0(SALU_CYCLE_1)
	s_or_b32 s10, s10, s23
	s_or_b32 exec_lo, exec_lo, s24
	s_and_saveexec_b32 s23, s10
	s_cbranch_execnz .LBB6_10088
	s_branch .LBB6_10089
.LBB6_11343:                            ;   in Loop: Header=BB6_9656 Depth=2
	s_mov_b32 s10, -1
	s_mov_b32 s25, exec_lo
                                        ; implicit-def: $sgpr23
	v_cmpx_eq_u16_e32 0x80, v66
; %bb.11344:                            ;   in Loop: Header=BB6_9656 Depth=2
	s_mov_b32 s23, 0x7f800001
	s_xor_b32 s10, exec_lo, -1
; %bb.11345:                            ;   in Loop: Header=BB6_9656 Depth=2
	s_or_b32 exec_lo, exec_lo, s25
	s_delay_alu instid0(SALU_CYCLE_1)
	s_and_b32 s10, s10, exec_lo
                                        ; implicit-def: $vgpr66
	s_or_saveexec_b32 s24, s24
	v_mov_b32_e32 v10, s23
	s_xor_b32 exec_lo, exec_lo, s24
	s_cbranch_execz .LBB6_10099
.LBB6_11346:                            ;   in Loop: Header=BB6_9656 Depth=2
	v_cmp_ne_u16_e32 vcc_lo, 0, v66
	v_mov_b32_e32 v10, 0
	s_and_not1_b32 s10, s10, exec_lo
	s_and_b32 s23, vcc_lo, exec_lo
	s_delay_alu instid0(SALU_CYCLE_1)
	s_or_b32 s10, s10, s23
	s_or_b32 exec_lo, exec_lo, s24
	s_and_saveexec_b32 s23, s10
	s_cbranch_execnz .LBB6_10100
	s_branch .LBB6_10101
.LBB6_11347:                            ;   in Loop: Header=BB6_9656 Depth=2
	s_mov_b32 s10, -1
	s_mov_b32 s25, exec_lo
                                        ; implicit-def: $sgpr23
	v_cmpx_eq_u16_e32 0x80, v10
; %bb.11348:                            ;   in Loop: Header=BB6_9656 Depth=2
	s_mov_b32 s23, 0x7f800001
	s_xor_b32 s10, exec_lo, -1
; %bb.11349:                            ;   in Loop: Header=BB6_9656 Depth=2
	s_or_b32 exec_lo, exec_lo, s25
	s_delay_alu instid0(SALU_CYCLE_1)
	s_and_b32 s10, s10, exec_lo
	s_or_saveexec_b32 s24, s24
	v_mov_b32_e32 v66, s23
	s_xor_b32 exec_lo, exec_lo, s24
	s_cbranch_execz .LBB6_10111
.LBB6_11350:                            ;   in Loop: Header=BB6_9656 Depth=2
	v_cmp_ne_u16_e32 vcc_lo, 0, v10
	v_mov_b32_e32 v66, 0
	s_and_not1_b32 s10, s10, exec_lo
	s_and_b32 s23, vcc_lo, exec_lo
	s_delay_alu instid0(SALU_CYCLE_1)
	s_or_b32 s10, s10, s23
	s_or_b32 exec_lo, exec_lo, s24
	s_and_saveexec_b32 s23, s10
	s_cbranch_execnz .LBB6_10112
	s_branch .LBB6_10113
.LBB6_11351:                            ;   in Loop: Header=BB6_9656 Depth=2
	s_mov_b32 s10, -1
	s_mov_b32 s25, exec_lo
                                        ; implicit-def: $sgpr23
	v_cmpx_eq_u16_e32 0x80, v82
; %bb.11352:                            ;   in Loop: Header=BB6_9656 Depth=2
	s_mov_b32 s23, 0x7f800001
	s_xor_b32 s10, exec_lo, -1
; %bb.11353:                            ;   in Loop: Header=BB6_9656 Depth=2
	s_or_b32 exec_lo, exec_lo, s25
	s_delay_alu instid0(SALU_CYCLE_1)
	s_and_b32 s10, s10, exec_lo
                                        ; implicit-def: $vgpr82
	s_or_saveexec_b32 s24, s24
	v_mov_b32_e32 v66, s23
	s_xor_b32 exec_lo, exec_lo, s24
	s_cbranch_execz .LBB6_10123
.LBB6_11354:                            ;   in Loop: Header=BB6_9656 Depth=2
	v_cmp_ne_u16_e32 vcc_lo, 0, v82
	v_mov_b32_e32 v66, 0
	s_and_not1_b32 s10, s10, exec_lo
	s_and_b32 s23, vcc_lo, exec_lo
	s_delay_alu instid0(SALU_CYCLE_1)
	s_or_b32 s10, s10, s23
	s_or_b32 exec_lo, exec_lo, s24
	s_and_saveexec_b32 s23, s10
	s_cbranch_execnz .LBB6_10124
	s_branch .LBB6_10125
.LBB6_11355:                            ;   in Loop: Header=BB6_9656 Depth=2
	s_mov_b32 s10, -1
	s_mov_b32 s25, exec_lo
                                        ; implicit-def: $sgpr23
	v_cmpx_eq_u16_e32 0x80, v10
; %bb.11356:                            ;   in Loop: Header=BB6_9656 Depth=2
	s_mov_b32 s23, 0x7f800001
	s_xor_b32 s10, exec_lo, -1
; %bb.11357:                            ;   in Loop: Header=BB6_9656 Depth=2
	s_or_b32 exec_lo, exec_lo, s25
	s_delay_alu instid0(SALU_CYCLE_1)
	s_and_b32 s10, s10, exec_lo
	s_or_saveexec_b32 s24, s24
	v_mov_b32_e32 v66, s23
	s_xor_b32 exec_lo, exec_lo, s24
	s_cbranch_execz .LBB6_10135
.LBB6_11358:                            ;   in Loop: Header=BB6_9656 Depth=2
	v_cmp_ne_u16_e32 vcc_lo, 0, v10
	v_mov_b32_e32 v66, 0
	s_and_not1_b32 s10, s10, exec_lo
	s_and_b32 s23, vcc_lo, exec_lo
	s_delay_alu instid0(SALU_CYCLE_1)
	s_or_b32 s10, s10, s23
	s_or_b32 exec_lo, exec_lo, s24
	s_and_saveexec_b32 s23, s10
	s_cbranch_execnz .LBB6_10136
	s_branch .LBB6_10137
.LBB6_11359:                            ;   in Loop: Header=BB6_9656 Depth=2
	s_mov_b32 s10, -1
	s_mov_b32 s25, exec_lo
                                        ; implicit-def: $sgpr23
	v_cmpx_eq_u16_e32 0x80, v11
; %bb.11360:                            ;   in Loop: Header=BB6_9656 Depth=2
	s_mov_b32 s23, 0x7f800001
	s_xor_b32 s10, exec_lo, -1
; %bb.11361:                            ;   in Loop: Header=BB6_9656 Depth=2
	s_or_b32 exec_lo, exec_lo, s25
	s_delay_alu instid0(SALU_CYCLE_1)
	s_and_b32 s10, s10, exec_lo
                                        ; implicit-def: $vgpr11
	s_or_saveexec_b32 s24, s24
	v_mov_b32_e32 v10, s23
	s_xor_b32 exec_lo, exec_lo, s24
	s_cbranch_execz .LBB6_10147
.LBB6_11362:                            ;   in Loop: Header=BB6_9656 Depth=2
	v_cmp_ne_u16_e32 vcc_lo, 0, v11
	v_mov_b32_e32 v10, 0
	s_and_not1_b32 s10, s10, exec_lo
	s_and_b32 s23, vcc_lo, exec_lo
	s_delay_alu instid0(SALU_CYCLE_1)
	s_or_b32 s10, s10, s23
	s_or_b32 exec_lo, exec_lo, s24
	s_and_saveexec_b32 s23, s10
	s_cbranch_execnz .LBB6_10148
	s_branch .LBB6_10149
.LBB6_11363:                            ;   in Loop: Header=BB6_9656 Depth=2
	s_mov_b32 s10, -1
	s_mov_b32 s25, exec_lo
                                        ; implicit-def: $sgpr23
	v_cmpx_eq_u16_e32 0x80, v10
; %bb.11364:                            ;   in Loop: Header=BB6_9656 Depth=2
	s_mov_b32 s23, 0x7f800001
	s_xor_b32 s10, exec_lo, -1
; %bb.11365:                            ;   in Loop: Header=BB6_9656 Depth=2
	s_or_b32 exec_lo, exec_lo, s25
	s_delay_alu instid0(SALU_CYCLE_1)
	s_and_b32 s10, s10, exec_lo
	s_or_saveexec_b32 s24, s24
	v_mov_b32_e32 v11, s23
	s_xor_b32 exec_lo, exec_lo, s24
	s_cbranch_execz .LBB6_10159
.LBB6_11366:                            ;   in Loop: Header=BB6_9656 Depth=2
	v_cmp_ne_u16_e32 vcc_lo, 0, v10
	v_mov_b32_e32 v11, 0
	s_and_not1_b32 s10, s10, exec_lo
	s_and_b32 s23, vcc_lo, exec_lo
	s_delay_alu instid0(SALU_CYCLE_1)
	s_or_b32 s10, s10, s23
	s_or_b32 exec_lo, exec_lo, s24
	s_and_saveexec_b32 s23, s10
	s_cbranch_execnz .LBB6_10160
	s_branch .LBB6_10161
.LBB6_11367:                            ;   in Loop: Header=BB6_9656 Depth=2
	s_mov_b32 s10, -1
	s_mov_b32 s25, exec_lo
                                        ; implicit-def: $sgpr23
	v_cmpx_eq_u16_e32 0x80, v66
; %bb.11368:                            ;   in Loop: Header=BB6_9656 Depth=2
	s_mov_b32 s23, 0x7f800001
	s_xor_b32 s10, exec_lo, -1
; %bb.11369:                            ;   in Loop: Header=BB6_9656 Depth=2
	s_or_b32 exec_lo, exec_lo, s25
	s_delay_alu instid0(SALU_CYCLE_1)
	s_and_b32 s10, s10, exec_lo
                                        ; implicit-def: $vgpr66
	s_or_saveexec_b32 s24, s24
	v_mov_b32_e32 v11, s23
	s_xor_b32 exec_lo, exec_lo, s24
	s_cbranch_execz .LBB6_10171
.LBB6_11370:                            ;   in Loop: Header=BB6_9656 Depth=2
	v_cmp_ne_u16_e32 vcc_lo, 0, v66
	v_mov_b32_e32 v11, 0
	s_and_not1_b32 s10, s10, exec_lo
	s_and_b32 s23, vcc_lo, exec_lo
	s_delay_alu instid0(SALU_CYCLE_1)
	s_or_b32 s10, s10, s23
	s_or_b32 exec_lo, exec_lo, s24
	s_and_saveexec_b32 s23, s10
	s_cbranch_execnz .LBB6_10172
	s_branch .LBB6_10173
.LBB6_11371:                            ;   in Loop: Header=BB6_9656 Depth=2
	s_mov_b32 s10, -1
	s_mov_b32 s25, exec_lo
                                        ; implicit-def: $sgpr23
	v_cmpx_eq_u16_e32 0x80, v10
; %bb.11372:                            ;   in Loop: Header=BB6_9656 Depth=2
	s_mov_b32 s23, 0x7f800001
	s_xor_b32 s10, exec_lo, -1
; %bb.11373:                            ;   in Loop: Header=BB6_9656 Depth=2
	s_or_b32 exec_lo, exec_lo, s25
	s_delay_alu instid0(SALU_CYCLE_1)
	s_and_b32 s10, s10, exec_lo
	s_or_saveexec_b32 s24, s24
	v_mov_b32_e32 v11, s23
	s_xor_b32 exec_lo, exec_lo, s24
	s_cbranch_execz .LBB6_10183
.LBB6_11374:                            ;   in Loop: Header=BB6_9656 Depth=2
	v_cmp_ne_u16_e32 vcc_lo, 0, v10
	v_mov_b32_e32 v11, 0
	s_and_not1_b32 s10, s10, exec_lo
	s_and_b32 s23, vcc_lo, exec_lo
	s_delay_alu instid0(SALU_CYCLE_1)
	s_or_b32 s10, s10, s23
	s_or_b32 exec_lo, exec_lo, s24
	s_and_saveexec_b32 s23, s10
	s_cbranch_execnz .LBB6_10184
	s_branch .LBB6_10185
.LBB6_11375:                            ;   in Loop: Header=BB6_9656 Depth=2
	s_mov_b32 s10, -1
	s_mov_b32 s25, exec_lo
                                        ; implicit-def: $sgpr23
	v_cmpx_eq_u16_e32 0x80, v11
; %bb.11376:                            ;   in Loop: Header=BB6_9656 Depth=2
	s_mov_b32 s23, 0x7f800001
	s_xor_b32 s10, exec_lo, -1
; %bb.11377:                            ;   in Loop: Header=BB6_9656 Depth=2
	s_or_b32 exec_lo, exec_lo, s25
	s_delay_alu instid0(SALU_CYCLE_1)
	s_and_b32 s10, s10, exec_lo
                                        ; implicit-def: $vgpr11
	s_or_saveexec_b32 s24, s24
	v_mov_b32_e32 v10, s23
	s_xor_b32 exec_lo, exec_lo, s24
	s_cbranch_execz .LBB6_10195
.LBB6_11378:                            ;   in Loop: Header=BB6_9656 Depth=2
	v_cmp_ne_u16_e32 vcc_lo, 0, v11
	v_mov_b32_e32 v10, 0
	s_and_not1_b32 s10, s10, exec_lo
	s_and_b32 s23, vcc_lo, exec_lo
	s_delay_alu instid0(SALU_CYCLE_1)
	s_or_b32 s10, s10, s23
	s_or_b32 exec_lo, exec_lo, s24
	s_and_saveexec_b32 s23, s10
	s_cbranch_execnz .LBB6_10196
	s_branch .LBB6_10197
.LBB6_11379:                            ;   in Loop: Header=BB6_9656 Depth=2
	s_mov_b32 s10, -1
	s_mov_b32 s25, exec_lo
                                        ; implicit-def: $sgpr23
	v_cmpx_eq_u16_e32 0x80, v10
; %bb.11380:                            ;   in Loop: Header=BB6_9656 Depth=2
	s_mov_b32 s23, 0x7f800001
	s_xor_b32 s10, exec_lo, -1
; %bb.11381:                            ;   in Loop: Header=BB6_9656 Depth=2
	s_or_b32 exec_lo, exec_lo, s25
	s_delay_alu instid0(SALU_CYCLE_1)
	s_and_b32 s10, s10, exec_lo
	s_or_saveexec_b32 s24, s24
	v_mov_b32_e32 v11, s23
	s_xor_b32 exec_lo, exec_lo, s24
	s_cbranch_execz .LBB6_10207
.LBB6_11382:                            ;   in Loop: Header=BB6_9656 Depth=2
	v_cmp_ne_u16_e32 vcc_lo, 0, v10
	v_mov_b32_e32 v11, 0
	s_and_not1_b32 s10, s10, exec_lo
	s_and_b32 s23, vcc_lo, exec_lo
	s_delay_alu instid0(SALU_CYCLE_1)
	s_or_b32 s10, s10, s23
	s_or_b32 exec_lo, exec_lo, s24
	s_and_saveexec_b32 s23, s10
	s_cbranch_execnz .LBB6_10208
	s_branch .LBB6_10209
.LBB6_11383:                            ;   in Loop: Header=BB6_9656 Depth=2
	s_mov_b32 s10, -1
	s_mov_b32 s25, exec_lo
                                        ; implicit-def: $sgpr23
	v_cmpx_eq_u16_e32 0x80, v12
; %bb.11384:                            ;   in Loop: Header=BB6_9656 Depth=2
	s_mov_b32 s23, 0x7f800001
	s_xor_b32 s10, exec_lo, -1
; %bb.11385:                            ;   in Loop: Header=BB6_9656 Depth=2
	s_or_b32 exec_lo, exec_lo, s25
	s_delay_alu instid0(SALU_CYCLE_1)
	s_and_b32 s10, s10, exec_lo
                                        ; implicit-def: $vgpr12
	s_or_saveexec_b32 s24, s24
	v_mov_b32_e32 v11, s23
	s_xor_b32 exec_lo, exec_lo, s24
	s_cbranch_execz .LBB6_10219
.LBB6_11386:                            ;   in Loop: Header=BB6_9656 Depth=2
	v_cmp_ne_u16_e32 vcc_lo, 0, v12
	v_mov_b32_e32 v11, 0
	s_and_not1_b32 s10, s10, exec_lo
	s_and_b32 s23, vcc_lo, exec_lo
	s_delay_alu instid0(SALU_CYCLE_1)
	s_or_b32 s10, s10, s23
	s_or_b32 exec_lo, exec_lo, s24
	s_and_saveexec_b32 s23, s10
	s_cbranch_execnz .LBB6_10220
	s_branch .LBB6_10221
.LBB6_11387:                            ;   in Loop: Header=BB6_9656 Depth=2
	s_mov_b32 s10, -1
	s_mov_b32 s25, exec_lo
                                        ; implicit-def: $sgpr23
	v_cmpx_eq_u16_e32 0x80, v10
; %bb.11388:                            ;   in Loop: Header=BB6_9656 Depth=2
	s_mov_b32 s23, 0x7f800001
	s_xor_b32 s10, exec_lo, -1
; %bb.11389:                            ;   in Loop: Header=BB6_9656 Depth=2
	s_or_b32 exec_lo, exec_lo, s25
	s_delay_alu instid0(SALU_CYCLE_1)
	s_and_b32 s10, s10, exec_lo
	s_or_saveexec_b32 s24, s24
	v_mov_b32_e32 v11, s23
	s_xor_b32 exec_lo, exec_lo, s24
	s_cbranch_execz .LBB6_10231
.LBB6_11390:                            ;   in Loop: Header=BB6_9656 Depth=2
	v_cmp_ne_u16_e32 vcc_lo, 0, v10
	v_mov_b32_e32 v11, 0
	s_and_not1_b32 s10, s10, exec_lo
	s_and_b32 s23, vcc_lo, exec_lo
	s_delay_alu instid0(SALU_CYCLE_1)
	s_or_b32 s10, s10, s23
	s_or_b32 exec_lo, exec_lo, s24
	s_and_saveexec_b32 s23, s10
	s_cbranch_execnz .LBB6_10232
	s_branch .LBB6_10233
.LBB6_11391:                            ;   in Loop: Header=BB6_9656 Depth=2
	s_mov_b32 s10, -1
	s_mov_b32 s25, exec_lo
                                        ; implicit-def: $sgpr23
	v_cmpx_eq_u16_e32 0x80, v82
; %bb.11392:                            ;   in Loop: Header=BB6_9656 Depth=2
	s_mov_b32 s23, 0x7f800001
	s_xor_b32 s10, exec_lo, -1
; %bb.11393:                            ;   in Loop: Header=BB6_9656 Depth=2
	s_or_b32 exec_lo, exec_lo, s25
	s_delay_alu instid0(SALU_CYCLE_1)
	s_and_b32 s10, s10, exec_lo
                                        ; implicit-def: $vgpr82
	s_or_saveexec_b32 s24, s24
	v_mov_b32_e32 v66, s23
	s_xor_b32 exec_lo, exec_lo, s24
	s_cbranch_execz .LBB6_10243
.LBB6_11394:                            ;   in Loop: Header=BB6_9656 Depth=2
	v_cmp_ne_u16_e32 vcc_lo, 0, v82
	v_mov_b32_e32 v66, 0
	s_and_not1_b32 s10, s10, exec_lo
	s_and_b32 s23, vcc_lo, exec_lo
	s_delay_alu instid0(SALU_CYCLE_1)
	s_or_b32 s10, s10, s23
	s_or_b32 exec_lo, exec_lo, s24
	s_and_saveexec_b32 s23, s10
	s_cbranch_execnz .LBB6_10244
	s_branch .LBB6_10245
.LBB6_11395:                            ;   in Loop: Header=BB6_9656 Depth=2
	s_mov_b32 s10, -1
	s_mov_b32 s25, exec_lo
                                        ; implicit-def: $sgpr23
	v_cmpx_eq_u16_e32 0x80, v66
; %bb.11396:                            ;   in Loop: Header=BB6_9656 Depth=2
	s_mov_b32 s23, 0x7f800001
	s_xor_b32 s10, exec_lo, -1
; %bb.11397:                            ;   in Loop: Header=BB6_9656 Depth=2
	s_or_b32 exec_lo, exec_lo, s25
	s_delay_alu instid0(SALU_CYCLE_1)
	s_and_b32 s10, s10, exec_lo
	s_or_saveexec_b32 s24, s24
	v_mov_b32_e32 v82, s23
	s_xor_b32 exec_lo, exec_lo, s24
	s_cbranch_execz .LBB6_10255
.LBB6_11398:                            ;   in Loop: Header=BB6_9656 Depth=2
	v_cmp_ne_u16_e32 vcc_lo, 0, v66
	v_mov_b32_e32 v82, 0
	s_and_not1_b32 s10, s10, exec_lo
	s_and_b32 s23, vcc_lo, exec_lo
	s_delay_alu instid0(SALU_CYCLE_1)
	s_or_b32 s10, s10, s23
	s_or_b32 exec_lo, exec_lo, s24
	s_and_saveexec_b32 s23, s10
	s_cbranch_execnz .LBB6_10256
	s_branch .LBB6_10257
.LBB6_11399:                            ;   in Loop: Header=BB6_9656 Depth=2
	s_mov_b32 s10, -1
	s_mov_b32 s25, exec_lo
                                        ; implicit-def: $sgpr23
	v_cmpx_eq_u16_e32 0x80, v83
; %bb.11400:                            ;   in Loop: Header=BB6_9656 Depth=2
	s_mov_b32 s23, 0x7f800001
	s_xor_b32 s10, exec_lo, -1
; %bb.11401:                            ;   in Loop: Header=BB6_9656 Depth=2
	s_or_b32 exec_lo, exec_lo, s25
	s_delay_alu instid0(SALU_CYCLE_1)
	s_and_b32 s10, s10, exec_lo
                                        ; implicit-def: $vgpr83
	s_or_saveexec_b32 s24, s24
	v_mov_b32_e32 v82, s23
	s_xor_b32 exec_lo, exec_lo, s24
	s_cbranch_execz .LBB6_10267
.LBB6_11402:                            ;   in Loop: Header=BB6_9656 Depth=2
	v_cmp_ne_u16_e32 vcc_lo, 0, v83
	v_mov_b32_e32 v82, 0
	s_and_not1_b32 s10, s10, exec_lo
	s_and_b32 s23, vcc_lo, exec_lo
	s_delay_alu instid0(SALU_CYCLE_1)
	s_or_b32 s10, s10, s23
	s_or_b32 exec_lo, exec_lo, s24
	s_and_saveexec_b32 s23, s10
	s_cbranch_execnz .LBB6_10268
	s_branch .LBB6_10269
.LBB6_11403:                            ;   in Loop: Header=BB6_9656 Depth=2
	s_mov_b32 s10, -1
	s_mov_b32 s25, exec_lo
                                        ; implicit-def: $sgpr23
	v_cmpx_eq_u16_e32 0x80, v66
; %bb.11404:                            ;   in Loop: Header=BB6_9656 Depth=2
	s_mov_b32 s23, 0x7f800001
	s_xor_b32 s10, exec_lo, -1
; %bb.11405:                            ;   in Loop: Header=BB6_9656 Depth=2
	s_or_b32 exec_lo, exec_lo, s25
	s_delay_alu instid0(SALU_CYCLE_1)
	s_and_b32 s10, s10, exec_lo
	s_or_saveexec_b32 s24, s24
	v_mov_b32_e32 v82, s23
	s_xor_b32 exec_lo, exec_lo, s24
	s_cbranch_execz .LBB6_10279
.LBB6_11406:                            ;   in Loop: Header=BB6_9656 Depth=2
	v_cmp_ne_u16_e32 vcc_lo, 0, v66
	v_mov_b32_e32 v82, 0
	s_and_not1_b32 s10, s10, exec_lo
	s_and_b32 s23, vcc_lo, exec_lo
	s_delay_alu instid0(SALU_CYCLE_1)
	s_or_b32 s10, s10, s23
	s_or_b32 exec_lo, exec_lo, s24
	s_and_saveexec_b32 s23, s10
	s_cbranch_execnz .LBB6_10280
	s_branch .LBB6_10281
.LBB6_11407:                            ;   in Loop: Header=BB6_9656 Depth=2
	s_mov_b32 s10, -1
	s_mov_b32 s25, exec_lo
                                        ; implicit-def: $sgpr23
	v_cmpx_eq_u16_e32 0x80, v66
; %bb.11408:                            ;   in Loop: Header=BB6_9656 Depth=2
	s_mov_b32 s23, 0x7f800001
	s_xor_b32 s10, exec_lo, -1
; %bb.11409:                            ;   in Loop: Header=BB6_9656 Depth=2
	s_or_b32 exec_lo, exec_lo, s25
	s_delay_alu instid0(SALU_CYCLE_1)
	s_and_b32 s10, s10, exec_lo
                                        ; implicit-def: $vgpr66
	s_or_saveexec_b32 s24, s24
	v_mov_b32_e32 v10, s23
	s_xor_b32 exec_lo, exec_lo, s24
	s_cbranch_execz .LBB6_10291
.LBB6_11410:                            ;   in Loop: Header=BB6_9656 Depth=2
	v_cmp_ne_u16_e32 vcc_lo, 0, v66
	v_mov_b32_e32 v10, 0
	s_and_not1_b32 s10, s10, exec_lo
	s_and_b32 s23, vcc_lo, exec_lo
	s_delay_alu instid0(SALU_CYCLE_1)
	s_or_b32 s10, s10, s23
	s_or_b32 exec_lo, exec_lo, s24
	s_and_saveexec_b32 s23, s10
	s_cbranch_execnz .LBB6_10292
	s_branch .LBB6_10293
.LBB6_11411:                            ;   in Loop: Header=BB6_9656 Depth=2
	s_mov_b32 s10, -1
	s_mov_b32 s25, exec_lo
                                        ; implicit-def: $sgpr23
	v_cmpx_eq_u16_e32 0x80, v10
; %bb.11412:                            ;   in Loop: Header=BB6_9656 Depth=2
	s_mov_b32 s23, 0x7f800001
	s_xor_b32 s10, exec_lo, -1
; %bb.11413:                            ;   in Loop: Header=BB6_9656 Depth=2
	s_or_b32 exec_lo, exec_lo, s25
	s_delay_alu instid0(SALU_CYCLE_1)
	s_and_b32 s10, s10, exec_lo
	s_or_saveexec_b32 s24, s24
	v_mov_b32_e32 v66, s23
	s_xor_b32 exec_lo, exec_lo, s24
	s_cbranch_execz .LBB6_10303
.LBB6_11414:                            ;   in Loop: Header=BB6_9656 Depth=2
	v_cmp_ne_u16_e32 vcc_lo, 0, v10
	v_mov_b32_e32 v66, 0
	s_and_not1_b32 s10, s10, exec_lo
	s_and_b32 s23, vcc_lo, exec_lo
	s_delay_alu instid0(SALU_CYCLE_1)
	s_or_b32 s10, s10, s23
	s_or_b32 exec_lo, exec_lo, s24
	s_and_saveexec_b32 s23, s10
	s_cbranch_execnz .LBB6_10304
	s_branch .LBB6_10305
.LBB6_11415:                            ;   in Loop: Header=BB6_9656 Depth=2
	s_mov_b32 s10, -1
	s_mov_b32 s25, exec_lo
                                        ; implicit-def: $sgpr23
	v_cmpx_eq_u16_e32 0x80, v82
; %bb.11416:                            ;   in Loop: Header=BB6_9656 Depth=2
	s_mov_b32 s23, 0x7f800001
	s_xor_b32 s10, exec_lo, -1
; %bb.11417:                            ;   in Loop: Header=BB6_9656 Depth=2
	s_or_b32 exec_lo, exec_lo, s25
	s_delay_alu instid0(SALU_CYCLE_1)
	s_and_b32 s10, s10, exec_lo
                                        ; implicit-def: $vgpr82
	s_or_saveexec_b32 s24, s24
	v_mov_b32_e32 v66, s23
	s_xor_b32 exec_lo, exec_lo, s24
	s_cbranch_execz .LBB6_10315
.LBB6_11418:                            ;   in Loop: Header=BB6_9656 Depth=2
	v_cmp_ne_u16_e32 vcc_lo, 0, v82
	v_mov_b32_e32 v66, 0
	s_and_not1_b32 s10, s10, exec_lo
	s_and_b32 s23, vcc_lo, exec_lo
	s_delay_alu instid0(SALU_CYCLE_1)
	s_or_b32 s10, s10, s23
	s_or_b32 exec_lo, exec_lo, s24
	s_and_saveexec_b32 s23, s10
	s_cbranch_execnz .LBB6_10316
	s_branch .LBB6_10317
.LBB6_11419:                            ;   in Loop: Header=BB6_9656 Depth=2
	s_mov_b32 s10, -1
	s_mov_b32 s25, exec_lo
                                        ; implicit-def: $sgpr23
	v_cmpx_eq_u16_e32 0x80, v10
; %bb.11420:                            ;   in Loop: Header=BB6_9656 Depth=2
	s_mov_b32 s23, 0x7f800001
	s_xor_b32 s10, exec_lo, -1
; %bb.11421:                            ;   in Loop: Header=BB6_9656 Depth=2
	s_or_b32 exec_lo, exec_lo, s25
	s_delay_alu instid0(SALU_CYCLE_1)
	s_and_b32 s10, s10, exec_lo
	s_or_saveexec_b32 s24, s24
	v_mov_b32_e32 v66, s23
	s_xor_b32 exec_lo, exec_lo, s24
	s_cbranch_execz .LBB6_10327
.LBB6_11422:                            ;   in Loop: Header=BB6_9656 Depth=2
	v_cmp_ne_u16_e32 vcc_lo, 0, v10
	v_mov_b32_e32 v66, 0
	s_and_not1_b32 s10, s10, exec_lo
	s_and_b32 s23, vcc_lo, exec_lo
	s_delay_alu instid0(SALU_CYCLE_1)
	s_or_b32 s10, s10, s23
	s_or_b32 exec_lo, exec_lo, s24
	s_and_saveexec_b32 s23, s10
	s_cbranch_execnz .LBB6_10328
	s_branch .LBB6_10329
.LBB6_11423:                            ;   in Loop: Header=BB6_9656 Depth=2
	s_mov_b32 s10, -1
	s_mov_b32 s25, exec_lo
                                        ; implicit-def: $sgpr23
	v_cmpx_eq_u16_e32 0x80, v11
; %bb.11424:                            ;   in Loop: Header=BB6_9656 Depth=2
	s_mov_b32 s23, 0x7f800001
	s_xor_b32 s10, exec_lo, -1
; %bb.11425:                            ;   in Loop: Header=BB6_9656 Depth=2
	s_or_b32 exec_lo, exec_lo, s25
	s_delay_alu instid0(SALU_CYCLE_1)
	s_and_b32 s10, s10, exec_lo
                                        ; implicit-def: $vgpr11
	s_or_saveexec_b32 s24, s24
	v_mov_b32_e32 v10, s23
	s_xor_b32 exec_lo, exec_lo, s24
	s_cbranch_execz .LBB6_10339
.LBB6_11426:                            ;   in Loop: Header=BB6_9656 Depth=2
	v_cmp_ne_u16_e32 vcc_lo, 0, v11
	v_mov_b32_e32 v10, 0
	s_and_not1_b32 s10, s10, exec_lo
	s_and_b32 s23, vcc_lo, exec_lo
	s_delay_alu instid0(SALU_CYCLE_1)
	s_or_b32 s10, s10, s23
	s_or_b32 exec_lo, exec_lo, s24
	s_and_saveexec_b32 s23, s10
	s_cbranch_execnz .LBB6_10340
	s_branch .LBB6_10341
.LBB6_11427:                            ;   in Loop: Header=BB6_9656 Depth=2
	s_mov_b32 s10, -1
	s_mov_b32 s25, exec_lo
                                        ; implicit-def: $sgpr23
	v_cmpx_eq_u16_e32 0x80, v10
; %bb.11428:                            ;   in Loop: Header=BB6_9656 Depth=2
	s_mov_b32 s23, 0x7f800001
	s_xor_b32 s10, exec_lo, -1
; %bb.11429:                            ;   in Loop: Header=BB6_9656 Depth=2
	s_or_b32 exec_lo, exec_lo, s25
	s_delay_alu instid0(SALU_CYCLE_1)
	s_and_b32 s10, s10, exec_lo
	s_or_saveexec_b32 s24, s24
	v_mov_b32_e32 v11, s23
	s_xor_b32 exec_lo, exec_lo, s24
	s_cbranch_execz .LBB6_10351
.LBB6_11430:                            ;   in Loop: Header=BB6_9656 Depth=2
	v_cmp_ne_u16_e32 vcc_lo, 0, v10
	v_mov_b32_e32 v11, 0
	s_and_not1_b32 s10, s10, exec_lo
	s_and_b32 s23, vcc_lo, exec_lo
	s_delay_alu instid0(SALU_CYCLE_1)
	s_or_b32 s10, s10, s23
	s_or_b32 exec_lo, exec_lo, s24
	s_and_saveexec_b32 s23, s10
	s_cbranch_execnz .LBB6_10352
	s_branch .LBB6_10353
.LBB6_11431:                            ;   in Loop: Header=BB6_9656 Depth=2
	s_mov_b32 s10, -1
	s_mov_b32 s25, exec_lo
                                        ; implicit-def: $sgpr23
	v_cmpx_eq_u16_e32 0x80, v66
; %bb.11432:                            ;   in Loop: Header=BB6_9656 Depth=2
	s_mov_b32 s23, 0x7f800001
	s_xor_b32 s10, exec_lo, -1
; %bb.11433:                            ;   in Loop: Header=BB6_9656 Depth=2
	s_or_b32 exec_lo, exec_lo, s25
	s_delay_alu instid0(SALU_CYCLE_1)
	s_and_b32 s10, s10, exec_lo
                                        ; implicit-def: $vgpr66
	s_or_saveexec_b32 s24, s24
	v_mov_b32_e32 v11, s23
	s_xor_b32 exec_lo, exec_lo, s24
	s_cbranch_execz .LBB6_10363
.LBB6_11434:                            ;   in Loop: Header=BB6_9656 Depth=2
	v_cmp_ne_u16_e32 vcc_lo, 0, v66
	v_mov_b32_e32 v11, 0
	s_and_not1_b32 s10, s10, exec_lo
	s_and_b32 s23, vcc_lo, exec_lo
	s_delay_alu instid0(SALU_CYCLE_1)
	s_or_b32 s10, s10, s23
	s_or_b32 exec_lo, exec_lo, s24
	s_and_saveexec_b32 s23, s10
	s_cbranch_execnz .LBB6_10364
	s_branch .LBB6_10365
.LBB6_11435:                            ;   in Loop: Header=BB6_9656 Depth=2
	s_mov_b32 s10, -1
	s_mov_b32 s25, exec_lo
                                        ; implicit-def: $sgpr23
	v_cmpx_eq_u16_e32 0x80, v10
; %bb.11436:                            ;   in Loop: Header=BB6_9656 Depth=2
	s_mov_b32 s23, 0x7f800001
	s_xor_b32 s10, exec_lo, -1
; %bb.11437:                            ;   in Loop: Header=BB6_9656 Depth=2
	s_or_b32 exec_lo, exec_lo, s25
	s_delay_alu instid0(SALU_CYCLE_1)
	s_and_b32 s10, s10, exec_lo
	s_or_saveexec_b32 s24, s24
	v_mov_b32_e32 v11, s23
	s_xor_b32 exec_lo, exec_lo, s24
	s_cbranch_execz .LBB6_10375
.LBB6_11438:                            ;   in Loop: Header=BB6_9656 Depth=2
	v_cmp_ne_u16_e32 vcc_lo, 0, v10
	v_mov_b32_e32 v11, 0
	s_and_not1_b32 s10, s10, exec_lo
	s_and_b32 s23, vcc_lo, exec_lo
	s_delay_alu instid0(SALU_CYCLE_1)
	s_or_b32 s10, s10, s23
	s_or_b32 exec_lo, exec_lo, s24
	s_and_saveexec_b32 s23, s10
	s_cbranch_execnz .LBB6_10376
	s_branch .LBB6_10377
.LBB6_11439:                            ;   in Loop: Header=BB6_9656 Depth=2
	s_mov_b32 s10, -1
	s_mov_b32 s25, exec_lo
                                        ; implicit-def: $sgpr23
	v_cmpx_eq_u16_e32 0x80, v11
; %bb.11440:                            ;   in Loop: Header=BB6_9656 Depth=2
	s_mov_b32 s23, 0x7f800001
	s_xor_b32 s10, exec_lo, -1
; %bb.11441:                            ;   in Loop: Header=BB6_9656 Depth=2
	s_or_b32 exec_lo, exec_lo, s25
	s_delay_alu instid0(SALU_CYCLE_1)
	s_and_b32 s10, s10, exec_lo
                                        ; implicit-def: $vgpr11
	s_or_saveexec_b32 s24, s24
	v_mov_b32_e32 v10, s23
	s_xor_b32 exec_lo, exec_lo, s24
	s_cbranch_execz .LBB6_10387
.LBB6_11442:                            ;   in Loop: Header=BB6_9656 Depth=2
	v_cmp_ne_u16_e32 vcc_lo, 0, v11
	v_mov_b32_e32 v10, 0
	s_and_not1_b32 s10, s10, exec_lo
	s_and_b32 s23, vcc_lo, exec_lo
	s_delay_alu instid0(SALU_CYCLE_1)
	s_or_b32 s10, s10, s23
	s_or_b32 exec_lo, exec_lo, s24
	s_and_saveexec_b32 s23, s10
	s_cbranch_execnz .LBB6_10388
	s_branch .LBB6_10389
.LBB6_11443:                            ;   in Loop: Header=BB6_9656 Depth=2
	s_mov_b32 s10, -1
	s_mov_b32 s25, exec_lo
                                        ; implicit-def: $sgpr23
	v_cmpx_eq_u16_e32 0x80, v10
; %bb.11444:                            ;   in Loop: Header=BB6_9656 Depth=2
	s_mov_b32 s23, 0x7f800001
	s_xor_b32 s10, exec_lo, -1
; %bb.11445:                            ;   in Loop: Header=BB6_9656 Depth=2
	s_or_b32 exec_lo, exec_lo, s25
	s_delay_alu instid0(SALU_CYCLE_1)
	s_and_b32 s10, s10, exec_lo
	s_or_saveexec_b32 s24, s24
	v_mov_b32_e32 v11, s23
	s_xor_b32 exec_lo, exec_lo, s24
	s_cbranch_execz .LBB6_10399
.LBB6_11446:                            ;   in Loop: Header=BB6_9656 Depth=2
	v_cmp_ne_u16_e32 vcc_lo, 0, v10
	v_mov_b32_e32 v11, 0
	s_and_not1_b32 s10, s10, exec_lo
	s_and_b32 s23, vcc_lo, exec_lo
	s_delay_alu instid0(SALU_CYCLE_1)
	s_or_b32 s10, s10, s23
	s_or_b32 exec_lo, exec_lo, s24
	s_and_saveexec_b32 s23, s10
	s_cbranch_execnz .LBB6_10400
	s_branch .LBB6_10401
.LBB6_11447:                            ;   in Loop: Header=BB6_9656 Depth=2
	s_mov_b32 s10, -1
	s_mov_b32 s25, exec_lo
                                        ; implicit-def: $sgpr23
	v_cmpx_eq_u16_e32 0x80, v12
; %bb.11448:                            ;   in Loop: Header=BB6_9656 Depth=2
	s_mov_b32 s23, 0x7f800001
	s_xor_b32 s10, exec_lo, -1
; %bb.11449:                            ;   in Loop: Header=BB6_9656 Depth=2
	s_or_b32 exec_lo, exec_lo, s25
	s_delay_alu instid0(SALU_CYCLE_1)
	s_and_b32 s10, s10, exec_lo
                                        ; implicit-def: $vgpr12
	s_or_saveexec_b32 s24, s24
	v_mov_b32_e32 v11, s23
	s_xor_b32 exec_lo, exec_lo, s24
	s_cbranch_execz .LBB6_10411
.LBB6_11450:                            ;   in Loop: Header=BB6_9656 Depth=2
	v_cmp_ne_u16_e32 vcc_lo, 0, v12
	v_mov_b32_e32 v11, 0
	s_and_not1_b32 s10, s10, exec_lo
	s_and_b32 s23, vcc_lo, exec_lo
	s_delay_alu instid0(SALU_CYCLE_1)
	s_or_b32 s10, s10, s23
	s_or_b32 exec_lo, exec_lo, s24
	s_and_saveexec_b32 s23, s10
	s_cbranch_execnz .LBB6_10412
	s_branch .LBB6_10413
.LBB6_11451:                            ;   in Loop: Header=BB6_9656 Depth=2
	s_mov_b32 s10, -1
	s_mov_b32 s25, exec_lo
                                        ; implicit-def: $sgpr23
	v_cmpx_eq_u16_e32 0x80, v10
; %bb.11452:                            ;   in Loop: Header=BB6_9656 Depth=2
	s_mov_b32 s23, 0x7f800001
	s_xor_b32 s10, exec_lo, -1
; %bb.11453:                            ;   in Loop: Header=BB6_9656 Depth=2
	s_or_b32 exec_lo, exec_lo, s25
	s_delay_alu instid0(SALU_CYCLE_1)
	s_and_b32 s10, s10, exec_lo
	s_or_saveexec_b32 s24, s24
	v_mov_b32_e32 v11, s23
	s_xor_b32 exec_lo, exec_lo, s24
	s_cbranch_execz .LBB6_10423
.LBB6_11454:                            ;   in Loop: Header=BB6_9656 Depth=2
	v_cmp_ne_u16_e32 vcc_lo, 0, v10
	v_mov_b32_e32 v11, 0
	s_and_not1_b32 s10, s10, exec_lo
	s_and_b32 s23, vcc_lo, exec_lo
	s_delay_alu instid0(SALU_CYCLE_1)
	s_or_b32 s10, s10, s23
	s_or_b32 exec_lo, exec_lo, s24
	s_and_saveexec_b32 s23, s10
	s_cbranch_execnz .LBB6_10424
	s_branch .LBB6_10425
.LBB6_11455:                            ;   in Loop: Header=BB6_9656 Depth=2
	s_mov_b32 s10, -1
	s_mov_b32 s25, exec_lo
                                        ; implicit-def: $sgpr23
	v_cmpx_eq_u16_e32 0x80, v82
; %bb.11456:                            ;   in Loop: Header=BB6_9656 Depth=2
	s_mov_b32 s23, 0x7f800001
	s_xor_b32 s10, exec_lo, -1
; %bb.11457:                            ;   in Loop: Header=BB6_9656 Depth=2
	s_or_b32 exec_lo, exec_lo, s25
	s_delay_alu instid0(SALU_CYCLE_1)
	s_and_b32 s10, s10, exec_lo
                                        ; implicit-def: $vgpr82
	s_or_saveexec_b32 s24, s24
	v_mov_b32_e32 v66, s23
	s_xor_b32 exec_lo, exec_lo, s24
	s_cbranch_execz .LBB6_10435
.LBB6_11458:                            ;   in Loop: Header=BB6_9656 Depth=2
	v_cmp_ne_u16_e32 vcc_lo, 0, v82
	v_mov_b32_e32 v66, 0
	s_and_not1_b32 s10, s10, exec_lo
	s_and_b32 s23, vcc_lo, exec_lo
	s_delay_alu instid0(SALU_CYCLE_1)
	s_or_b32 s10, s10, s23
	s_or_b32 exec_lo, exec_lo, s24
	s_and_saveexec_b32 s23, s10
	s_cbranch_execnz .LBB6_10436
	s_branch .LBB6_10437
.LBB6_11459:                            ;   in Loop: Header=BB6_9656 Depth=2
	s_mov_b32 s10, -1
	s_mov_b32 s25, exec_lo
                                        ; implicit-def: $sgpr23
	v_cmpx_eq_u16_e32 0x80, v66
; %bb.11460:                            ;   in Loop: Header=BB6_9656 Depth=2
	s_mov_b32 s23, 0x7f800001
	s_xor_b32 s10, exec_lo, -1
; %bb.11461:                            ;   in Loop: Header=BB6_9656 Depth=2
	s_or_b32 exec_lo, exec_lo, s25
	s_delay_alu instid0(SALU_CYCLE_1)
	s_and_b32 s10, s10, exec_lo
	s_or_saveexec_b32 s24, s24
	v_mov_b32_e32 v82, s23
	s_xor_b32 exec_lo, exec_lo, s24
	s_cbranch_execz .LBB6_10447
.LBB6_11462:                            ;   in Loop: Header=BB6_9656 Depth=2
	v_cmp_ne_u16_e32 vcc_lo, 0, v66
	v_mov_b32_e32 v82, 0
	s_and_not1_b32 s10, s10, exec_lo
	s_and_b32 s23, vcc_lo, exec_lo
	s_delay_alu instid0(SALU_CYCLE_1)
	s_or_b32 s10, s10, s23
	s_or_b32 exec_lo, exec_lo, s24
	s_and_saveexec_b32 s23, s10
	s_cbranch_execnz .LBB6_10448
	s_branch .LBB6_10449
.LBB6_11463:                            ;   in Loop: Header=BB6_9656 Depth=2
	s_mov_b32 s10, -1
	s_mov_b32 s25, exec_lo
                                        ; implicit-def: $sgpr23
	v_cmpx_eq_u16_e32 0x80, v83
; %bb.11464:                            ;   in Loop: Header=BB6_9656 Depth=2
	s_mov_b32 s23, 0x7f800001
	s_xor_b32 s10, exec_lo, -1
; %bb.11465:                            ;   in Loop: Header=BB6_9656 Depth=2
	s_or_b32 exec_lo, exec_lo, s25
	s_delay_alu instid0(SALU_CYCLE_1)
	s_and_b32 s10, s10, exec_lo
                                        ; implicit-def: $vgpr83
	s_or_saveexec_b32 s24, s24
	v_mov_b32_e32 v82, s23
	s_xor_b32 exec_lo, exec_lo, s24
	s_cbranch_execz .LBB6_10459
.LBB6_11466:                            ;   in Loop: Header=BB6_9656 Depth=2
	v_cmp_ne_u16_e32 vcc_lo, 0, v83
	v_mov_b32_e32 v82, 0
	s_and_not1_b32 s10, s10, exec_lo
	s_and_b32 s23, vcc_lo, exec_lo
	s_delay_alu instid0(SALU_CYCLE_1)
	s_or_b32 s10, s10, s23
	s_or_b32 exec_lo, exec_lo, s24
	s_and_saveexec_b32 s23, s10
	s_cbranch_execnz .LBB6_10460
	s_branch .LBB6_10461
.LBB6_11467:                            ;   in Loop: Header=BB6_9656 Depth=2
	s_mov_b32 s10, -1
	s_mov_b32 s25, exec_lo
                                        ; implicit-def: $sgpr23
	v_cmpx_eq_u16_e32 0x80, v66
; %bb.11468:                            ;   in Loop: Header=BB6_9656 Depth=2
	s_mov_b32 s23, 0x7f800001
	s_xor_b32 s10, exec_lo, -1
; %bb.11469:                            ;   in Loop: Header=BB6_9656 Depth=2
	s_or_b32 exec_lo, exec_lo, s25
	s_delay_alu instid0(SALU_CYCLE_1)
	s_and_b32 s10, s10, exec_lo
	s_or_saveexec_b32 s24, s24
	v_mov_b32_e32 v82, s23
	s_xor_b32 exec_lo, exec_lo, s24
	s_cbranch_execz .LBB6_10471
.LBB6_11470:                            ;   in Loop: Header=BB6_9656 Depth=2
	v_cmp_ne_u16_e32 vcc_lo, 0, v66
	v_mov_b32_e32 v82, 0
	s_and_not1_b32 s10, s10, exec_lo
	s_and_b32 s23, vcc_lo, exec_lo
	s_delay_alu instid0(SALU_CYCLE_1)
	s_or_b32 s10, s10, s23
	s_or_b32 exec_lo, exec_lo, s24
	s_and_saveexec_b32 s23, s10
	s_cbranch_execnz .LBB6_10472
	s_branch .LBB6_10473
.LBB6_11471:                            ;   in Loop: Header=BB6_9656 Depth=2
	s_mov_b32 s10, -1
	s_mov_b32 s25, exec_lo
                                        ; implicit-def: $sgpr23
	v_cmpx_eq_u16_e32 0x80, v66
; %bb.11472:                            ;   in Loop: Header=BB6_9656 Depth=2
	s_mov_b32 s23, 0x7f800001
	s_xor_b32 s10, exec_lo, -1
; %bb.11473:                            ;   in Loop: Header=BB6_9656 Depth=2
	s_or_b32 exec_lo, exec_lo, s25
	s_delay_alu instid0(SALU_CYCLE_1)
	s_and_b32 s10, s10, exec_lo
                                        ; implicit-def: $vgpr66
	s_or_saveexec_b32 s24, s24
	v_mov_b32_e32 v10, s23
	s_xor_b32 exec_lo, exec_lo, s24
	s_cbranch_execz .LBB6_10483
.LBB6_11474:                            ;   in Loop: Header=BB6_9656 Depth=2
	v_cmp_ne_u16_e32 vcc_lo, 0, v66
	v_mov_b32_e32 v10, 0
	s_and_not1_b32 s10, s10, exec_lo
	s_and_b32 s23, vcc_lo, exec_lo
	s_delay_alu instid0(SALU_CYCLE_1)
	s_or_b32 s10, s10, s23
	s_or_b32 exec_lo, exec_lo, s24
	s_and_saveexec_b32 s23, s10
	s_cbranch_execnz .LBB6_10484
	s_branch .LBB6_10485
.LBB6_11475:                            ;   in Loop: Header=BB6_9656 Depth=2
	s_mov_b32 s10, -1
	s_mov_b32 s25, exec_lo
                                        ; implicit-def: $sgpr23
	v_cmpx_eq_u16_e32 0x80, v10
; %bb.11476:                            ;   in Loop: Header=BB6_9656 Depth=2
	s_mov_b32 s23, 0x7f800001
	s_xor_b32 s10, exec_lo, -1
; %bb.11477:                            ;   in Loop: Header=BB6_9656 Depth=2
	s_or_b32 exec_lo, exec_lo, s25
	s_delay_alu instid0(SALU_CYCLE_1)
	s_and_b32 s10, s10, exec_lo
	s_or_saveexec_b32 s24, s24
	v_mov_b32_e32 v66, s23
	s_xor_b32 exec_lo, exec_lo, s24
	s_cbranch_execz .LBB6_10495
.LBB6_11478:                            ;   in Loop: Header=BB6_9656 Depth=2
	v_cmp_ne_u16_e32 vcc_lo, 0, v10
	v_mov_b32_e32 v66, 0
	s_and_not1_b32 s10, s10, exec_lo
	s_and_b32 s23, vcc_lo, exec_lo
	s_delay_alu instid0(SALU_CYCLE_1)
	s_or_b32 s10, s10, s23
	s_or_b32 exec_lo, exec_lo, s24
	s_and_saveexec_b32 s23, s10
	s_cbranch_execnz .LBB6_10496
	s_branch .LBB6_10497
.LBB6_11479:                            ;   in Loop: Header=BB6_9656 Depth=2
	s_mov_b32 s10, -1
	s_mov_b32 s25, exec_lo
                                        ; implicit-def: $sgpr23
	v_cmpx_eq_u16_e32 0x80, v82
; %bb.11480:                            ;   in Loop: Header=BB6_9656 Depth=2
	s_mov_b32 s23, 0x7f800001
	s_xor_b32 s10, exec_lo, -1
; %bb.11481:                            ;   in Loop: Header=BB6_9656 Depth=2
	s_or_b32 exec_lo, exec_lo, s25
	s_delay_alu instid0(SALU_CYCLE_1)
	s_and_b32 s10, s10, exec_lo
                                        ; implicit-def: $vgpr82
	s_or_saveexec_b32 s24, s24
	v_mov_b32_e32 v66, s23
	s_xor_b32 exec_lo, exec_lo, s24
	s_cbranch_execz .LBB6_10507
.LBB6_11482:                            ;   in Loop: Header=BB6_9656 Depth=2
	v_cmp_ne_u16_e32 vcc_lo, 0, v82
	v_mov_b32_e32 v66, 0
	s_and_not1_b32 s10, s10, exec_lo
	s_and_b32 s23, vcc_lo, exec_lo
	s_delay_alu instid0(SALU_CYCLE_1)
	s_or_b32 s10, s10, s23
	s_or_b32 exec_lo, exec_lo, s24
	s_and_saveexec_b32 s23, s10
	s_cbranch_execnz .LBB6_10508
	s_branch .LBB6_10509
.LBB6_11483:                            ;   in Loop: Header=BB6_9656 Depth=2
	s_mov_b32 s10, -1
	s_mov_b32 s25, exec_lo
                                        ; implicit-def: $sgpr23
	v_cmpx_eq_u16_e32 0x80, v10
; %bb.11484:                            ;   in Loop: Header=BB6_9656 Depth=2
	s_mov_b32 s23, 0x7f800001
	s_xor_b32 s10, exec_lo, -1
; %bb.11485:                            ;   in Loop: Header=BB6_9656 Depth=2
	s_or_b32 exec_lo, exec_lo, s25
	s_delay_alu instid0(SALU_CYCLE_1)
	s_and_b32 s10, s10, exec_lo
	s_or_saveexec_b32 s24, s24
	v_mov_b32_e32 v66, s23
	s_xor_b32 exec_lo, exec_lo, s24
	s_cbranch_execz .LBB6_10519
.LBB6_11486:                            ;   in Loop: Header=BB6_9656 Depth=2
	v_cmp_ne_u16_e32 vcc_lo, 0, v10
	v_mov_b32_e32 v66, 0
	s_and_not1_b32 s10, s10, exec_lo
	s_and_b32 s23, vcc_lo, exec_lo
	s_delay_alu instid0(SALU_CYCLE_1)
	s_or_b32 s10, s10, s23
	s_or_b32 exec_lo, exec_lo, s24
	s_and_saveexec_b32 s23, s10
	s_cbranch_execnz .LBB6_10520
	s_branch .LBB6_10521
.LBB6_11487:                            ;   in Loop: Header=BB6_9656 Depth=2
	s_mov_b32 s10, -1
	s_mov_b32 s25, exec_lo
                                        ; implicit-def: $sgpr23
	v_cmpx_eq_u16_e32 0x80, v11
; %bb.11488:                            ;   in Loop: Header=BB6_9656 Depth=2
	s_mov_b32 s23, 0x7f800001
	s_xor_b32 s10, exec_lo, -1
; %bb.11489:                            ;   in Loop: Header=BB6_9656 Depth=2
	s_or_b32 exec_lo, exec_lo, s25
	s_delay_alu instid0(SALU_CYCLE_1)
	s_and_b32 s10, s10, exec_lo
                                        ; implicit-def: $vgpr11
	s_or_saveexec_b32 s24, s24
	v_mov_b32_e32 v10, s23
	s_xor_b32 exec_lo, exec_lo, s24
	s_cbranch_execz .LBB6_10531
.LBB6_11490:                            ;   in Loop: Header=BB6_9656 Depth=2
	v_cmp_ne_u16_e32 vcc_lo, 0, v11
	v_mov_b32_e32 v10, 0
	s_and_not1_b32 s10, s10, exec_lo
	s_and_b32 s23, vcc_lo, exec_lo
	s_delay_alu instid0(SALU_CYCLE_1)
	s_or_b32 s10, s10, s23
	s_or_b32 exec_lo, exec_lo, s24
	s_and_saveexec_b32 s23, s10
	s_cbranch_execnz .LBB6_10532
	s_branch .LBB6_10533
.LBB6_11491:                            ;   in Loop: Header=BB6_9656 Depth=2
	s_mov_b32 s10, -1
	s_mov_b32 s25, exec_lo
                                        ; implicit-def: $sgpr23
	v_cmpx_eq_u16_e32 0x80, v10
; %bb.11492:                            ;   in Loop: Header=BB6_9656 Depth=2
	s_mov_b32 s23, 0x7f800001
	s_xor_b32 s10, exec_lo, -1
; %bb.11493:                            ;   in Loop: Header=BB6_9656 Depth=2
	s_or_b32 exec_lo, exec_lo, s25
	s_delay_alu instid0(SALU_CYCLE_1)
	s_and_b32 s10, s10, exec_lo
	s_or_saveexec_b32 s24, s24
	v_mov_b32_e32 v11, s23
	s_xor_b32 exec_lo, exec_lo, s24
	s_cbranch_execz .LBB6_10543
.LBB6_11494:                            ;   in Loop: Header=BB6_9656 Depth=2
	v_cmp_ne_u16_e32 vcc_lo, 0, v10
	v_mov_b32_e32 v11, 0
	s_and_not1_b32 s10, s10, exec_lo
	s_and_b32 s23, vcc_lo, exec_lo
	s_delay_alu instid0(SALU_CYCLE_1)
	s_or_b32 s10, s10, s23
	s_or_b32 exec_lo, exec_lo, s24
	s_and_saveexec_b32 s23, s10
	s_cbranch_execnz .LBB6_10544
	s_branch .LBB6_10545
.LBB6_11495:                            ;   in Loop: Header=BB6_9656 Depth=2
	s_mov_b32 s10, -1
	s_mov_b32 s25, exec_lo
                                        ; implicit-def: $sgpr23
	v_cmpx_eq_u16_e32 0x80, v66
; %bb.11496:                            ;   in Loop: Header=BB6_9656 Depth=2
	s_mov_b32 s23, 0x7f800001
	s_xor_b32 s10, exec_lo, -1
; %bb.11497:                            ;   in Loop: Header=BB6_9656 Depth=2
	s_or_b32 exec_lo, exec_lo, s25
	s_delay_alu instid0(SALU_CYCLE_1)
	s_and_b32 s10, s10, exec_lo
                                        ; implicit-def: $vgpr66
	s_or_saveexec_b32 s24, s24
	v_mov_b32_e32 v11, s23
	s_xor_b32 exec_lo, exec_lo, s24
	s_cbranch_execz .LBB6_10555
.LBB6_11498:                            ;   in Loop: Header=BB6_9656 Depth=2
	v_cmp_ne_u16_e32 vcc_lo, 0, v66
	v_mov_b32_e32 v11, 0
	s_and_not1_b32 s10, s10, exec_lo
	s_and_b32 s23, vcc_lo, exec_lo
	s_delay_alu instid0(SALU_CYCLE_1)
	s_or_b32 s10, s10, s23
	s_or_b32 exec_lo, exec_lo, s24
	s_and_saveexec_b32 s23, s10
	s_cbranch_execnz .LBB6_10556
	s_branch .LBB6_10557
.LBB6_11499:                            ;   in Loop: Header=BB6_9656 Depth=2
	s_mov_b32 s10, -1
	s_mov_b32 s25, exec_lo
                                        ; implicit-def: $sgpr23
	v_cmpx_eq_u16_e32 0x80, v10
; %bb.11500:                            ;   in Loop: Header=BB6_9656 Depth=2
	s_mov_b32 s23, 0x7f800001
	s_xor_b32 s10, exec_lo, -1
; %bb.11501:                            ;   in Loop: Header=BB6_9656 Depth=2
	s_or_b32 exec_lo, exec_lo, s25
	s_delay_alu instid0(SALU_CYCLE_1)
	s_and_b32 s10, s10, exec_lo
	s_or_saveexec_b32 s24, s24
	v_mov_b32_e32 v11, s23
	s_xor_b32 exec_lo, exec_lo, s24
	s_cbranch_execz .LBB6_10567
.LBB6_11502:                            ;   in Loop: Header=BB6_9656 Depth=2
	v_cmp_ne_u16_e32 vcc_lo, 0, v10
	v_mov_b32_e32 v11, 0
	s_and_not1_b32 s10, s10, exec_lo
	s_and_b32 s23, vcc_lo, exec_lo
	s_delay_alu instid0(SALU_CYCLE_1)
	s_or_b32 s10, s10, s23
	s_or_b32 exec_lo, exec_lo, s24
	s_and_saveexec_b32 s23, s10
	s_cbranch_execnz .LBB6_10568
	s_branch .LBB6_10569
.LBB6_11503:                            ;   in Loop: Header=BB6_9656 Depth=2
	s_mov_b32 s10, -1
	s_mov_b32 s25, exec_lo
                                        ; implicit-def: $sgpr23
	v_cmpx_eq_u16_e32 0x80, v11
; %bb.11504:                            ;   in Loop: Header=BB6_9656 Depth=2
	s_mov_b32 s23, 0x7f800001
	s_xor_b32 s10, exec_lo, -1
; %bb.11505:                            ;   in Loop: Header=BB6_9656 Depth=2
	s_or_b32 exec_lo, exec_lo, s25
	s_delay_alu instid0(SALU_CYCLE_1)
	s_and_b32 s10, s10, exec_lo
                                        ; implicit-def: $vgpr11
	s_or_saveexec_b32 s24, s24
	v_mov_b32_e32 v10, s23
	s_xor_b32 exec_lo, exec_lo, s24
	s_cbranch_execz .LBB6_10579
.LBB6_11506:                            ;   in Loop: Header=BB6_9656 Depth=2
	v_cmp_ne_u16_e32 vcc_lo, 0, v11
	v_mov_b32_e32 v10, 0
	s_and_not1_b32 s10, s10, exec_lo
	s_and_b32 s23, vcc_lo, exec_lo
	s_delay_alu instid0(SALU_CYCLE_1)
	s_or_b32 s10, s10, s23
	s_or_b32 exec_lo, exec_lo, s24
	s_and_saveexec_b32 s23, s10
	s_cbranch_execnz .LBB6_10580
	s_branch .LBB6_10581
.LBB6_11507:                            ;   in Loop: Header=BB6_9656 Depth=2
	s_mov_b32 s10, -1
	s_mov_b32 s25, exec_lo
                                        ; implicit-def: $sgpr23
	v_cmpx_eq_u16_e32 0x80, v10
; %bb.11508:                            ;   in Loop: Header=BB6_9656 Depth=2
	s_mov_b32 s23, 0x7f800001
	s_xor_b32 s10, exec_lo, -1
; %bb.11509:                            ;   in Loop: Header=BB6_9656 Depth=2
	s_or_b32 exec_lo, exec_lo, s25
	s_delay_alu instid0(SALU_CYCLE_1)
	s_and_b32 s10, s10, exec_lo
	s_or_saveexec_b32 s24, s24
	v_mov_b32_e32 v11, s23
	s_xor_b32 exec_lo, exec_lo, s24
	s_cbranch_execz .LBB6_10591
.LBB6_11510:                            ;   in Loop: Header=BB6_9656 Depth=2
	v_cmp_ne_u16_e32 vcc_lo, 0, v10
	v_mov_b32_e32 v11, 0
	s_and_not1_b32 s10, s10, exec_lo
	s_and_b32 s23, vcc_lo, exec_lo
	s_delay_alu instid0(SALU_CYCLE_1)
	s_or_b32 s10, s10, s23
	s_or_b32 exec_lo, exec_lo, s24
	s_and_saveexec_b32 s23, s10
	s_cbranch_execnz .LBB6_10592
	s_branch .LBB6_10593
.LBB6_11511:                            ;   in Loop: Header=BB6_9656 Depth=2
	s_mov_b32 s10, -1
	s_mov_b32 s25, exec_lo
                                        ; implicit-def: $sgpr23
	v_cmpx_eq_u16_e32 0x80, v12
; %bb.11512:                            ;   in Loop: Header=BB6_9656 Depth=2
	s_mov_b32 s23, 0x7f800001
	s_xor_b32 s10, exec_lo, -1
; %bb.11513:                            ;   in Loop: Header=BB6_9656 Depth=2
	s_or_b32 exec_lo, exec_lo, s25
	s_delay_alu instid0(SALU_CYCLE_1)
	s_and_b32 s10, s10, exec_lo
                                        ; implicit-def: $vgpr12
	s_or_saveexec_b32 s24, s24
	v_mov_b32_e32 v11, s23
	s_xor_b32 exec_lo, exec_lo, s24
	s_cbranch_execz .LBB6_10603
.LBB6_11514:                            ;   in Loop: Header=BB6_9656 Depth=2
	v_cmp_ne_u16_e32 vcc_lo, 0, v12
	v_mov_b32_e32 v11, 0
	s_and_not1_b32 s10, s10, exec_lo
	s_and_b32 s23, vcc_lo, exec_lo
	s_delay_alu instid0(SALU_CYCLE_1)
	s_or_b32 s10, s10, s23
	s_or_b32 exec_lo, exec_lo, s24
	s_and_saveexec_b32 s23, s10
	s_cbranch_execnz .LBB6_10604
	s_branch .LBB6_10605
.LBB6_11515:                            ;   in Loop: Header=BB6_9656 Depth=2
	s_mov_b32 s10, -1
	s_mov_b32 s25, exec_lo
                                        ; implicit-def: $sgpr23
	v_cmpx_eq_u16_e32 0x80, v10
; %bb.11516:                            ;   in Loop: Header=BB6_9656 Depth=2
	s_mov_b32 s23, 0x7f800001
	s_xor_b32 s10, exec_lo, -1
; %bb.11517:                            ;   in Loop: Header=BB6_9656 Depth=2
	s_or_b32 exec_lo, exec_lo, s25
	s_delay_alu instid0(SALU_CYCLE_1)
	s_and_b32 s10, s10, exec_lo
	s_or_saveexec_b32 s24, s24
	v_mov_b32_e32 v11, s23
	s_xor_b32 exec_lo, exec_lo, s24
	s_cbranch_execz .LBB6_10615
.LBB6_11518:                            ;   in Loop: Header=BB6_9656 Depth=2
	v_cmp_ne_u16_e32 vcc_lo, 0, v10
	v_mov_b32_e32 v11, 0
	s_and_not1_b32 s10, s10, exec_lo
	s_and_b32 s23, vcc_lo, exec_lo
	s_delay_alu instid0(SALU_CYCLE_1)
	s_or_b32 s10, s10, s23
	s_or_b32 exec_lo, exec_lo, s24
	s_and_saveexec_b32 s23, s10
	s_cbranch_execnz .LBB6_10616
	s_branch .LBB6_10617
.LBB6_11519:                            ;   in Loop: Header=BB6_9656 Depth=2
	s_mov_b32 s10, -1
	s_mov_b32 s25, exec_lo
                                        ; implicit-def: $sgpr23
	v_cmpx_eq_u16_e32 0x80, v82
; %bb.11520:                            ;   in Loop: Header=BB6_9656 Depth=2
	s_mov_b32 s23, 0x7f800001
	s_xor_b32 s10, exec_lo, -1
; %bb.11521:                            ;   in Loop: Header=BB6_9656 Depth=2
	s_or_b32 exec_lo, exec_lo, s25
	s_delay_alu instid0(SALU_CYCLE_1)
	s_and_b32 s10, s10, exec_lo
                                        ; implicit-def: $vgpr82
	s_or_saveexec_b32 s24, s24
	v_mov_b32_e32 v66, s23
	s_xor_b32 exec_lo, exec_lo, s24
	s_cbranch_execz .LBB6_10627
.LBB6_11522:                            ;   in Loop: Header=BB6_9656 Depth=2
	v_cmp_ne_u16_e32 vcc_lo, 0, v82
	v_mov_b32_e32 v66, 0
	s_and_not1_b32 s10, s10, exec_lo
	s_and_b32 s23, vcc_lo, exec_lo
	s_delay_alu instid0(SALU_CYCLE_1)
	s_or_b32 s10, s10, s23
	s_or_b32 exec_lo, exec_lo, s24
	s_and_saveexec_b32 s23, s10
	s_cbranch_execnz .LBB6_10628
	s_branch .LBB6_10629
.LBB6_11523:                            ;   in Loop: Header=BB6_9656 Depth=2
	s_mov_b32 s10, -1
	s_mov_b32 s25, exec_lo
                                        ; implicit-def: $sgpr23
	v_cmpx_eq_u16_e32 0x80, v66
; %bb.11524:                            ;   in Loop: Header=BB6_9656 Depth=2
	s_mov_b32 s23, 0x7f800001
	s_xor_b32 s10, exec_lo, -1
; %bb.11525:                            ;   in Loop: Header=BB6_9656 Depth=2
	s_or_b32 exec_lo, exec_lo, s25
	s_delay_alu instid0(SALU_CYCLE_1)
	s_and_b32 s10, s10, exec_lo
	s_or_saveexec_b32 s24, s24
	v_mov_b32_e32 v82, s23
	s_xor_b32 exec_lo, exec_lo, s24
	s_cbranch_execz .LBB6_10639
.LBB6_11526:                            ;   in Loop: Header=BB6_9656 Depth=2
	v_cmp_ne_u16_e32 vcc_lo, 0, v66
	v_mov_b32_e32 v82, 0
	s_and_not1_b32 s10, s10, exec_lo
	s_and_b32 s23, vcc_lo, exec_lo
	s_delay_alu instid0(SALU_CYCLE_1)
	s_or_b32 s10, s10, s23
	s_or_b32 exec_lo, exec_lo, s24
	s_and_saveexec_b32 s23, s10
	s_cbranch_execnz .LBB6_10640
	s_branch .LBB6_10641
.LBB6_11527:                            ;   in Loop: Header=BB6_9656 Depth=2
	s_mov_b32 s10, -1
	s_mov_b32 s25, exec_lo
                                        ; implicit-def: $sgpr23
	v_cmpx_eq_u16_e32 0x80, v83
; %bb.11528:                            ;   in Loop: Header=BB6_9656 Depth=2
	s_mov_b32 s23, 0x7f800001
	s_xor_b32 s10, exec_lo, -1
; %bb.11529:                            ;   in Loop: Header=BB6_9656 Depth=2
	s_or_b32 exec_lo, exec_lo, s25
	s_delay_alu instid0(SALU_CYCLE_1)
	s_and_b32 s10, s10, exec_lo
                                        ; implicit-def: $vgpr83
	s_or_saveexec_b32 s24, s24
	v_mov_b32_e32 v82, s23
	s_xor_b32 exec_lo, exec_lo, s24
	s_cbranch_execz .LBB6_10651
.LBB6_11530:                            ;   in Loop: Header=BB6_9656 Depth=2
	v_cmp_ne_u16_e32 vcc_lo, 0, v83
	v_mov_b32_e32 v82, 0
	s_and_not1_b32 s10, s10, exec_lo
	s_and_b32 s23, vcc_lo, exec_lo
	s_delay_alu instid0(SALU_CYCLE_1)
	s_or_b32 s10, s10, s23
	s_or_b32 exec_lo, exec_lo, s24
	s_and_saveexec_b32 s23, s10
	s_cbranch_execnz .LBB6_10652
	s_branch .LBB6_10653
.LBB6_11531:                            ;   in Loop: Header=BB6_9656 Depth=2
	s_mov_b32 s10, -1
	s_mov_b32 s25, exec_lo
                                        ; implicit-def: $sgpr23
	v_cmpx_eq_u16_e32 0x80, v66
; %bb.11532:                            ;   in Loop: Header=BB6_9656 Depth=2
	s_mov_b32 s23, 0x7f800001
	s_xor_b32 s10, exec_lo, -1
; %bb.11533:                            ;   in Loop: Header=BB6_9656 Depth=2
	s_or_b32 exec_lo, exec_lo, s25
	s_delay_alu instid0(SALU_CYCLE_1)
	s_and_b32 s10, s10, exec_lo
	s_or_saveexec_b32 s24, s24
	v_mov_b32_e32 v82, s23
	s_xor_b32 exec_lo, exec_lo, s24
	s_cbranch_execz .LBB6_10663
.LBB6_11534:                            ;   in Loop: Header=BB6_9656 Depth=2
	v_cmp_ne_u16_e32 vcc_lo, 0, v66
	v_mov_b32_e32 v82, 0
	s_and_not1_b32 s10, s10, exec_lo
	s_and_b32 s23, vcc_lo, exec_lo
	s_delay_alu instid0(SALU_CYCLE_1)
	s_or_b32 s10, s10, s23
	s_or_b32 exec_lo, exec_lo, s24
	s_and_saveexec_b32 s23, s10
	s_cbranch_execnz .LBB6_10664
	s_branch .LBB6_10665
.LBB6_11535:                            ;   in Loop: Header=BB6_9656 Depth=2
	s_mov_b32 s10, -1
	s_mov_b32 s25, exec_lo
                                        ; implicit-def: $sgpr23
	v_cmpx_eq_u16_e32 0x80, v66
; %bb.11536:                            ;   in Loop: Header=BB6_9656 Depth=2
	s_mov_b32 s23, 0x7f800001
	s_xor_b32 s10, exec_lo, -1
; %bb.11537:                            ;   in Loop: Header=BB6_9656 Depth=2
	s_or_b32 exec_lo, exec_lo, s25
	s_delay_alu instid0(SALU_CYCLE_1)
	s_and_b32 s10, s10, exec_lo
                                        ; implicit-def: $vgpr66
	s_or_saveexec_b32 s24, s24
	v_mov_b32_e32 v10, s23
	s_xor_b32 exec_lo, exec_lo, s24
	s_cbranch_execz .LBB6_10675
.LBB6_11538:                            ;   in Loop: Header=BB6_9656 Depth=2
	v_cmp_ne_u16_e32 vcc_lo, 0, v66
	v_mov_b32_e32 v10, 0
	s_and_not1_b32 s10, s10, exec_lo
	s_and_b32 s23, vcc_lo, exec_lo
	s_delay_alu instid0(SALU_CYCLE_1)
	s_or_b32 s10, s10, s23
	s_or_b32 exec_lo, exec_lo, s24
	s_and_saveexec_b32 s23, s10
	s_cbranch_execnz .LBB6_10676
	s_branch .LBB6_10677
.LBB6_11539:                            ;   in Loop: Header=BB6_9656 Depth=2
	s_mov_b32 s10, -1
	s_mov_b32 s25, exec_lo
                                        ; implicit-def: $sgpr23
	v_cmpx_eq_u16_e32 0x80, v10
; %bb.11540:                            ;   in Loop: Header=BB6_9656 Depth=2
	s_mov_b32 s23, 0x7f800001
	s_xor_b32 s10, exec_lo, -1
; %bb.11541:                            ;   in Loop: Header=BB6_9656 Depth=2
	s_or_b32 exec_lo, exec_lo, s25
	s_delay_alu instid0(SALU_CYCLE_1)
	s_and_b32 s10, s10, exec_lo
	s_or_saveexec_b32 s24, s24
	v_mov_b32_e32 v66, s23
	s_xor_b32 exec_lo, exec_lo, s24
	s_cbranch_execz .LBB6_10687
.LBB6_11542:                            ;   in Loop: Header=BB6_9656 Depth=2
	v_cmp_ne_u16_e32 vcc_lo, 0, v10
	v_mov_b32_e32 v66, 0
	s_and_not1_b32 s10, s10, exec_lo
	s_and_b32 s23, vcc_lo, exec_lo
	s_delay_alu instid0(SALU_CYCLE_1)
	s_or_b32 s10, s10, s23
	s_or_b32 exec_lo, exec_lo, s24
	s_and_saveexec_b32 s23, s10
	s_cbranch_execnz .LBB6_10688
	s_branch .LBB6_10689
.LBB6_11543:                            ;   in Loop: Header=BB6_9656 Depth=2
	s_mov_b32 s10, -1
	s_mov_b32 s25, exec_lo
                                        ; implicit-def: $sgpr23
	v_cmpx_eq_u16_e32 0x80, v82
; %bb.11544:                            ;   in Loop: Header=BB6_9656 Depth=2
	s_mov_b32 s23, 0x7f800001
	s_xor_b32 s10, exec_lo, -1
; %bb.11545:                            ;   in Loop: Header=BB6_9656 Depth=2
	s_or_b32 exec_lo, exec_lo, s25
	s_delay_alu instid0(SALU_CYCLE_1)
	s_and_b32 s10, s10, exec_lo
                                        ; implicit-def: $vgpr82
	s_or_saveexec_b32 s24, s24
	v_mov_b32_e32 v66, s23
	s_xor_b32 exec_lo, exec_lo, s24
	s_cbranch_execz .LBB6_10699
.LBB6_11546:                            ;   in Loop: Header=BB6_9656 Depth=2
	v_cmp_ne_u16_e32 vcc_lo, 0, v82
	v_mov_b32_e32 v66, 0
	s_and_not1_b32 s10, s10, exec_lo
	s_and_b32 s23, vcc_lo, exec_lo
	s_delay_alu instid0(SALU_CYCLE_1)
	s_or_b32 s10, s10, s23
	s_or_b32 exec_lo, exec_lo, s24
	s_and_saveexec_b32 s23, s10
	s_cbranch_execnz .LBB6_10700
	s_branch .LBB6_10701
.LBB6_11547:                            ;   in Loop: Header=BB6_9656 Depth=2
	s_mov_b32 s10, -1
	s_mov_b32 s25, exec_lo
                                        ; implicit-def: $sgpr23
	v_cmpx_eq_u16_e32 0x80, v10
; %bb.11548:                            ;   in Loop: Header=BB6_9656 Depth=2
	s_mov_b32 s23, 0x7f800001
	s_xor_b32 s10, exec_lo, -1
; %bb.11549:                            ;   in Loop: Header=BB6_9656 Depth=2
	s_or_b32 exec_lo, exec_lo, s25
	s_delay_alu instid0(SALU_CYCLE_1)
	s_and_b32 s10, s10, exec_lo
	s_or_saveexec_b32 s24, s24
	v_mov_b32_e32 v66, s23
	s_xor_b32 exec_lo, exec_lo, s24
	s_cbranch_execz .LBB6_10711
.LBB6_11550:                            ;   in Loop: Header=BB6_9656 Depth=2
	v_cmp_ne_u16_e32 vcc_lo, 0, v10
	v_mov_b32_e32 v66, 0
	s_and_not1_b32 s10, s10, exec_lo
	s_and_b32 s23, vcc_lo, exec_lo
	s_delay_alu instid0(SALU_CYCLE_1)
	s_or_b32 s10, s10, s23
	s_or_b32 exec_lo, exec_lo, s24
	s_and_saveexec_b32 s23, s10
	s_cbranch_execnz .LBB6_10712
	s_branch .LBB6_10713
.LBB6_11551:                            ;   in Loop: Header=BB6_9656 Depth=2
	s_mov_b32 s10, -1
	s_mov_b32 s25, exec_lo
                                        ; implicit-def: $sgpr23
	v_cmpx_eq_u16_e32 0x80, v11
; %bb.11552:                            ;   in Loop: Header=BB6_9656 Depth=2
	s_mov_b32 s23, 0x7f800001
	s_xor_b32 s10, exec_lo, -1
; %bb.11553:                            ;   in Loop: Header=BB6_9656 Depth=2
	s_or_b32 exec_lo, exec_lo, s25
	s_delay_alu instid0(SALU_CYCLE_1)
	s_and_b32 s10, s10, exec_lo
                                        ; implicit-def: $vgpr11
	s_or_saveexec_b32 s24, s24
	v_mov_b32_e32 v10, s23
	s_xor_b32 exec_lo, exec_lo, s24
	s_cbranch_execz .LBB6_10723
.LBB6_11554:                            ;   in Loop: Header=BB6_9656 Depth=2
	v_cmp_ne_u16_e32 vcc_lo, 0, v11
	v_mov_b32_e32 v10, 0
	s_and_not1_b32 s10, s10, exec_lo
	s_and_b32 s23, vcc_lo, exec_lo
	s_delay_alu instid0(SALU_CYCLE_1)
	s_or_b32 s10, s10, s23
	s_or_b32 exec_lo, exec_lo, s24
	s_and_saveexec_b32 s23, s10
	s_cbranch_execnz .LBB6_10724
	s_branch .LBB6_10725
.LBB6_11555:                            ;   in Loop: Header=BB6_9656 Depth=2
	s_mov_b32 s10, -1
	s_mov_b32 s25, exec_lo
                                        ; implicit-def: $sgpr23
	v_cmpx_eq_u16_e32 0x80, v10
; %bb.11556:                            ;   in Loop: Header=BB6_9656 Depth=2
	s_mov_b32 s23, 0x7f800001
	s_xor_b32 s10, exec_lo, -1
; %bb.11557:                            ;   in Loop: Header=BB6_9656 Depth=2
	s_or_b32 exec_lo, exec_lo, s25
	s_delay_alu instid0(SALU_CYCLE_1)
	s_and_b32 s10, s10, exec_lo
	s_or_saveexec_b32 s24, s24
	v_mov_b32_e32 v11, s23
	s_xor_b32 exec_lo, exec_lo, s24
	s_cbranch_execz .LBB6_10735
.LBB6_11558:                            ;   in Loop: Header=BB6_9656 Depth=2
	v_cmp_ne_u16_e32 vcc_lo, 0, v10
	v_mov_b32_e32 v11, 0
	s_and_not1_b32 s10, s10, exec_lo
	s_and_b32 s23, vcc_lo, exec_lo
	s_delay_alu instid0(SALU_CYCLE_1)
	s_or_b32 s10, s10, s23
	s_or_b32 exec_lo, exec_lo, s24
	s_and_saveexec_b32 s23, s10
	s_cbranch_execnz .LBB6_10736
	s_branch .LBB6_10737
.LBB6_11559:                            ;   in Loop: Header=BB6_9656 Depth=2
	s_mov_b32 s10, -1
	s_mov_b32 s25, exec_lo
                                        ; implicit-def: $sgpr23
	v_cmpx_eq_u16_e32 0x80, v66
; %bb.11560:                            ;   in Loop: Header=BB6_9656 Depth=2
	s_mov_b32 s23, 0x7f800001
	s_xor_b32 s10, exec_lo, -1
; %bb.11561:                            ;   in Loop: Header=BB6_9656 Depth=2
	s_or_b32 exec_lo, exec_lo, s25
	s_delay_alu instid0(SALU_CYCLE_1)
	s_and_b32 s10, s10, exec_lo
                                        ; implicit-def: $vgpr66
	s_or_saveexec_b32 s24, s24
	v_mov_b32_e32 v11, s23
	s_xor_b32 exec_lo, exec_lo, s24
	s_cbranch_execz .LBB6_10747
.LBB6_11562:                            ;   in Loop: Header=BB6_9656 Depth=2
	v_cmp_ne_u16_e32 vcc_lo, 0, v66
	v_mov_b32_e32 v11, 0
	s_and_not1_b32 s10, s10, exec_lo
	s_and_b32 s23, vcc_lo, exec_lo
	s_delay_alu instid0(SALU_CYCLE_1)
	s_or_b32 s10, s10, s23
	s_or_b32 exec_lo, exec_lo, s24
	s_and_saveexec_b32 s23, s10
	s_cbranch_execnz .LBB6_10748
	s_branch .LBB6_10749
.LBB6_11563:                            ;   in Loop: Header=BB6_9656 Depth=2
	s_mov_b32 s10, -1
	s_mov_b32 s25, exec_lo
                                        ; implicit-def: $sgpr23
	v_cmpx_eq_u16_e32 0x80, v10
; %bb.11564:                            ;   in Loop: Header=BB6_9656 Depth=2
	s_mov_b32 s23, 0x7f800001
	s_xor_b32 s10, exec_lo, -1
; %bb.11565:                            ;   in Loop: Header=BB6_9656 Depth=2
	s_or_b32 exec_lo, exec_lo, s25
	s_delay_alu instid0(SALU_CYCLE_1)
	s_and_b32 s10, s10, exec_lo
	s_or_saveexec_b32 s24, s24
	v_mov_b32_e32 v11, s23
	s_xor_b32 exec_lo, exec_lo, s24
	s_cbranch_execz .LBB6_10759
.LBB6_11566:                            ;   in Loop: Header=BB6_9656 Depth=2
	v_cmp_ne_u16_e32 vcc_lo, 0, v10
	v_mov_b32_e32 v11, 0
	s_and_not1_b32 s10, s10, exec_lo
	s_and_b32 s23, vcc_lo, exec_lo
	s_delay_alu instid0(SALU_CYCLE_1)
	s_or_b32 s10, s10, s23
	s_or_b32 exec_lo, exec_lo, s24
	s_and_saveexec_b32 s23, s10
	s_cbranch_execnz .LBB6_10760
	s_branch .LBB6_10761
.LBB6_11567:                            ;   in Loop: Header=BB6_9656 Depth=2
	s_mov_b32 s10, -1
	s_mov_b32 s25, exec_lo
                                        ; implicit-def: $sgpr23
	v_cmpx_eq_u16_e32 0x80, v11
; %bb.11568:                            ;   in Loop: Header=BB6_9656 Depth=2
	s_mov_b32 s23, 0x7f800001
	s_xor_b32 s10, exec_lo, -1
; %bb.11569:                            ;   in Loop: Header=BB6_9656 Depth=2
	s_or_b32 exec_lo, exec_lo, s25
	s_delay_alu instid0(SALU_CYCLE_1)
	s_and_b32 s10, s10, exec_lo
                                        ; implicit-def: $vgpr11
	s_or_saveexec_b32 s24, s24
	v_mov_b32_e32 v10, s23
	s_xor_b32 exec_lo, exec_lo, s24
	s_cbranch_execz .LBB6_10771
.LBB6_11570:                            ;   in Loop: Header=BB6_9656 Depth=2
	v_cmp_ne_u16_e32 vcc_lo, 0, v11
	v_mov_b32_e32 v10, 0
	s_and_not1_b32 s10, s10, exec_lo
	s_and_b32 s23, vcc_lo, exec_lo
	s_delay_alu instid0(SALU_CYCLE_1)
	s_or_b32 s10, s10, s23
	s_or_b32 exec_lo, exec_lo, s24
	s_and_saveexec_b32 s23, s10
	s_cbranch_execnz .LBB6_10772
	s_branch .LBB6_10773
.LBB6_11571:                            ;   in Loop: Header=BB6_9656 Depth=2
	s_mov_b32 s10, -1
	s_mov_b32 s25, exec_lo
                                        ; implicit-def: $sgpr23
	v_cmpx_eq_u16_e32 0x80, v10
; %bb.11572:                            ;   in Loop: Header=BB6_9656 Depth=2
	s_mov_b32 s23, 0x7f800001
	s_xor_b32 s10, exec_lo, -1
; %bb.11573:                            ;   in Loop: Header=BB6_9656 Depth=2
	s_or_b32 exec_lo, exec_lo, s25
	s_delay_alu instid0(SALU_CYCLE_1)
	s_and_b32 s10, s10, exec_lo
	s_or_saveexec_b32 s24, s24
	v_mov_b32_e32 v11, s23
	s_xor_b32 exec_lo, exec_lo, s24
	s_cbranch_execz .LBB6_10783
.LBB6_11574:                            ;   in Loop: Header=BB6_9656 Depth=2
	v_cmp_ne_u16_e32 vcc_lo, 0, v10
	v_mov_b32_e32 v11, 0
	s_and_not1_b32 s10, s10, exec_lo
	s_and_b32 s23, vcc_lo, exec_lo
	s_delay_alu instid0(SALU_CYCLE_1)
	s_or_b32 s10, s10, s23
	s_or_b32 exec_lo, exec_lo, s24
	s_and_saveexec_b32 s23, s10
	s_cbranch_execnz .LBB6_10784
	s_branch .LBB6_10785
.LBB6_11575:                            ;   in Loop: Header=BB6_9656 Depth=2
	s_mov_b32 s10, -1
	s_mov_b32 s25, exec_lo
                                        ; implicit-def: $sgpr23
	v_cmpx_eq_u16_e32 0x80, v12
; %bb.11576:                            ;   in Loop: Header=BB6_9656 Depth=2
	s_mov_b32 s23, 0x7f800001
	s_xor_b32 s10, exec_lo, -1
; %bb.11577:                            ;   in Loop: Header=BB6_9656 Depth=2
	s_or_b32 exec_lo, exec_lo, s25
	s_delay_alu instid0(SALU_CYCLE_1)
	s_and_b32 s10, s10, exec_lo
                                        ; implicit-def: $vgpr12
	s_or_saveexec_b32 s24, s24
	v_mov_b32_e32 v11, s23
	s_xor_b32 exec_lo, exec_lo, s24
	s_cbranch_execz .LBB6_10795
.LBB6_11578:                            ;   in Loop: Header=BB6_9656 Depth=2
	v_cmp_ne_u16_e32 vcc_lo, 0, v12
	v_mov_b32_e32 v11, 0
	s_and_not1_b32 s10, s10, exec_lo
	s_and_b32 s23, vcc_lo, exec_lo
	s_delay_alu instid0(SALU_CYCLE_1)
	s_or_b32 s10, s10, s23
	s_or_b32 exec_lo, exec_lo, s24
	s_and_saveexec_b32 s23, s10
	s_cbranch_execnz .LBB6_10796
	s_branch .LBB6_10797
.LBB6_11579:                            ;   in Loop: Header=BB6_9656 Depth=2
	s_mov_b32 s10, -1
	s_mov_b32 s25, exec_lo
                                        ; implicit-def: $sgpr23
	v_cmpx_eq_u16_e32 0x80, v10
; %bb.11580:                            ;   in Loop: Header=BB6_9656 Depth=2
	s_mov_b32 s23, 0x7f800001
	s_xor_b32 s10, exec_lo, -1
; %bb.11581:                            ;   in Loop: Header=BB6_9656 Depth=2
	s_or_b32 exec_lo, exec_lo, s25
	s_delay_alu instid0(SALU_CYCLE_1)
	s_and_b32 s10, s10, exec_lo
	s_or_saveexec_b32 s24, s24
	v_mov_b32_e32 v11, s23
	s_xor_b32 exec_lo, exec_lo, s24
	s_cbranch_execz .LBB6_10807
.LBB6_11582:                            ;   in Loop: Header=BB6_9656 Depth=2
	v_cmp_ne_u16_e32 vcc_lo, 0, v10
	v_mov_b32_e32 v11, 0
	s_and_not1_b32 s10, s10, exec_lo
	s_and_b32 s23, vcc_lo, exec_lo
	s_delay_alu instid0(SALU_CYCLE_1)
	s_or_b32 s10, s10, s23
	s_or_b32 exec_lo, exec_lo, s24
	s_and_saveexec_b32 s23, s10
	s_cbranch_execnz .LBB6_10808
	s_branch .LBB6_10809
.LBB6_11583:                            ;   in Loop: Header=BB6_9656 Depth=2
	s_mov_b32 s10, -1
	s_mov_b32 s25, exec_lo
                                        ; implicit-def: $sgpr23
	v_cmpx_eq_u16_e32 0x80, v98
; %bb.11584:                            ;   in Loop: Header=BB6_9656 Depth=2
	s_mov_b32 s23, 0x7f800001
	s_xor_b32 s10, exec_lo, -1
; %bb.11585:                            ;   in Loop: Header=BB6_9656 Depth=2
	s_or_b32 exec_lo, exec_lo, s25
	s_delay_alu instid0(SALU_CYCLE_1)
	s_and_b32 s10, s10, exec_lo
                                        ; implicit-def: $vgpr98
	s_or_saveexec_b32 s24, s24
	v_mov_b32_e32 v66, s23
	s_xor_b32 exec_lo, exec_lo, s24
	s_cbranch_execz .LBB6_10819
.LBB6_11586:                            ;   in Loop: Header=BB6_9656 Depth=2
	v_cmp_ne_u16_e32 vcc_lo, 0, v98
	v_mov_b32_e32 v66, 0
	s_and_not1_b32 s10, s10, exec_lo
	s_and_b32 s23, vcc_lo, exec_lo
	s_delay_alu instid0(SALU_CYCLE_1)
	s_or_b32 s10, s10, s23
	s_or_b32 exec_lo, exec_lo, s24
	s_and_saveexec_b32 s23, s10
	s_cbranch_execnz .LBB6_10820
	s_branch .LBB6_10821
.LBB6_11587:                            ;   in Loop: Header=BB6_9656 Depth=2
	s_mov_b32 s10, -1
	s_mov_b32 s25, exec_lo
                                        ; implicit-def: $sgpr23
	v_cmpx_eq_u16_e32 0x80, v66
; %bb.11588:                            ;   in Loop: Header=BB6_9656 Depth=2
	s_mov_b32 s23, 0x7f800001
	s_xor_b32 s10, exec_lo, -1
; %bb.11589:                            ;   in Loop: Header=BB6_9656 Depth=2
	s_or_b32 exec_lo, exec_lo, s25
	s_delay_alu instid0(SALU_CYCLE_1)
	s_and_b32 s10, s10, exec_lo
	s_or_saveexec_b32 s24, s24
	v_mov_b32_e32 v98, s23
	s_xor_b32 exec_lo, exec_lo, s24
	s_cbranch_execz .LBB6_10831
.LBB6_11590:                            ;   in Loop: Header=BB6_9656 Depth=2
	v_cmp_ne_u16_e32 vcc_lo, 0, v66
	v_mov_b32_e32 v98, 0
	s_and_not1_b32 s10, s10, exec_lo
	s_and_b32 s23, vcc_lo, exec_lo
	s_delay_alu instid0(SALU_CYCLE_1)
	s_or_b32 s10, s10, s23
	s_or_b32 exec_lo, exec_lo, s24
	s_and_saveexec_b32 s23, s10
	s_cbranch_execnz .LBB6_10832
	s_branch .LBB6_10833
.LBB6_11591:                            ;   in Loop: Header=BB6_9656 Depth=2
	s_mov_b32 s10, -1
	s_mov_b32 s25, exec_lo
                                        ; implicit-def: $sgpr23
	v_cmpx_eq_u16_e32 0x80, v103
; %bb.11592:                            ;   in Loop: Header=BB6_9656 Depth=2
	s_mov_b32 s23, 0x7f800001
	s_xor_b32 s10, exec_lo, -1
; %bb.11593:                            ;   in Loop: Header=BB6_9656 Depth=2
	s_or_b32 exec_lo, exec_lo, s25
	s_delay_alu instid0(SALU_CYCLE_1)
	s_and_b32 s10, s10, exec_lo
                                        ; implicit-def: $vgpr103
	s_or_saveexec_b32 s24, s24
	v_mov_b32_e32 v98, s23
	s_xor_b32 exec_lo, exec_lo, s24
	s_cbranch_execz .LBB6_10843
.LBB6_11594:                            ;   in Loop: Header=BB6_9656 Depth=2
	v_cmp_ne_u16_e32 vcc_lo, 0, v103
	v_mov_b32_e32 v98, 0
	s_and_not1_b32 s10, s10, exec_lo
	s_and_b32 s23, vcc_lo, exec_lo
	s_delay_alu instid0(SALU_CYCLE_1)
	s_or_b32 s10, s10, s23
	s_or_b32 exec_lo, exec_lo, s24
	s_and_saveexec_b32 s23, s10
	s_cbranch_execnz .LBB6_10844
	s_branch .LBB6_10845
.LBB6_11595:                            ;   in Loop: Header=BB6_9656 Depth=2
	s_mov_b32 s10, -1
	s_mov_b32 s25, exec_lo
                                        ; implicit-def: $sgpr23
	v_cmpx_eq_u16_e32 0x80, v66
; %bb.11596:                            ;   in Loop: Header=BB6_9656 Depth=2
	s_mov_b32 s23, 0x7f800001
	s_xor_b32 s10, exec_lo, -1
; %bb.11597:                            ;   in Loop: Header=BB6_9656 Depth=2
	s_or_b32 exec_lo, exec_lo, s25
	s_delay_alu instid0(SALU_CYCLE_1)
	s_and_b32 s10, s10, exec_lo
	s_or_saveexec_b32 s24, s24
	v_mov_b32_e32 v98, s23
	s_xor_b32 exec_lo, exec_lo, s24
	s_cbranch_execz .LBB6_10855
.LBB6_11598:                            ;   in Loop: Header=BB6_9656 Depth=2
	v_cmp_ne_u16_e32 vcc_lo, 0, v66
	v_mov_b32_e32 v98, 0
	s_and_not1_b32 s10, s10, exec_lo
	s_and_b32 s23, vcc_lo, exec_lo
	s_delay_alu instid0(SALU_CYCLE_1)
	s_or_b32 s10, s10, s23
	s_or_b32 exec_lo, exec_lo, s24
	s_and_saveexec_b32 s23, s10
	s_cbranch_execnz .LBB6_10856
	s_branch .LBB6_10857
.LBB6_11599:                            ;   in Loop: Header=BB6_9656 Depth=2
	s_mov_b32 s10, -1
	s_mov_b32 s25, exec_lo
                                        ; implicit-def: $sgpr23
	v_cmpx_eq_u16_e32 0x80, v66
; %bb.11600:                            ;   in Loop: Header=BB6_9656 Depth=2
	s_mov_b32 s23, 0x7f800001
	s_xor_b32 s10, exec_lo, -1
; %bb.11601:                            ;   in Loop: Header=BB6_9656 Depth=2
	s_or_b32 exec_lo, exec_lo, s25
	s_delay_alu instid0(SALU_CYCLE_1)
	s_and_b32 s10, s10, exec_lo
                                        ; implicit-def: $vgpr66
	s_or_saveexec_b32 s24, s24
	v_mov_b32_e32 v10, s23
	s_xor_b32 exec_lo, exec_lo, s24
	s_cbranch_execz .LBB6_10867
.LBB6_11602:                            ;   in Loop: Header=BB6_9656 Depth=2
	v_cmp_ne_u16_e32 vcc_lo, 0, v66
	v_mov_b32_e32 v10, 0
	s_and_not1_b32 s10, s10, exec_lo
	s_and_b32 s23, vcc_lo, exec_lo
	s_delay_alu instid0(SALU_CYCLE_1)
	s_or_b32 s10, s10, s23
	s_or_b32 exec_lo, exec_lo, s24
	s_and_saveexec_b32 s23, s10
	s_cbranch_execnz .LBB6_10868
	s_branch .LBB6_10869
.LBB6_11603:                            ;   in Loop: Header=BB6_9656 Depth=2
	s_mov_b32 s10, -1
	s_mov_b32 s25, exec_lo
                                        ; implicit-def: $sgpr23
	v_cmpx_eq_u16_e32 0x80, v10
; %bb.11604:                            ;   in Loop: Header=BB6_9656 Depth=2
	s_mov_b32 s23, 0x7f800001
	s_xor_b32 s10, exec_lo, -1
; %bb.11605:                            ;   in Loop: Header=BB6_9656 Depth=2
	s_or_b32 exec_lo, exec_lo, s25
	s_delay_alu instid0(SALU_CYCLE_1)
	s_and_b32 s10, s10, exec_lo
	s_or_saveexec_b32 s24, s24
	v_mov_b32_e32 v66, s23
	s_xor_b32 exec_lo, exec_lo, s24
	s_cbranch_execz .LBB6_10879
.LBB6_11606:                            ;   in Loop: Header=BB6_9656 Depth=2
	v_cmp_ne_u16_e32 vcc_lo, 0, v10
	v_mov_b32_e32 v66, 0
	s_and_not1_b32 s10, s10, exec_lo
	s_and_b32 s23, vcc_lo, exec_lo
	s_delay_alu instid0(SALU_CYCLE_1)
	s_or_b32 s10, s10, s23
	s_or_b32 exec_lo, exec_lo, s24
	s_and_saveexec_b32 s23, s10
	s_cbranch_execnz .LBB6_10880
	s_branch .LBB6_10881
.LBB6_11607:                            ;   in Loop: Header=BB6_9656 Depth=2
	s_mov_b32 s10, -1
	s_mov_b32 s25, exec_lo
                                        ; implicit-def: $sgpr23
	v_cmpx_eq_u16_e32 0x80, v98
; %bb.11608:                            ;   in Loop: Header=BB6_9656 Depth=2
	s_mov_b32 s23, 0x7f800001
	s_xor_b32 s10, exec_lo, -1
; %bb.11609:                            ;   in Loop: Header=BB6_9656 Depth=2
	s_or_b32 exec_lo, exec_lo, s25
	s_delay_alu instid0(SALU_CYCLE_1)
	s_and_b32 s10, s10, exec_lo
                                        ; implicit-def: $vgpr98
	s_or_saveexec_b32 s24, s24
	v_mov_b32_e32 v66, s23
	s_xor_b32 exec_lo, exec_lo, s24
	s_cbranch_execz .LBB6_10891
.LBB6_11610:                            ;   in Loop: Header=BB6_9656 Depth=2
	v_cmp_ne_u16_e32 vcc_lo, 0, v98
	v_mov_b32_e32 v66, 0
	s_and_not1_b32 s10, s10, exec_lo
	s_and_b32 s23, vcc_lo, exec_lo
	s_delay_alu instid0(SALU_CYCLE_1)
	s_or_b32 s10, s10, s23
	s_or_b32 exec_lo, exec_lo, s24
	s_and_saveexec_b32 s23, s10
	s_cbranch_execnz .LBB6_10892
	s_branch .LBB6_10893
.LBB6_11611:                            ;   in Loop: Header=BB6_9656 Depth=2
	s_mov_b32 s10, -1
	s_mov_b32 s25, exec_lo
                                        ; implicit-def: $sgpr23
	v_cmpx_eq_u16_e32 0x80, v10
; %bb.11612:                            ;   in Loop: Header=BB6_9656 Depth=2
	s_mov_b32 s23, 0x7f800001
	s_xor_b32 s10, exec_lo, -1
; %bb.11613:                            ;   in Loop: Header=BB6_9656 Depth=2
	s_or_b32 exec_lo, exec_lo, s25
	s_delay_alu instid0(SALU_CYCLE_1)
	s_and_b32 s10, s10, exec_lo
	s_or_saveexec_b32 s24, s24
	v_mov_b32_e32 v66, s23
	s_xor_b32 exec_lo, exec_lo, s24
	s_cbranch_execz .LBB6_10903
.LBB6_11614:                            ;   in Loop: Header=BB6_9656 Depth=2
	v_cmp_ne_u16_e32 vcc_lo, 0, v10
	v_mov_b32_e32 v66, 0
	s_and_not1_b32 s10, s10, exec_lo
	s_and_b32 s23, vcc_lo, exec_lo
	s_delay_alu instid0(SALU_CYCLE_1)
	s_or_b32 s10, s10, s23
	s_or_b32 exec_lo, exec_lo, s24
	s_and_saveexec_b32 s23, s10
	s_cbranch_execnz .LBB6_10904
	s_branch .LBB6_10905
.LBB6_11615:                            ;   in Loop: Header=BB6_9656 Depth=2
	s_mov_b32 s10, -1
	s_mov_b32 s25, exec_lo
                                        ; implicit-def: $sgpr23
	v_cmpx_eq_u16_e32 0x80, v11
; %bb.11616:                            ;   in Loop: Header=BB6_9656 Depth=2
	s_mov_b32 s23, 0x7f800001
	s_xor_b32 s10, exec_lo, -1
; %bb.11617:                            ;   in Loop: Header=BB6_9656 Depth=2
	s_or_b32 exec_lo, exec_lo, s25
	s_delay_alu instid0(SALU_CYCLE_1)
	s_and_b32 s10, s10, exec_lo
                                        ; implicit-def: $vgpr11
	s_or_saveexec_b32 s24, s24
	v_mov_b32_e32 v10, s23
	s_xor_b32 exec_lo, exec_lo, s24
	s_cbranch_execz .LBB6_10915
.LBB6_11618:                            ;   in Loop: Header=BB6_9656 Depth=2
	v_cmp_ne_u16_e32 vcc_lo, 0, v11
	v_mov_b32_e32 v10, 0
	s_and_not1_b32 s10, s10, exec_lo
	s_and_b32 s23, vcc_lo, exec_lo
	s_delay_alu instid0(SALU_CYCLE_1)
	s_or_b32 s10, s10, s23
	s_or_b32 exec_lo, exec_lo, s24
	s_and_saveexec_b32 s23, s10
	s_cbranch_execnz .LBB6_10916
	s_branch .LBB6_10917
.LBB6_11619:                            ;   in Loop: Header=BB6_9656 Depth=2
	s_mov_b32 s10, -1
	s_mov_b32 s25, exec_lo
                                        ; implicit-def: $sgpr23
	v_cmpx_eq_u16_e32 0x80, v10
; %bb.11620:                            ;   in Loop: Header=BB6_9656 Depth=2
	s_mov_b32 s23, 0x7f800001
	s_xor_b32 s10, exec_lo, -1
; %bb.11621:                            ;   in Loop: Header=BB6_9656 Depth=2
	s_or_b32 exec_lo, exec_lo, s25
	s_delay_alu instid0(SALU_CYCLE_1)
	s_and_b32 s10, s10, exec_lo
	s_or_saveexec_b32 s24, s24
	v_mov_b32_e32 v11, s23
	s_xor_b32 exec_lo, exec_lo, s24
	s_cbranch_execz .LBB6_10927
.LBB6_11622:                            ;   in Loop: Header=BB6_9656 Depth=2
	v_cmp_ne_u16_e32 vcc_lo, 0, v10
	v_mov_b32_e32 v11, 0
	s_and_not1_b32 s10, s10, exec_lo
	s_and_b32 s23, vcc_lo, exec_lo
	s_delay_alu instid0(SALU_CYCLE_1)
	s_or_b32 s10, s10, s23
	s_or_b32 exec_lo, exec_lo, s24
	s_and_saveexec_b32 s23, s10
	s_cbranch_execnz .LBB6_10928
	s_branch .LBB6_10929
.LBB6_11623:                            ;   in Loop: Header=BB6_9656 Depth=2
	s_mov_b32 s10, -1
	s_mov_b32 s25, exec_lo
                                        ; implicit-def: $sgpr23
	v_cmpx_eq_u16_e32 0x80, v66
; %bb.11624:                            ;   in Loop: Header=BB6_9656 Depth=2
	s_mov_b32 s23, 0x7f800001
	s_xor_b32 s10, exec_lo, -1
; %bb.11625:                            ;   in Loop: Header=BB6_9656 Depth=2
	s_or_b32 exec_lo, exec_lo, s25
	s_delay_alu instid0(SALU_CYCLE_1)
	s_and_b32 s10, s10, exec_lo
                                        ; implicit-def: $vgpr66
	s_or_saveexec_b32 s24, s24
	v_mov_b32_e32 v11, s23
	s_xor_b32 exec_lo, exec_lo, s24
	s_cbranch_execz .LBB6_10939
.LBB6_11626:                            ;   in Loop: Header=BB6_9656 Depth=2
	v_cmp_ne_u16_e32 vcc_lo, 0, v66
	v_mov_b32_e32 v11, 0
	s_and_not1_b32 s10, s10, exec_lo
	s_and_b32 s23, vcc_lo, exec_lo
	s_delay_alu instid0(SALU_CYCLE_1)
	s_or_b32 s10, s10, s23
	s_or_b32 exec_lo, exec_lo, s24
	s_and_saveexec_b32 s23, s10
	s_cbranch_execnz .LBB6_10940
	s_branch .LBB6_10941
.LBB6_11627:                            ;   in Loop: Header=BB6_9656 Depth=2
	s_mov_b32 s10, -1
	s_mov_b32 s25, exec_lo
                                        ; implicit-def: $sgpr23
	v_cmpx_eq_u16_e32 0x80, v10
; %bb.11628:                            ;   in Loop: Header=BB6_9656 Depth=2
	s_mov_b32 s23, 0x7f800001
	s_xor_b32 s10, exec_lo, -1
; %bb.11629:                            ;   in Loop: Header=BB6_9656 Depth=2
	s_or_b32 exec_lo, exec_lo, s25
	s_delay_alu instid0(SALU_CYCLE_1)
	s_and_b32 s10, s10, exec_lo
	s_or_saveexec_b32 s24, s24
	v_mov_b32_e32 v11, s23
	s_xor_b32 exec_lo, exec_lo, s24
	s_cbranch_execz .LBB6_10951
.LBB6_11630:                            ;   in Loop: Header=BB6_9656 Depth=2
	v_cmp_ne_u16_e32 vcc_lo, 0, v10
	v_mov_b32_e32 v11, 0
	s_and_not1_b32 s10, s10, exec_lo
	s_and_b32 s23, vcc_lo, exec_lo
	s_delay_alu instid0(SALU_CYCLE_1)
	s_or_b32 s10, s10, s23
	s_or_b32 exec_lo, exec_lo, s24
	s_and_saveexec_b32 s23, s10
	s_cbranch_execnz .LBB6_10952
	s_branch .LBB6_10953
.LBB6_11631:                            ;   in Loop: Header=BB6_9656 Depth=2
	s_mov_b32 s10, -1
	s_mov_b32 s25, exec_lo
                                        ; implicit-def: $sgpr23
	v_cmpx_eq_u16_e32 0x80, v11
; %bb.11632:                            ;   in Loop: Header=BB6_9656 Depth=2
	s_mov_b32 s23, 0x7f800001
	s_xor_b32 s10, exec_lo, -1
; %bb.11633:                            ;   in Loop: Header=BB6_9656 Depth=2
	s_or_b32 exec_lo, exec_lo, s25
	s_delay_alu instid0(SALU_CYCLE_1)
	s_and_b32 s10, s10, exec_lo
                                        ; implicit-def: $vgpr11
	s_or_saveexec_b32 s24, s24
	v_mov_b32_e32 v10, s23
	s_xor_b32 exec_lo, exec_lo, s24
	s_cbranch_execz .LBB6_10963
.LBB6_11634:                            ;   in Loop: Header=BB6_9656 Depth=2
	v_cmp_ne_u16_e32 vcc_lo, 0, v11
	v_mov_b32_e32 v10, 0
	s_and_not1_b32 s10, s10, exec_lo
	s_and_b32 s23, vcc_lo, exec_lo
	s_delay_alu instid0(SALU_CYCLE_1)
	s_or_b32 s10, s10, s23
	s_or_b32 exec_lo, exec_lo, s24
	s_and_saveexec_b32 s23, s10
	s_cbranch_execnz .LBB6_10964
	s_branch .LBB6_10965
.LBB6_11635:                            ;   in Loop: Header=BB6_9656 Depth=2
	s_mov_b32 s10, -1
	s_mov_b32 s25, exec_lo
                                        ; implicit-def: $sgpr23
	v_cmpx_eq_u16_e32 0x80, v10
; %bb.11636:                            ;   in Loop: Header=BB6_9656 Depth=2
	s_mov_b32 s23, 0x7f800001
	s_xor_b32 s10, exec_lo, -1
; %bb.11637:                            ;   in Loop: Header=BB6_9656 Depth=2
	s_or_b32 exec_lo, exec_lo, s25
	s_delay_alu instid0(SALU_CYCLE_1)
	s_and_b32 s10, s10, exec_lo
	s_or_saveexec_b32 s24, s24
	v_mov_b32_e32 v11, s23
	s_xor_b32 exec_lo, exec_lo, s24
	s_cbranch_execz .LBB6_10975
.LBB6_11638:                            ;   in Loop: Header=BB6_9656 Depth=2
	v_cmp_ne_u16_e32 vcc_lo, 0, v10
	v_mov_b32_e32 v11, 0
	s_and_not1_b32 s10, s10, exec_lo
	s_and_b32 s23, vcc_lo, exec_lo
	s_delay_alu instid0(SALU_CYCLE_1)
	s_or_b32 s10, s10, s23
	s_or_b32 exec_lo, exec_lo, s24
	s_and_saveexec_b32 s23, s10
	s_cbranch_execnz .LBB6_10976
	s_branch .LBB6_10977
.LBB6_11639:                            ;   in Loop: Header=BB6_9656 Depth=2
	s_mov_b32 s10, -1
	s_mov_b32 s25, exec_lo
                                        ; implicit-def: $sgpr23
	v_cmpx_eq_u16_e32 0x80, v12
; %bb.11640:                            ;   in Loop: Header=BB6_9656 Depth=2
	s_mov_b32 s23, 0x7f800001
	s_xor_b32 s10, exec_lo, -1
; %bb.11641:                            ;   in Loop: Header=BB6_9656 Depth=2
	s_or_b32 exec_lo, exec_lo, s25
	s_delay_alu instid0(SALU_CYCLE_1)
	s_and_b32 s10, s10, exec_lo
                                        ; implicit-def: $vgpr12
	s_or_saveexec_b32 s24, s24
	v_mov_b32_e32 v11, s23
	s_xor_b32 exec_lo, exec_lo, s24
	s_cbranch_execz .LBB6_10987
.LBB6_11642:                            ;   in Loop: Header=BB6_9656 Depth=2
	v_cmp_ne_u16_e32 vcc_lo, 0, v12
	v_mov_b32_e32 v11, 0
	s_and_not1_b32 s10, s10, exec_lo
	s_and_b32 s23, vcc_lo, exec_lo
	s_delay_alu instid0(SALU_CYCLE_1)
	s_or_b32 s10, s10, s23
	s_or_b32 exec_lo, exec_lo, s24
	s_and_saveexec_b32 s23, s10
	s_cbranch_execnz .LBB6_10988
	s_branch .LBB6_10989
.LBB6_11643:                            ;   in Loop: Header=BB6_9656 Depth=2
	s_mov_b32 s10, -1
	s_mov_b32 s25, exec_lo
                                        ; implicit-def: $sgpr23
	v_cmpx_eq_u16_e32 0x80, v10
; %bb.11644:                            ;   in Loop: Header=BB6_9656 Depth=2
	s_mov_b32 s23, 0x7f800001
	s_xor_b32 s10, exec_lo, -1
; %bb.11645:                            ;   in Loop: Header=BB6_9656 Depth=2
	s_or_b32 exec_lo, exec_lo, s25
	s_delay_alu instid0(SALU_CYCLE_1)
	s_and_b32 s10, s10, exec_lo
	s_or_saveexec_b32 s24, s24
	v_mov_b32_e32 v11, s23
	s_xor_b32 exec_lo, exec_lo, s24
	s_cbranch_execz .LBB6_10999
.LBB6_11646:                            ;   in Loop: Header=BB6_9656 Depth=2
	v_cmp_ne_u16_e32 vcc_lo, 0, v10
	v_mov_b32_e32 v11, 0
	s_and_not1_b32 s10, s10, exec_lo
	s_and_b32 s23, vcc_lo, exec_lo
	s_delay_alu instid0(SALU_CYCLE_1)
	s_or_b32 s10, s10, s23
	s_or_b32 exec_lo, exec_lo, s24
	s_and_saveexec_b32 s23, s10
	s_cbranch_execnz .LBB6_11000
	s_branch .LBB6_11001
.LBB6_11647:                            ;   in Loop: Header=BB6_9656 Depth=2
	s_mov_b32 s10, -1
	s_mov_b32 s25, exec_lo
                                        ; implicit-def: $sgpr23
	v_cmpx_eq_u16_e32 0x80, v24
; %bb.11648:                            ;   in Loop: Header=BB6_9656 Depth=2
	s_mov_b32 s23, 0x7f800001
	s_xor_b32 s10, exec_lo, -1
; %bb.11649:                            ;   in Loop: Header=BB6_9656 Depth=2
	s_or_b32 exec_lo, exec_lo, s25
	s_delay_alu instid0(SALU_CYCLE_1)
	s_and_b32 s10, s10, exec_lo
                                        ; implicit-def: $vgpr24
	s_or_saveexec_b32 s24, s24
	v_mov_b32_e32 v23, s23
	s_xor_b32 exec_lo, exec_lo, s24
	s_cbranch_execz .LBB6_11011
.LBB6_11650:                            ;   in Loop: Header=BB6_9656 Depth=2
	v_cmp_ne_u16_e32 vcc_lo, 0, v24
	v_mov_b32_e32 v23, 0
	s_and_not1_b32 s10, s10, exec_lo
	s_and_b32 s23, vcc_lo, exec_lo
	s_delay_alu instid0(SALU_CYCLE_1)
	s_or_b32 s10, s10, s23
	s_or_b32 exec_lo, exec_lo, s24
	s_and_saveexec_b32 s23, s10
	s_cbranch_execnz .LBB6_11012
	s_branch .LBB6_11013
.LBB6_11651:                            ;   in Loop: Header=BB6_9656 Depth=2
	s_mov_b32 s10, -1
	s_mov_b32 s25, exec_lo
                                        ; implicit-def: $sgpr23
	v_cmpx_eq_u16_e32 0x80, v24
; %bb.11652:                            ;   in Loop: Header=BB6_9656 Depth=2
	s_mov_b32 s23, 0x7f800001
	s_xor_b32 s10, exec_lo, -1
; %bb.11653:                            ;   in Loop: Header=BB6_9656 Depth=2
	s_or_b32 exec_lo, exec_lo, s25
	s_delay_alu instid0(SALU_CYCLE_1)
	s_and_b32 s10, s10, exec_lo
	s_or_saveexec_b32 s24, s24
	v_mov_b32_e32 v98, s23
	s_xor_b32 exec_lo, exec_lo, s24
	s_cbranch_execz .LBB6_11023
.LBB6_11654:                            ;   in Loop: Header=BB6_9656 Depth=2
	v_cmp_ne_u16_e32 vcc_lo, 0, v24
	v_mov_b32_e32 v98, 0
	s_and_not1_b32 s10, s10, exec_lo
	s_and_b32 s23, vcc_lo, exec_lo
	s_delay_alu instid0(SALU_CYCLE_1)
	s_or_b32 s10, s10, s23
	s_or_b32 exec_lo, exec_lo, s24
	s_and_saveexec_b32 s23, s10
	s_cbranch_execnz .LBB6_11024
	s_branch .LBB6_11025
.LBB6_11655:                            ;   in Loop: Header=BB6_9656 Depth=2
	s_mov_b32 s10, -1
	s_mov_b32 s25, exec_lo
                                        ; implicit-def: $sgpr23
	v_cmpx_eq_u16_e64 0x80, v133
; %bb.11656:                            ;   in Loop: Header=BB6_9656 Depth=2
	s_mov_b32 s23, 0x7f800001
	s_xor_b32 s10, exec_lo, -1
; %bb.11657:                            ;   in Loop: Header=BB6_9656 Depth=2
	s_or_b32 exec_lo, exec_lo, s25
	s_delay_alu instid0(SALU_CYCLE_1)
	s_and_b32 s10, s10, exec_lo
                                        ; implicit-def: $vgpr133
	s_or_saveexec_b32 s24, s24
	v_mov_b32_e32 v132, s23
	s_xor_b32 exec_lo, exec_lo, s24
	s_cbranch_execz .LBB6_11035
.LBB6_11658:                            ;   in Loop: Header=BB6_9656 Depth=2
	v_cmp_ne_u16_e64 vcc_lo, 0, v133
	v_mov_b32_e32 v132, 0
	s_and_not1_b32 s10, s10, exec_lo
	s_delay_alu instid0(VALU_DEP_2) | instskip(NEXT) | instid1(SALU_CYCLE_1)
	s_and_b32 s23, vcc_lo, exec_lo
	s_or_b32 s10, s10, s23
	s_or_b32 exec_lo, exec_lo, s24
	s_and_saveexec_b32 s23, s10
	s_cbranch_execnz .LBB6_11036
	s_branch .LBB6_11037
.LBB6_11659:                            ;   in Loop: Header=BB6_9656 Depth=2
	s_mov_b32 s10, -1
	s_mov_b32 s25, exec_lo
                                        ; implicit-def: $sgpr23
	v_cmpx_eq_u16_e32 0x80, v98
; %bb.11660:                            ;   in Loop: Header=BB6_9656 Depth=2
	s_mov_b32 s23, 0x7f800001
	s_xor_b32 s10, exec_lo, -1
; %bb.11661:                            ;   in Loop: Header=BB6_9656 Depth=2
	s_or_b32 exec_lo, exec_lo, s25
	s_delay_alu instid0(SALU_CYCLE_1)
	s_and_b32 s10, s10, exec_lo
	s_or_saveexec_b32 s24, s24
	v_mov_b32_e32 v132, s23
	s_xor_b32 exec_lo, exec_lo, s24
	s_cbranch_execz .LBB6_11047
.LBB6_11662:                            ;   in Loop: Header=BB6_9656 Depth=2
	v_cmp_ne_u16_e32 vcc_lo, 0, v98
	v_mov_b32_e32 v132, 0
	s_and_not1_b32 s10, s10, exec_lo
	s_and_b32 s23, vcc_lo, exec_lo
	s_delay_alu instid0(SALU_CYCLE_1)
	s_or_b32 s10, s10, s23
	s_or_b32 exec_lo, exec_lo, s24
	s_and_saveexec_b32 s23, s10
	s_cbranch_execnz .LBB6_11048
	s_branch .LBB6_11049
.LBB6_11663:                            ;   in Loop: Header=BB6_9656 Depth=2
	s_mov_b32 s10, -1
	s_mov_b32 s25, exec_lo
                                        ; implicit-def: $sgpr23
	v_cmpx_eq_u16_e64 0x80, v132
; %bb.11664:                            ;   in Loop: Header=BB6_9656 Depth=2
	s_mov_b32 s23, 0x7f800001
	s_xor_b32 s10, exec_lo, -1
; %bb.11665:                            ;   in Loop: Header=BB6_9656 Depth=2
	s_or_b32 exec_lo, exec_lo, s25
	s_delay_alu instid0(SALU_CYCLE_1)
	s_and_b32 s10, s10, exec_lo
                                        ; implicit-def: $vgpr132
	s_or_saveexec_b32 s24, s24
	v_mov_b32_e32 v98, s23
	s_xor_b32 exec_lo, exec_lo, s24
	s_cbranch_execz .LBB6_11059
.LBB6_11666:                            ;   in Loop: Header=BB6_9656 Depth=2
	v_cmp_ne_u16_e64 vcc_lo, 0, v132
	v_mov_b32_e32 v98, 0
	s_and_not1_b32 s10, s10, exec_lo
	s_delay_alu instid0(VALU_DEP_2) | instskip(NEXT) | instid1(SALU_CYCLE_1)
	s_and_b32 s23, vcc_lo, exec_lo
	s_or_b32 s10, s10, s23
	s_or_b32 exec_lo, exec_lo, s24
	s_and_saveexec_b32 s23, s10
	s_cbranch_execnz .LBB6_11060
	s_branch .LBB6_11061
.LBB6_11667:                            ;   in Loop: Header=BB6_9656 Depth=2
	s_mov_b32 s10, -1
	s_mov_b32 s25, exec_lo
                                        ; implicit-def: $sgpr23
	v_cmpx_eq_u16_e32 0x80, v98
; %bb.11668:                            ;   in Loop: Header=BB6_9656 Depth=2
	s_mov_b32 s23, 0x7f800001
	s_xor_b32 s10, exec_lo, -1
; %bb.11669:                            ;   in Loop: Header=BB6_9656 Depth=2
	s_or_b32 exec_lo, exec_lo, s25
	s_delay_alu instid0(SALU_CYCLE_1)
	s_and_b32 s10, s10, exec_lo
	s_or_saveexec_b32 s24, s24
	v_mov_b32_e32 v132, s23
	s_xor_b32 exec_lo, exec_lo, s24
	s_cbranch_execz .LBB6_11071
.LBB6_11670:                            ;   in Loop: Header=BB6_9656 Depth=2
	v_cmp_ne_u16_e32 vcc_lo, 0, v98
	v_mov_b32_e32 v132, 0
	s_and_not1_b32 s10, s10, exec_lo
	s_and_b32 s23, vcc_lo, exec_lo
	s_delay_alu instid0(SALU_CYCLE_1)
	s_or_b32 s10, s10, s23
	s_or_b32 exec_lo, exec_lo, s24
	s_and_saveexec_b32 s23, s10
	s_cbranch_execnz .LBB6_11072
	s_branch .LBB6_11073
.LBB6_11671:                            ;   in Loop: Header=BB6_9656 Depth=2
	s_mov_b32 s10, -1
	s_mov_b32 s25, exec_lo
                                        ; implicit-def: $sgpr23
	v_cmpx_eq_u16_e64 0x80, v133
; %bb.11672:                            ;   in Loop: Header=BB6_9656 Depth=2
	s_mov_b32 s23, 0x7f800001
	s_xor_b32 s10, exec_lo, -1
; %bb.11673:                            ;   in Loop: Header=BB6_9656 Depth=2
	s_or_b32 exec_lo, exec_lo, s25
	s_delay_alu instid0(SALU_CYCLE_1)
	s_and_b32 s10, s10, exec_lo
                                        ; implicit-def: $vgpr133
	s_or_saveexec_b32 s24, s24
	v_mov_b32_e32 v132, s23
	s_xor_b32 exec_lo, exec_lo, s24
	s_cbranch_execz .LBB6_11083
.LBB6_11674:                            ;   in Loop: Header=BB6_9656 Depth=2
	v_cmp_ne_u16_e64 vcc_lo, 0, v133
	v_mov_b32_e32 v132, 0
	s_and_not1_b32 s10, s10, exec_lo
	s_delay_alu instid0(VALU_DEP_2) | instskip(NEXT) | instid1(SALU_CYCLE_1)
	s_and_b32 s23, vcc_lo, exec_lo
	s_or_b32 s10, s10, s23
	s_or_b32 exec_lo, exec_lo, s24
	s_and_saveexec_b32 s23, s10
	s_cbranch_execnz .LBB6_11084
	s_branch .LBB6_11085
.LBB6_11675:                            ;   in Loop: Header=BB6_9656 Depth=2
	s_mov_b32 s10, -1
	s_mov_b32 s25, exec_lo
                                        ; implicit-def: $sgpr23
	v_cmpx_eq_u16_e32 0x80, v98
; %bb.11676:                            ;   in Loop: Header=BB6_9656 Depth=2
	s_mov_b32 s23, 0x7f800001
	s_xor_b32 s10, exec_lo, -1
; %bb.11677:                            ;   in Loop: Header=BB6_9656 Depth=2
	s_or_b32 exec_lo, exec_lo, s25
	s_delay_alu instid0(SALU_CYCLE_1)
	s_and_b32 s10, s10, exec_lo
	s_or_saveexec_b32 s24, s24
	v_mov_b32_e32 v132, s23
	s_xor_b32 exec_lo, exec_lo, s24
	s_cbranch_execz .LBB6_11095
.LBB6_11678:                            ;   in Loop: Header=BB6_9656 Depth=2
	v_cmp_ne_u16_e32 vcc_lo, 0, v98
	v_mov_b32_e32 v132, 0
	s_and_not1_b32 s10, s10, exec_lo
	s_and_b32 s23, vcc_lo, exec_lo
	s_delay_alu instid0(SALU_CYCLE_1)
	s_or_b32 s10, s10, s23
	s_or_b32 exec_lo, exec_lo, s24
	s_and_saveexec_b32 s23, s10
	s_cbranch_execnz .LBB6_11096
	s_branch .LBB6_11097
.LBB6_11679:                            ;   in Loop: Header=BB6_9656 Depth=2
	s_mov_b32 s10, -1
	s_mov_b32 s25, exec_lo
                                        ; implicit-def: $sgpr23
	v_cmpx_eq_u16_e64 0x80, v132
; %bb.11680:                            ;   in Loop: Header=BB6_9656 Depth=2
	s_mov_b32 s23, 0x7f800001
	s_xor_b32 s10, exec_lo, -1
; %bb.11681:                            ;   in Loop: Header=BB6_9656 Depth=2
	s_or_b32 exec_lo, exec_lo, s25
	s_delay_alu instid0(SALU_CYCLE_1)
	s_and_b32 s10, s10, exec_lo
                                        ; implicit-def: $vgpr132
	s_or_saveexec_b32 s24, s24
	v_mov_b32_e32 v98, s23
	s_xor_b32 exec_lo, exec_lo, s24
	s_cbranch_execz .LBB6_11107
.LBB6_11682:                            ;   in Loop: Header=BB6_9656 Depth=2
	v_cmp_ne_u16_e64 vcc_lo, 0, v132
	v_mov_b32_e32 v98, 0
	s_and_not1_b32 s10, s10, exec_lo
	s_delay_alu instid0(VALU_DEP_2) | instskip(NEXT) | instid1(SALU_CYCLE_1)
	s_and_b32 s23, vcc_lo, exec_lo
	s_or_b32 s10, s10, s23
	s_or_b32 exec_lo, exec_lo, s24
	s_and_saveexec_b32 s23, s10
	s_cbranch_execnz .LBB6_11108
	s_branch .LBB6_11109
.LBB6_11683:                            ;   in Loop: Header=BB6_9656 Depth=2
	s_mov_b32 s10, -1
	s_mov_b32 s25, exec_lo
                                        ; implicit-def: $sgpr23
	v_cmpx_eq_u16_e64 0x80, v132
; %bb.11684:                            ;   in Loop: Header=BB6_9656 Depth=2
	s_mov_b32 s23, 0x7f800001
	s_xor_b32 s10, exec_lo, -1
; %bb.11685:                            ;   in Loop: Header=BB6_9656 Depth=2
	s_or_b32 exec_lo, exec_lo, s25
	s_delay_alu instid0(SALU_CYCLE_1)
	s_and_b32 s10, s10, exec_lo
	s_or_saveexec_b32 s24, s24
	v_mov_b32_e32 v133, s23
	s_xor_b32 exec_lo, exec_lo, s24
	s_cbranch_execz .LBB6_11119
.LBB6_11686:                            ;   in Loop: Header=BB6_9656 Depth=2
	v_cmp_ne_u16_e64 vcc_lo, 0, v132
	v_mov_b32_e32 v133, 0
	s_and_not1_b32 s10, s10, exec_lo
	s_delay_alu instid0(VALU_DEP_2) | instskip(NEXT) | instid1(SALU_CYCLE_1)
	s_and_b32 s23, vcc_lo, exec_lo
	s_or_b32 s10, s10, s23
	s_or_b32 exec_lo, exec_lo, s24
	s_and_saveexec_b32 s23, s10
	s_cbranch_execnz .LBB6_11120
	s_branch .LBB6_11121
.LBB6_11687:                            ;   in Loop: Header=BB6_9656 Depth=2
	s_mov_b32 s10, -1
	s_mov_b32 s25, exec_lo
                                        ; implicit-def: $sgpr23
	v_cmpx_eq_u16_e64 0x80, v135
; %bb.11688:                            ;   in Loop: Header=BB6_9656 Depth=2
	s_mov_b32 s23, 0x7f800001
	s_xor_b32 s10, exec_lo, -1
; %bb.11689:                            ;   in Loop: Header=BB6_9656 Depth=2
	s_or_b32 exec_lo, exec_lo, s25
	s_delay_alu instid0(SALU_CYCLE_1)
	s_and_b32 s10, s10, exec_lo
                                        ; implicit-def: $vgpr135
	s_or_saveexec_b32 s24, s24
	v_mov_b32_e32 v134, s23
	s_xor_b32 exec_lo, exec_lo, s24
	s_cbranch_execz .LBB6_11131
.LBB6_11690:                            ;   in Loop: Header=BB6_9656 Depth=2
	v_cmp_ne_u16_e64 vcc_lo, 0, v135
	v_mov_b32_e32 v134, 0
	s_and_not1_b32 s10, s10, exec_lo
	s_delay_alu instid0(VALU_DEP_2) | instskip(NEXT) | instid1(SALU_CYCLE_1)
	s_and_b32 s23, vcc_lo, exec_lo
	s_or_b32 s10, s10, s23
	s_or_b32 exec_lo, exec_lo, s24
	s_and_saveexec_b32 s23, s10
	s_cbranch_execnz .LBB6_11132
	s_branch .LBB6_11133
.LBB6_11691:                            ;   in Loop: Header=BB6_9656 Depth=2
	s_mov_b32 s10, -1
	s_mov_b32 s25, exec_lo
                                        ; implicit-def: $sgpr23
	v_cmpx_eq_u16_e64 0x80, v134
; %bb.11692:                            ;   in Loop: Header=BB6_9656 Depth=2
	s_mov_b32 s23, 0x7f800001
	s_xor_b32 s10, exec_lo, -1
; %bb.11693:                            ;   in Loop: Header=BB6_9656 Depth=2
	s_or_b32 exec_lo, exec_lo, s25
	s_delay_alu instid0(SALU_CYCLE_1)
	s_and_b32 s10, s10, exec_lo
	s_or_saveexec_b32 s24, s24
	v_mov_b32_e32 v135, s23
	s_xor_b32 exec_lo, exec_lo, s24
	s_cbranch_execz .LBB6_11143
.LBB6_11694:                            ;   in Loop: Header=BB6_9656 Depth=2
	v_cmp_ne_u16_e64 vcc_lo, 0, v134
	v_mov_b32_e32 v135, 0
	s_and_not1_b32 s10, s10, exec_lo
	s_delay_alu instid0(VALU_DEP_2) | instskip(NEXT) | instid1(SALU_CYCLE_1)
	s_and_b32 s23, vcc_lo, exec_lo
	s_or_b32 s10, s10, s23
	s_or_b32 exec_lo, exec_lo, s24
	s_and_saveexec_b32 s23, s10
	s_cbranch_execnz .LBB6_11144
	s_branch .LBB6_11145
.LBB6_11695:                            ;   in Loop: Header=BB6_9656 Depth=2
	s_mov_b32 s10, -1
	s_mov_b32 s25, exec_lo
                                        ; implicit-def: $sgpr23
	v_cmpx_eq_u16_e64 0x80, v135
; %bb.11696:                            ;   in Loop: Header=BB6_9656 Depth=2
	s_mov_b32 s23, 0x7f800001
	s_xor_b32 s10, exec_lo, -1
; %bb.11697:                            ;   in Loop: Header=BB6_9656 Depth=2
	s_or_b32 exec_lo, exec_lo, s25
	s_delay_alu instid0(SALU_CYCLE_1)
	s_and_b32 s10, s10, exec_lo
                                        ; implicit-def: $vgpr135
	s_or_saveexec_b32 s24, s24
	v_mov_b32_e32 v134, s23
	s_xor_b32 exec_lo, exec_lo, s24
	s_cbranch_execz .LBB6_11155
.LBB6_11698:                            ;   in Loop: Header=BB6_9656 Depth=2
	v_cmp_ne_u16_e64 vcc_lo, 0, v135
	v_mov_b32_e32 v134, 0
	s_and_not1_b32 s10, s10, exec_lo
	s_delay_alu instid0(VALU_DEP_2) | instskip(NEXT) | instid1(SALU_CYCLE_1)
	s_and_b32 s23, vcc_lo, exec_lo
	s_or_b32 s10, s10, s23
	s_or_b32 exec_lo, exec_lo, s24
	s_and_saveexec_b32 s23, s10
	s_cbranch_execnz .LBB6_11156
	s_branch .LBB6_11157
.LBB6_11699:                            ;   in Loop: Header=BB6_9656 Depth=2
	s_mov_b32 s10, -1
	s_mov_b32 s25, exec_lo
                                        ; implicit-def: $sgpr23
	v_cmpx_eq_u16_e64 0x80, v135
; %bb.11700:                            ;   in Loop: Header=BB6_9656 Depth=2
	s_mov_b32 s23, 0x7f800001
	s_xor_b32 s10, exec_lo, -1
; %bb.11701:                            ;   in Loop: Header=BB6_9656 Depth=2
	s_or_b32 exec_lo, exec_lo, s25
	s_delay_alu instid0(SALU_CYCLE_1)
	s_and_b32 s10, s10, exec_lo
	s_or_saveexec_b32 s24, s24
	v_mov_b32_e32 v144, s23
	s_xor_b32 exec_lo, exec_lo, s24
	s_cbranch_execz .LBB6_11167
.LBB6_11702:                            ;   in Loop: Header=BB6_9656 Depth=2
	v_cmp_ne_u16_e64 vcc_lo, 0, v135
	v_mov_b32_e32 v144, 0
	s_and_not1_b32 s10, s10, exec_lo
	s_delay_alu instid0(VALU_DEP_2) | instskip(NEXT) | instid1(SALU_CYCLE_1)
	s_and_b32 s23, vcc_lo, exec_lo
	s_or_b32 s10, s10, s23
	s_or_b32 exec_lo, exec_lo, s24
	s_and_saveexec_b32 s23, s10
	s_cbranch_execnz .LBB6_11168
	s_branch .LBB6_11169
.LBB6_11703:                            ;   in Loop: Header=BB6_9656 Depth=2
	s_mov_b32 s10, -1
	s_mov_b32 s25, exec_lo
                                        ; implicit-def: $sgpr23
	v_cmpx_eq_u16_e64 0x80, v146
; %bb.11704:                            ;   in Loop: Header=BB6_9656 Depth=2
	s_mov_b32 s23, 0x7f800001
	s_xor_b32 s10, exec_lo, -1
; %bb.11705:                            ;   in Loop: Header=BB6_9656 Depth=2
	s_or_b32 exec_lo, exec_lo, s25
	s_delay_alu instid0(SALU_CYCLE_1)
	s_and_b32 s10, s10, exec_lo
                                        ; implicit-def: $vgpr146
	s_or_saveexec_b32 s24, s24
	v_mov_b32_e32 v145, s23
	s_xor_b32 exec_lo, exec_lo, s24
	s_cbranch_execz .LBB6_11179
.LBB6_11706:                            ;   in Loop: Header=BB6_9656 Depth=2
	v_cmp_ne_u16_e64 vcc_lo, 0, v146
	v_mov_b32_e32 v145, 0
	s_and_not1_b32 s10, s10, exec_lo
	s_delay_alu instid0(VALU_DEP_2) | instskip(NEXT) | instid1(SALU_CYCLE_1)
	s_and_b32 s23, vcc_lo, exec_lo
	s_or_b32 s10, s10, s23
	s_or_b32 exec_lo, exec_lo, s24
	s_and_saveexec_b32 s23, s10
	s_cbranch_execnz .LBB6_11180
	s_branch .LBB6_11181
.LBB6_11707:                            ;   in Loop: Header=BB6_9656 Depth=2
	s_mov_b32 s10, -1
	s_mov_b32 s25, exec_lo
                                        ; implicit-def: $sgpr23
	v_cmpx_eq_u16_e64 0x80, v145
; %bb.11708:                            ;   in Loop: Header=BB6_9656 Depth=2
	s_mov_b32 s23, 0x7f800001
	s_xor_b32 s10, exec_lo, -1
; %bb.11709:                            ;   in Loop: Header=BB6_9656 Depth=2
	s_or_b32 exec_lo, exec_lo, s25
	s_delay_alu instid0(SALU_CYCLE_1)
	s_and_b32 s10, s10, exec_lo
	s_or_saveexec_b32 s24, s24
	v_mov_b32_e32 v146, s23
	s_xor_b32 exec_lo, exec_lo, s24
	s_cbranch_execz .LBB6_11191
.LBB6_11710:                            ;   in Loop: Header=BB6_9656 Depth=2
	v_cmp_ne_u16_e64 vcc_lo, 0, v145
	v_mov_b32_e32 v146, 0
	s_and_not1_b32 s10, s10, exec_lo
	s_delay_alu instid0(VALU_DEP_2) | instskip(NEXT) | instid1(SALU_CYCLE_1)
	s_and_b32 s23, vcc_lo, exec_lo
	s_or_b32 s10, s10, s23
	s_or_b32 exec_lo, exec_lo, s24
	s_and_saveexec_b32 s23, s10
	s_cbranch_execnz .LBB6_11192
	s_branch .LBB6_11193
.LBB6_11711:                            ;   in Loop: Header=BB6_9570 Depth=1
	s_or_b32 exec_lo, exec_lo, s20
.LBB6_11712:                            ;   in Loop: Header=BB6_9570 Depth=1
	s_delay_alu instid0(SALU_CYCLE_1)
	s_or_b32 exec_lo, exec_lo, s11
	scratch_load_b32 v11, off, s33 offset:440 ; 4-byte Folded Reload
	v_mov_b32_e32 v22, 0
	s_mov_b32 s10, 0
	s_mov_b32 s20, exec_lo
                                        ; implicit-def: $vgpr21
                                        ; implicit-def: $vgpr23
                                        ; implicit-def: $vgpr12
	s_waitcnt vmcnt(0)
	v_and_b32_e32 v10, 0x3ffff000, v11
	s_delay_alu instid0(VALU_DEP_1)
	v_cmpx_ne_u32_e64 v10, v11
	s_cbranch_execz .LBB6_11986
; %bb.11713:                            ;   in Loop: Header=BB6_9570 Depth=1
	scratch_load_b32 v20, off, s33 offset:440 ; 4-byte Folded Reload
	v_lshlrev_b32_e32 v11, 5, v85
	s_mov_b32 s21, exec_lo
	s_delay_alu instid0(VALU_DEP_1) | instskip(NEXT) | instid1(VALU_DEP_1)
	v_sub_nc_u32_e32 v11, v54, v11
	v_ashrrev_i32_e32 v12, 31, v11
	s_delay_alu instid0(VALU_DEP_1) | instskip(NEXT) | instid1(VALU_DEP_1)
	v_lshrrev_b32_e32 v12, 27, v12
	v_add_nc_u32_e32 v12, v11, v12
	s_delay_alu instid0(VALU_DEP_1) | instskip(SKIP_1) | instid1(VALU_DEP_2)
	v_and_b32_e32 v13, 0xffffffe0, v12
	v_ashrrev_i32_e32 v12, 5, v12
	v_sub_nc_u32_e32 v24, v11, v13
	s_delay_alu instid0(VALU_DEP_1) | instskip(SKIP_4) | instid1(VALU_DEP_2)
	v_lshlrev_b32_e32 v19, 4, v24
	s_waitcnt vmcnt(0)
	v_and_b32_e32 v13, 0xfff, v20
	v_and_b32_e32 v11, 0xe00, v20
	v_bfe_u32 v20, v20, 9, 3
	v_sub_nc_u32_e32 v84, v13, v11
	v_lshl_add_u32 v11, v12, 9, v19
	s_delay_alu instid0(VALU_DEP_2) | instskip(NEXT) | instid1(VALU_DEP_2)
	v_cmp_lt_i32_e64 s10, 15, v84
	v_sub_nc_u32_e32 v23, v13, v11
	s_delay_alu instid0(VALU_DEP_2) | instskip(NEXT) | instid1(VALU_DEP_1)
	v_add_co_ci_u32_e64 v19, vcc_lo, 0, v20, s10
	v_sub_nc_u32_e32 v85, v19, v12
	s_delay_alu instid0(VALU_DEP_3)
	v_cmpx_lt_i32_e32 15, v23
	s_cbranch_execz .LBB6_11983
; %bb.11714:                            ;   in Loop: Header=BB6_9570 Depth=1
	s_cbranch_execnz .LBB6_12863
; %bb.11715:                            ;   in Loop: Header=BB6_9570 Depth=1
	ds_load_b64 v[19:20], v0
	v_add_nc_u32_e32 v86, v11, v10
	s_delay_alu instid0(VALU_DEP_1) | instskip(SKIP_3) | instid1(VALU_DEP_2)
	v_ashrrev_i32_e32 v87, 31, v86
	s_waitcnt lgkmcnt(0)
	v_readfirstlane_b32 s11, v19
	v_and_b32_e32 v96, 0xff, v19
	s_and_b32 s22, s11, 7
	s_bfe_u32 s25, s11, 0x40003
	s_clz_i32_u32 s23, s22
	s_delay_alu instid0(SALU_CYCLE_1) | instskip(NEXT) | instid1(SALU_CYCLE_1)
	s_min_u32 s23, s23, 32
	s_sub_i32 s24, s23, 28
	s_sub_i32 s23, 29, s23
	s_lshl_b32 s24, s11, s24
	s_delay_alu instid0(SALU_CYCLE_1)
	s_and_b32 s24, s24, 7
	s_cmp_eq_u32 s25, 0
	s_cselect_b32 s23, s23, s25
	s_cselect_b32 s22, s24, s22
	s_lshl_b32 s11, s11, 24
	s_lshl_b32 s24, s22, 20
	;; [unrolled: 1-line block ×3, first 2 shown]
	s_and_b32 s11, s11, 0x80000000
	s_add_i32 s22, s22, 0x3b800000
	s_delay_alu instid0(SALU_CYCLE_1)
	s_or_b32 s11, s11, s22
	s_mov_b32 s22, 0
	s_or_b32 s23, s11, s24
	s_branch .LBB6_11719
.LBB6_11716:                            ;   in Loop: Header=BB6_11719 Depth=2
	s_or_b32 exec_lo, exec_lo, s11
	s_delay_alu instid0(VALU_DEP_1) | instskip(NEXT) | instid1(VALU_DEP_2)
	v_lshrrev_b32_e32 v115, 20, v115
	v_cmp_gt_i32_e32 vcc_lo, 16, v114
	v_min_i32_e32 v116, 15, v114
	v_lshrrev_b32_e32 v13, 24, v13
	s_delay_alu instid0(VALU_DEP_2) | instskip(NEXT) | instid1(VALU_DEP_2)
	v_dual_cndmask_b32 v115, 7, v115 :: v_dual_lshlrev_b32 v116, 3, v116
	v_and_b32_e32 v13, 0x80, v13
	s_delay_alu instid0(VALU_DEP_2) | instskip(NEXT) | instid1(VALU_DEP_3)
	v_or_b32_e32 v114, v114, v115
	v_and_b32_e32 v116, 0xf8, v116
	s_delay_alu instid0(VALU_DEP_2) | instskip(SKIP_1) | instid1(VALU_DEP_1)
	v_cmp_ne_u32_e32 vcc_lo, 0, v114
	v_and_b32_e32 v117, 7, v115
	v_or3_b32 v13, v13, v116, v117
	s_delay_alu instid0(VALU_DEP_1) | instskip(NEXT) | instid1(VALU_DEP_1)
	v_lshlrev_b32_e32 v13, 8, v13
	v_cndmask_b32_e32 v114, 0, v13, vcc_lo
.LBB6_11717:                            ;   in Loop: Header=BB6_11719 Depth=2
	s_or_b32 exec_lo, exec_lo, s25
.LBB6_11718:                            ;   in Loop: Header=BB6_11719 Depth=2
	s_delay_alu instid0(SALU_CYCLE_1)
	s_or_b32 exec_lo, exec_lo, s24
	v_or_b32_e32 v11, v11, v102
	v_and_b32_e32 v13, 0xff, v99
	v_lshlrev_b32_e32 v98, 8, v98
	v_and_b32_e32 v83, 0xff, v83
	v_lshlrev_b32_e32 v82, 8, v82
	v_or_b32_e32 v99, v114, v113
	v_sub_nc_u32_e32 v23, v23, v53
	v_lshlrev_b32_e32 v10, 24, v10
	v_lshlrev_b32_e32 v11, 16, v11
	;; [unrolled: 1-line block ×3, first 2 shown]
	v_perm_b32 v97, v98, v97, 0xc0c0500
	v_lshlrev_b32_e32 v12, 24, v12
	v_lshlrev_b32_e32 v83, 16, v83
	v_perm_b32 v66, v82, v66, 0xc0c0500
	v_lshlrev_b32_e32 v82, 16, v99
	v_cmp_gt_i32_e32 vcc_lo, 16, v23
	v_add_co_u32 v86, s11, v86, v67
	v_or3_b32 v11, v101, v100, v11
	v_or3_b32 v10, v10, v13, v97
	;; [unrolled: 1-line block ×4, first 2 shown]
	v_sub_nc_u32_e32 v85, v85, v25
	v_add_co_ci_u32_e64 v87, s11, v87, v68, s11
	s_or_b32 s22, vcc_lo, s22
	global_store_b128 v[21:22], v[10:13], off glc slc dlc
	s_and_not1_b32 exec_lo, exec_lo, s22
	s_cbranch_execz .LBB6_11982
.LBB6_11719:                            ;   Parent Loop BB6_9570 Depth=1
                                        ; =>  This Inner Loop Header: Depth=2
	v_cmp_gt_i16_e32 vcc_lo, 0x80, v96
	s_cbranch_vccnz .LBB6_11723
; %bb.11720:                            ;   in Loop: Header=BB6_11719 Depth=2
	v_cmp_eq_u16_e32 vcc_lo, 0x80, v96
	s_mov_b32 s11, -1
                                        ; implicit-def: $sgpr24
	s_cbranch_vccz .LBB6_11722
; %bb.11721:                            ;   in Loop: Header=BB6_11719 Depth=2
	s_mov_b32 s11, 0
	s_mov_b32 s24, 0x7f800001
.LBB6_11722:                            ;   in Loop: Header=BB6_11719 Depth=2
	s_mov_b32 s25, 0
	s_branch .LBB6_11724
.LBB6_11723:                            ;   in Loop: Header=BB6_11719 Depth=2
	s_mov_b32 s25, -1
	s_mov_b32 s11, 0
                                        ; implicit-def: $sgpr24
.LBB6_11724:                            ;   in Loop: Header=BB6_11719 Depth=2
	s_and_b32 vcc_lo, exec_lo, s25
	s_cbranch_vccz .LBB6_11726
; %bb.11725:                            ;   in Loop: Header=BB6_11719 Depth=2
	v_cmp_ne_u16_e64 s11, 0, v96
	s_mov_b32 s24, 0
.LBB6_11726:                            ;   in Loop: Header=BB6_11719 Depth=2
	s_delay_alu instid0(VALU_DEP_1)
	s_and_not1_b32 vcc_lo, exec_lo, s11
	s_cbranch_vccnz .LBB6_11728
; %bb.11727:                            ;   in Loop: Header=BB6_11719 Depth=2
	s_mov_b32 s24, s23
.LBB6_11728:                            ;   in Loop: Header=BB6_11719 Depth=2
	v_add_co_u32 v21, vcc_lo, v19, v86
	v_add_co_ci_u32_e32 v22, vcc_lo, v20, v87, vcc_lo
	s_mov_b32 s11, 0
	s_mov_b32 s26, exec_lo
                                        ; implicit-def: $sgpr25
	global_load_b128 v[10:13], v[21:22], off slc dlc
	s_waitcnt vmcnt(0)
	v_and_b32_e32 v82, 0xff, v10
	s_delay_alu instid0(VALU_DEP_1)
	v_cmpx_lt_i16_e32 0x7f, v82
	s_xor_b32 s26, exec_lo, s26
	s_cbranch_execnz .LBB6_11918
; %bb.11729:                            ;   in Loop: Header=BB6_11719 Depth=2
	s_or_saveexec_b32 s26, s26
	v_mov_b32_e32 v66, s25
	s_xor_b32 exec_lo, exec_lo, s26
	s_cbranch_execnz .LBB6_11921
.LBB6_11730:                            ;   in Loop: Header=BB6_11719 Depth=2
	s_or_b32 exec_lo, exec_lo, s26
	s_and_saveexec_b32 s25, s11
	s_cbranch_execz .LBB6_11732
.LBB6_11731:                            ;   in Loop: Header=BB6_11719 Depth=2
	v_and_b32_e32 v66, 7, v10
	v_bfe_u32 v97, v10, 3, 4
	v_lshlrev_b32_e32 v98, 24, v10
	s_delay_alu instid0(VALU_DEP_3) | instskip(NEXT) | instid1(VALU_DEP_3)
	v_clz_i32_u32_e32 v82, v66
	v_cmp_eq_u32_e32 vcc_lo, 0, v97
	s_delay_alu instid0(VALU_DEP_2) | instskip(NEXT) | instid1(VALU_DEP_1)
	v_min_u32_e32 v82, 32, v82
	v_subrev_nc_u32_e32 v83, 28, v82
	v_sub_nc_u32_e32 v82, 29, v82
	s_delay_alu instid0(VALU_DEP_2) | instskip(NEXT) | instid1(VALU_DEP_1)
	v_lshlrev_b32_e32 v83, v83, v10
	v_dual_cndmask_b32 v82, v97, v82 :: v_dual_and_b32 v83, 7, v83
	s_delay_alu instid0(VALU_DEP_1) | instskip(NEXT) | instid1(VALU_DEP_2)
	v_lshl_add_u32 v82, v82, 23, 0x3b800000
	v_dual_cndmask_b32 v66, v66, v83 :: v_dual_and_b32 v83, 0x80000000, v98
	s_delay_alu instid0(VALU_DEP_1) | instskip(NEXT) | instid1(VALU_DEP_1)
	v_lshlrev_b32_e32 v66, 20, v66
	v_or3_b32 v66, v83, v82, v66
.LBB6_11732:                            ;   in Loop: Header=BB6_11719 Depth=2
	s_or_b32 exec_lo, exec_lo, s25
	s_delay_alu instid0(VALU_DEP_1) | instskip(SKIP_1) | instid1(VALU_DEP_1)
	v_dual_mul_f32 v66, s24, v66 :: v_dual_mov_b32 v97, 0x80
	s_mov_b32 s25, exec_lo
	v_and_b32_e32 v82, 0x7f800000, v66
	s_delay_alu instid0(VALU_DEP_1)
	v_cmpx_ne_u32_e32 0x7f800000, v82
	s_cbranch_execz .LBB6_11740
; %bb.11733:                            ;   in Loop: Header=BB6_11719 Depth=2
	v_mov_b32_e32 v97, 0
	s_mov_b32 s26, exec_lo
	v_cmpx_ne_u32_e32 0, v66
	s_cbranch_execz .LBB6_11739
; %bb.11734:                            ;   in Loop: Header=BB6_11719 Depth=2
	v_bfe_u32 v82, v66, 23, 8
	v_and_b32_e32 v83, 0x7fffff, v66
	s_delay_alu instid0(VALU_DEP_2) | instskip(SKIP_1) | instid1(VALU_DEP_3)
	v_sub_nc_u32_e32 v97, 0x78, v82
	v_cmp_gt_u32_e32 vcc_lo, 0x79, v82
	v_or_b32_e32 v98, 0x800000, v83
	s_delay_alu instid0(VALU_DEP_3) | instskip(SKIP_2) | instid1(VALU_DEP_3)
	v_cndmask_b32_e32 v97, 0, v97, vcc_lo
	v_cmp_eq_u32_e32 vcc_lo, 0, v82
	v_add_nc_u32_e32 v82, 0xffffff89, v82
	v_cndmask_b32_e64 v97, v97, 0x77, vcc_lo
	v_cndmask_b32_e32 v83, v98, v83, vcc_lo
	s_delay_alu instid0(VALU_DEP_3) | instskip(NEXT) | instid1(VALU_DEP_3)
	v_cndmask_b32_e64 v82, v82, 0xffffff8a, vcc_lo
	v_lshl_add_u32 v98, 0x100000, v97, -1
	s_delay_alu instid0(VALU_DEP_3) | instskip(SKIP_1) | instid1(VALU_DEP_4)
	v_lshrrev_b32_e32 v99, v97, v83
	v_lshlrev_b32_e64 v101, v97, 0x80000
	v_add_nc_u32_e32 v97, v97, v82
	s_delay_alu instid0(VALU_DEP_4) | instskip(NEXT) | instid1(VALU_DEP_4)
	v_and_b32_e32 v83, v98, v83
	v_bfe_u32 v100, v99, 20, 1
	s_delay_alu instid0(VALU_DEP_2) | instskip(NEXT) | instid1(VALU_DEP_2)
	v_cmp_eq_u32_e64 s11, v83, v101
	v_add_nc_u32_e32 v98, -1, v100
	s_delay_alu instid0(VALU_DEP_1) | instskip(SKIP_2) | instid1(VALU_DEP_2)
	v_cndmask_b32_e64 v83, 0, v98, s11
	v_lshrrev_b32_e32 v98, 23, v99
	s_mov_b32 s11, exec_lo
	v_add_nc_u32_e32 v83, v83, v99
	s_delay_alu instid0(VALU_DEP_2) | instskip(NEXT) | instid1(VALU_DEP_2)
	v_xor_b32_e32 v98, 1, v98
	v_and_b32_e32 v82, 0xfffff, v83
	s_delay_alu instid0(VALU_DEP_1) | instskip(NEXT) | instid1(VALU_DEP_3)
	v_add_nc_u32_e32 v83, v82, v99
                                        ; implicit-def: $vgpr82
	v_cmpx_ne_u32_e64 v97, v98
	s_xor_b32 s11, exec_lo, s11
; %bb.11735:                            ;   in Loop: Header=BB6_11719 Depth=2
	s_delay_alu instid0(VALU_DEP_2) | instskip(SKIP_2) | instid1(VALU_DEP_2)
	v_cmp_lt_u32_e32 vcc_lo, 0xffffff, v83
	v_sub_nc_u32_e32 v82, v97, v98
	v_cndmask_b32_e64 v97, 0, 1, vcc_lo
	v_add_co_ci_u32_e32 v82, vcc_lo, 0, v82, vcc_lo
	s_delay_alu instid0(VALU_DEP_2)
	v_lshrrev_b32_e32 v83, v97, v83
; %bb.11736:                            ;   in Loop: Header=BB6_11719 Depth=2
	s_and_not1_saveexec_b32 s11, s11
; %bb.11737:                            ;   in Loop: Header=BB6_11719 Depth=2
	s_delay_alu instid0(VALU_DEP_1)
	v_bfe_u32 v82, v83, 23, 1
; %bb.11738:                            ;   in Loop: Header=BB6_11719 Depth=2
	s_or_b32 exec_lo, exec_lo, s11
	v_lshrrev_b32_e32 v83, 20, v83
	s_delay_alu instid0(VALU_DEP_2) | instskip(SKIP_2) | instid1(VALU_DEP_2)
	v_cmp_gt_i32_e32 vcc_lo, 16, v82
	v_lshrrev_b32_e32 v66, 24, v66
	v_min_i32_e32 v97, 15, v82
	v_dual_cndmask_b32 v83, 7, v83 :: v_dual_and_b32 v66, 0x80, v66
	s_delay_alu instid0(VALU_DEP_2) | instskip(NEXT) | instid1(VALU_DEP_2)
	v_lshlrev_b32_e32 v97, 3, v97
	v_or_b32_e32 v82, v82, v83
	s_delay_alu instid0(VALU_DEP_1) | instskip(SKIP_1) | instid1(VALU_DEP_1)
	v_cmp_ne_u32_e32 vcc_lo, 0, v82
	v_and_b32_e32 v98, 7, v83
	v_or3_b32 v66, v97, v66, v98
	s_delay_alu instid0(VALU_DEP_1)
	v_cndmask_b32_e32 v97, 0, v66, vcc_lo
.LBB6_11739:                            ;   in Loop: Header=BB6_11719 Depth=2
	s_or_b32 exec_lo, exec_lo, s26
.LBB6_11740:                            ;   in Loop: Header=BB6_11719 Depth=2
	s_delay_alu instid0(SALU_CYCLE_1) | instskip(SKIP_3) | instid1(VALU_DEP_1)
	s_or_b32 exec_lo, exec_lo, s25
	v_lshrrev_b16 v66, 8, v10
	s_mov_b32 s11, 0
	s_mov_b32 s26, exec_lo
                                        ; implicit-def: $sgpr25
	v_cmpx_lt_i16_e32 0x7f, v66
	s_xor_b32 s26, exec_lo, s26
	s_cbranch_execnz .LBB6_11922
; %bb.11741:                            ;   in Loop: Header=BB6_11719 Depth=2
	s_or_saveexec_b32 s26, s26
	v_mov_b32_e32 v82, s25
	s_xor_b32 exec_lo, exec_lo, s26
	s_cbranch_execnz .LBB6_11925
.LBB6_11742:                            ;   in Loop: Header=BB6_11719 Depth=2
	s_or_b32 exec_lo, exec_lo, s26
	s_and_saveexec_b32 s25, s11
	s_cbranch_execz .LBB6_11744
.LBB6_11743:                            ;   in Loop: Header=BB6_11719 Depth=2
	v_and_b32_e32 v82, 0xffff, v66
	v_lshlrev_b32_e32 v66, 24, v66
	s_delay_alu instid0(VALU_DEP_2) | instskip(NEXT) | instid1(VALU_DEP_2)
	v_and_b32_e32 v83, 7, v82
	v_and_b32_e32 v66, 0x80000000, v66
	s_delay_alu instid0(VALU_DEP_2) | instskip(NEXT) | instid1(VALU_DEP_1)
	v_clz_i32_u32_e32 v98, v83
	v_min_u32_e32 v98, 32, v98
	s_delay_alu instid0(VALU_DEP_1) | instskip(SKIP_1) | instid1(VALU_DEP_2)
	v_subrev_nc_u32_e32 v99, 28, v98
	v_sub_nc_u32_e32 v98, 29, v98
	v_lshlrev_b32_e32 v99, v99, v82
	v_bfe_u32 v82, v82, 3, 4
	s_delay_alu instid0(VALU_DEP_1) | instskip(NEXT) | instid1(VALU_DEP_3)
	v_cmp_eq_u32_e32 vcc_lo, 0, v82
	v_dual_cndmask_b32 v82, v82, v98 :: v_dual_and_b32 v99, 7, v99
	s_delay_alu instid0(VALU_DEP_1) | instskip(NEXT) | instid1(VALU_DEP_2)
	v_cndmask_b32_e32 v83, v83, v99, vcc_lo
	v_lshl_add_u32 v82, v82, 23, 0x3b800000
	s_delay_alu instid0(VALU_DEP_2) | instskip(NEXT) | instid1(VALU_DEP_1)
	v_lshlrev_b32_e32 v83, 20, v83
	v_or3_b32 v82, v66, v82, v83
.LBB6_11744:                            ;   in Loop: Header=BB6_11719 Depth=2
	s_or_b32 exec_lo, exec_lo, s25
	s_delay_alu instid0(VALU_DEP_1) | instskip(SKIP_2) | instid1(VALU_DEP_2)
	v_mul_f32_e32 v66, s24, v82
	v_mov_b32_e32 v98, 0x80
	s_mov_b32 s25, exec_lo
	v_and_b32_e32 v82, 0x7f800000, v66
	s_delay_alu instid0(VALU_DEP_1)
	v_cmpx_ne_u32_e32 0x7f800000, v82
	s_cbranch_execz .LBB6_11752
; %bb.11745:                            ;   in Loop: Header=BB6_11719 Depth=2
	v_mov_b32_e32 v98, 0
	s_mov_b32 s26, exec_lo
	v_cmpx_ne_u32_e32 0, v66
	s_cbranch_execz .LBB6_11751
; %bb.11746:                            ;   in Loop: Header=BB6_11719 Depth=2
	v_bfe_u32 v82, v66, 23, 8
	v_and_b32_e32 v83, 0x7fffff, v66
	s_delay_alu instid0(VALU_DEP_2) | instskip(SKIP_1) | instid1(VALU_DEP_3)
	v_sub_nc_u32_e32 v98, 0x78, v82
	v_cmp_gt_u32_e32 vcc_lo, 0x79, v82
	v_or_b32_e32 v99, 0x800000, v83
	s_delay_alu instid0(VALU_DEP_3) | instskip(SKIP_1) | instid1(VALU_DEP_3)
	v_cndmask_b32_e32 v98, 0, v98, vcc_lo
	v_cmp_eq_u32_e32 vcc_lo, 0, v82
	v_dual_cndmask_b32 v83, v99, v83 :: v_dual_add_nc_u32 v82, 0xffffff89, v82
	s_delay_alu instid0(VALU_DEP_3) | instskip(NEXT) | instid1(VALU_DEP_2)
	v_cndmask_b32_e64 v98, v98, 0x77, vcc_lo
	v_cndmask_b32_e64 v82, v82, 0xffffff8a, vcc_lo
	s_delay_alu instid0(VALU_DEP_2) | instskip(SKIP_2) | instid1(VALU_DEP_4)
	v_lshrrev_b32_e32 v100, v98, v83
	v_lshl_add_u32 v99, 0x100000, v98, -1
	v_lshlrev_b32_e64 v102, v98, 0x80000
	v_add_nc_u32_e32 v98, v98, v82
	s_delay_alu instid0(VALU_DEP_4) | instskip(NEXT) | instid1(VALU_DEP_4)
	v_bfe_u32 v101, v100, 20, 1
	v_and_b32_e32 v83, v99, v83
	s_delay_alu instid0(VALU_DEP_2) | instskip(NEXT) | instid1(VALU_DEP_2)
	v_add_nc_u32_e32 v99, -1, v101
	v_cmp_eq_u32_e64 s11, v83, v102
	s_delay_alu instid0(VALU_DEP_1) | instskip(SKIP_2) | instid1(VALU_DEP_2)
	v_cndmask_b32_e64 v83, 0, v99, s11
	v_lshrrev_b32_e32 v99, 23, v100
	s_mov_b32 s11, exec_lo
	v_add_nc_u32_e32 v83, v83, v100
	s_delay_alu instid0(VALU_DEP_2) | instskip(NEXT) | instid1(VALU_DEP_2)
	v_xor_b32_e32 v99, 1, v99
	v_and_b32_e32 v82, 0xfffff, v83
	s_delay_alu instid0(VALU_DEP_1) | instskip(NEXT) | instid1(VALU_DEP_3)
	v_add_nc_u32_e32 v83, v82, v100
                                        ; implicit-def: $vgpr82
	v_cmpx_ne_u32_e64 v98, v99
	s_xor_b32 s11, exec_lo, s11
; %bb.11747:                            ;   in Loop: Header=BB6_11719 Depth=2
	s_delay_alu instid0(VALU_DEP_2) | instskip(SKIP_2) | instid1(VALU_DEP_2)
	v_cmp_lt_u32_e32 vcc_lo, 0xffffff, v83
	v_sub_nc_u32_e32 v82, v98, v99
	v_cndmask_b32_e64 v98, 0, 1, vcc_lo
	v_add_co_ci_u32_e32 v82, vcc_lo, 0, v82, vcc_lo
	s_delay_alu instid0(VALU_DEP_2)
	v_lshrrev_b32_e32 v83, v98, v83
; %bb.11748:                            ;   in Loop: Header=BB6_11719 Depth=2
	s_and_not1_saveexec_b32 s11, s11
; %bb.11749:                            ;   in Loop: Header=BB6_11719 Depth=2
	s_delay_alu instid0(VALU_DEP_1)
	v_bfe_u32 v82, v83, 23, 1
; %bb.11750:                            ;   in Loop: Header=BB6_11719 Depth=2
	s_or_b32 exec_lo, exec_lo, s11
	v_lshrrev_b32_e32 v83, 20, v83
	s_delay_alu instid0(VALU_DEP_2) | instskip(SKIP_2) | instid1(VALU_DEP_2)
	v_cmp_gt_i32_e32 vcc_lo, 16, v82
	v_lshrrev_b32_e32 v66, 24, v66
	v_min_i32_e32 v98, 15, v82
	v_dual_cndmask_b32 v83, 7, v83 :: v_dual_and_b32 v66, 0x80, v66
	s_delay_alu instid0(VALU_DEP_2) | instskip(NEXT) | instid1(VALU_DEP_2)
	v_lshlrev_b32_e32 v98, 3, v98
	v_or_b32_e32 v82, v82, v83
	s_delay_alu instid0(VALU_DEP_1) | instskip(SKIP_1) | instid1(VALU_DEP_1)
	v_cmp_ne_u32_e32 vcc_lo, 0, v82
	v_and_b32_e32 v99, 7, v83
	v_or3_b32 v66, v98, v66, v99
	s_delay_alu instid0(VALU_DEP_1)
	v_cndmask_b32_e32 v98, 0, v66, vcc_lo
.LBB6_11751:                            ;   in Loop: Header=BB6_11719 Depth=2
	s_or_b32 exec_lo, exec_lo, s26
.LBB6_11752:                            ;   in Loop: Header=BB6_11719 Depth=2
	s_delay_alu instid0(SALU_CYCLE_1) | instskip(SKIP_3) | instid1(VALU_DEP_1)
	s_or_b32 exec_lo, exec_lo, s25
	v_lshrrev_b32_e32 v66, 16, v10
	s_mov_b32 s11, 0
	s_mov_b32 s26, exec_lo
                                        ; implicit-def: $sgpr25
	v_and_b32_e32 v83, 0xff, v66
	s_delay_alu instid0(VALU_DEP_1)
	v_cmpx_lt_i16_e32 0x7f, v83
	s_xor_b32 s26, exec_lo, s26
	s_cbranch_execnz .LBB6_11926
; %bb.11753:                            ;   in Loop: Header=BB6_11719 Depth=2
	s_or_saveexec_b32 s26, s26
	v_mov_b32_e32 v82, s25
	s_xor_b32 exec_lo, exec_lo, s26
	s_cbranch_execnz .LBB6_11929
.LBB6_11754:                            ;   in Loop: Header=BB6_11719 Depth=2
	s_or_b32 exec_lo, exec_lo, s26
	s_and_saveexec_b32 s25, s11
	s_cbranch_execz .LBB6_11756
.LBB6_11755:                            ;   in Loop: Header=BB6_11719 Depth=2
	v_bfe_u32 v82, v10, 16, 3
	v_lshlrev_b32_e32 v100, 8, v10
	s_delay_alu instid0(VALU_DEP_2) | instskip(NEXT) | instid1(VALU_DEP_1)
	v_clz_i32_u32_e32 v83, v82
	v_min_u32_e32 v83, 32, v83
	s_delay_alu instid0(VALU_DEP_1) | instskip(SKIP_1) | instid1(VALU_DEP_2)
	v_subrev_nc_u32_e32 v99, 28, v83
	v_sub_nc_u32_e32 v83, 29, v83
	v_lshlrev_b32_e32 v66, v99, v66
	v_bfe_u32 v99, v10, 19, 4
	s_delay_alu instid0(VALU_DEP_1) | instskip(NEXT) | instid1(VALU_DEP_3)
	v_cmp_eq_u32_e32 vcc_lo, 0, v99
	v_dual_cndmask_b32 v83, v99, v83 :: v_dual_and_b32 v66, 7, v66
	s_delay_alu instid0(VALU_DEP_1) | instskip(SKIP_1) | instid1(VALU_DEP_3)
	v_cndmask_b32_e32 v66, v82, v66, vcc_lo
	v_and_b32_e32 v82, 0x80000000, v100
	v_lshl_add_u32 v83, v83, 23, 0x3b800000
	s_delay_alu instid0(VALU_DEP_3) | instskip(NEXT) | instid1(VALU_DEP_1)
	v_lshlrev_b32_e32 v66, 20, v66
	v_or3_b32 v82, v82, v83, v66
.LBB6_11756:                            ;   in Loop: Header=BB6_11719 Depth=2
	s_or_b32 exec_lo, exec_lo, s25
	s_delay_alu instid0(VALU_DEP_1) | instskip(SKIP_1) | instid1(VALU_DEP_1)
	v_dual_mul_f32 v66, s24, v82 :: v_dual_mov_b32 v99, 0x80
	s_mov_b32 s25, exec_lo
	v_and_b32_e32 v82, 0x7f800000, v66
	s_delay_alu instid0(VALU_DEP_1)
	v_cmpx_ne_u32_e32 0x7f800000, v82
	s_cbranch_execz .LBB6_11764
; %bb.11757:                            ;   in Loop: Header=BB6_11719 Depth=2
	v_mov_b32_e32 v99, 0
	s_mov_b32 s26, exec_lo
	v_cmpx_ne_u32_e32 0, v66
	s_cbranch_execz .LBB6_11763
; %bb.11758:                            ;   in Loop: Header=BB6_11719 Depth=2
	v_bfe_u32 v82, v66, 23, 8
	v_and_b32_e32 v83, 0x7fffff, v66
	s_delay_alu instid0(VALU_DEP_2) | instskip(SKIP_1) | instid1(VALU_DEP_3)
	v_sub_nc_u32_e32 v99, 0x78, v82
	v_cmp_gt_u32_e32 vcc_lo, 0x79, v82
	v_or_b32_e32 v100, 0x800000, v83
	s_delay_alu instid0(VALU_DEP_3) | instskip(SKIP_2) | instid1(VALU_DEP_3)
	v_cndmask_b32_e32 v99, 0, v99, vcc_lo
	v_cmp_eq_u32_e32 vcc_lo, 0, v82
	v_add_nc_u32_e32 v82, 0xffffff89, v82
	v_cndmask_b32_e64 v99, v99, 0x77, vcc_lo
	v_cndmask_b32_e32 v83, v100, v83, vcc_lo
	s_delay_alu instid0(VALU_DEP_3) | instskip(NEXT) | instid1(VALU_DEP_3)
	v_cndmask_b32_e64 v82, v82, 0xffffff8a, vcc_lo
	v_lshl_add_u32 v100, 0x100000, v99, -1
	s_delay_alu instid0(VALU_DEP_3) | instskip(SKIP_1) | instid1(VALU_DEP_4)
	v_lshrrev_b32_e32 v101, v99, v83
	v_lshlrev_b32_e64 v103, v99, 0x80000
	v_add_nc_u32_e32 v99, v99, v82
	s_delay_alu instid0(VALU_DEP_4) | instskip(NEXT) | instid1(VALU_DEP_4)
	v_and_b32_e32 v83, v100, v83
	v_bfe_u32 v102, v101, 20, 1
	s_delay_alu instid0(VALU_DEP_2) | instskip(NEXT) | instid1(VALU_DEP_2)
	v_cmp_eq_u32_e64 s11, v83, v103
	v_add_nc_u32_e32 v100, -1, v102
	s_delay_alu instid0(VALU_DEP_1) | instskip(SKIP_2) | instid1(VALU_DEP_2)
	v_cndmask_b32_e64 v83, 0, v100, s11
	v_lshrrev_b32_e32 v100, 23, v101
	s_mov_b32 s11, exec_lo
	v_add_nc_u32_e32 v83, v83, v101
	s_delay_alu instid0(VALU_DEP_2) | instskip(NEXT) | instid1(VALU_DEP_2)
	v_xor_b32_e32 v100, 1, v100
	v_and_b32_e32 v82, 0xfffff, v83
	s_delay_alu instid0(VALU_DEP_1) | instskip(NEXT) | instid1(VALU_DEP_3)
	v_add_nc_u32_e32 v83, v82, v101
                                        ; implicit-def: $vgpr82
	v_cmpx_ne_u32_e64 v99, v100
	s_xor_b32 s11, exec_lo, s11
; %bb.11759:                            ;   in Loop: Header=BB6_11719 Depth=2
	s_delay_alu instid0(VALU_DEP_2) | instskip(SKIP_2) | instid1(VALU_DEP_2)
	v_cmp_lt_u32_e32 vcc_lo, 0xffffff, v83
	v_sub_nc_u32_e32 v82, v99, v100
	v_cndmask_b32_e64 v99, 0, 1, vcc_lo
	v_add_co_ci_u32_e32 v82, vcc_lo, 0, v82, vcc_lo
	s_delay_alu instid0(VALU_DEP_2)
	v_lshrrev_b32_e32 v83, v99, v83
; %bb.11760:                            ;   in Loop: Header=BB6_11719 Depth=2
	s_and_not1_saveexec_b32 s11, s11
; %bb.11761:                            ;   in Loop: Header=BB6_11719 Depth=2
	s_delay_alu instid0(VALU_DEP_1)
	v_bfe_u32 v82, v83, 23, 1
; %bb.11762:                            ;   in Loop: Header=BB6_11719 Depth=2
	s_or_b32 exec_lo, exec_lo, s11
	v_lshrrev_b32_e32 v83, 20, v83
	s_delay_alu instid0(VALU_DEP_2) | instskip(SKIP_2) | instid1(VALU_DEP_2)
	v_cmp_gt_i32_e32 vcc_lo, 16, v82
	v_lshrrev_b32_e32 v66, 24, v66
	v_min_i32_e32 v99, 15, v82
	v_dual_cndmask_b32 v83, 7, v83 :: v_dual_and_b32 v66, 0x80, v66
	s_delay_alu instid0(VALU_DEP_2) | instskip(NEXT) | instid1(VALU_DEP_2)
	v_lshlrev_b32_e32 v99, 3, v99
	v_or_b32_e32 v82, v82, v83
	s_delay_alu instid0(VALU_DEP_1) | instskip(SKIP_1) | instid1(VALU_DEP_1)
	v_cmp_ne_u32_e32 vcc_lo, 0, v82
	v_and_b32_e32 v100, 7, v83
	v_or3_b32 v66, v99, v66, v100
	s_delay_alu instid0(VALU_DEP_1)
	v_cndmask_b32_e32 v99, 0, v66, vcc_lo
.LBB6_11763:                            ;   in Loop: Header=BB6_11719 Depth=2
	s_or_b32 exec_lo, exec_lo, s26
.LBB6_11764:                            ;   in Loop: Header=BB6_11719 Depth=2
	s_delay_alu instid0(SALU_CYCLE_1) | instskip(SKIP_3) | instid1(VALU_DEP_1)
	s_or_b32 exec_lo, exec_lo, s25
	v_lshrrev_b32_e32 v66, 24, v10
	s_mov_b32 s11, 0
	s_mov_b32 s26, exec_lo
                                        ; implicit-def: $sgpr25
	v_cmpx_lt_i16_e32 0x7f, v66
	s_xor_b32 s26, exec_lo, s26
	s_cbranch_execnz .LBB6_11930
; %bb.11765:                            ;   in Loop: Header=BB6_11719 Depth=2
	s_or_saveexec_b32 s26, s26
	v_mov_b32_e32 v82, s25
	s_xor_b32 exec_lo, exec_lo, s26
	s_cbranch_execnz .LBB6_11933
.LBB6_11766:                            ;   in Loop: Header=BB6_11719 Depth=2
	s_or_b32 exec_lo, exec_lo, s26
	s_and_saveexec_b32 s25, s11
	s_cbranch_execz .LBB6_11768
.LBB6_11767:                            ;   in Loop: Header=BB6_11719 Depth=2
	v_bfe_u32 v82, v10, 24, 3
	s_delay_alu instid0(VALU_DEP_1) | instskip(NEXT) | instid1(VALU_DEP_1)
	v_clz_i32_u32_e32 v83, v82
	v_min_u32_e32 v83, 32, v83
	s_delay_alu instid0(VALU_DEP_1) | instskip(SKIP_1) | instid1(VALU_DEP_2)
	v_subrev_nc_u32_e32 v100, 28, v83
	v_sub_nc_u32_e32 v83, 29, v83
	v_lshlrev_b32_e32 v66, v100, v66
	v_bfe_u32 v100, v10, 27, 4
	v_and_b32_e32 v10, 0x80000000, v10
	s_delay_alu instid0(VALU_DEP_2) | instskip(NEXT) | instid1(VALU_DEP_4)
	v_cmp_eq_u32_e32 vcc_lo, 0, v100
	v_dual_cndmask_b32 v83, v100, v83 :: v_dual_and_b32 v66, 7, v66
	s_delay_alu instid0(VALU_DEP_1) | instskip(NEXT) | instid1(VALU_DEP_2)
	v_cndmask_b32_e32 v66, v82, v66, vcc_lo
	v_lshl_add_u32 v82, v83, 23, 0x3b800000
	s_delay_alu instid0(VALU_DEP_2) | instskip(NEXT) | instid1(VALU_DEP_1)
	v_lshlrev_b32_e32 v66, 20, v66
	v_or3_b32 v82, v10, v82, v66
.LBB6_11768:                            ;   in Loop: Header=BB6_11719 Depth=2
	s_or_b32 exec_lo, exec_lo, s25
	s_delay_alu instid0(VALU_DEP_1) | instskip(NEXT) | instid1(VALU_DEP_1)
	v_mul_f32_e32 v66, s24, v82
	v_and_b32_e32 v10, 0x7f800000, v66
	s_delay_alu instid0(VALU_DEP_1)
	v_cmp_ne_u32_e32 vcc_lo, 0x7f800000, v10
	v_mov_b32_e32 v10, 0x80
	s_and_saveexec_b32 s25, vcc_lo
	s_cbranch_execz .LBB6_11776
; %bb.11769:                            ;   in Loop: Header=BB6_11719 Depth=2
	v_mov_b32_e32 v10, 0
	s_mov_b32 s26, exec_lo
	v_cmpx_ne_u32_e32 0, v66
	s_cbranch_execz .LBB6_11775
; %bb.11770:                            ;   in Loop: Header=BB6_11719 Depth=2
	v_bfe_u32 v10, v66, 23, 8
	s_delay_alu instid0(VALU_DEP_1) | instskip(SKIP_1) | instid1(VALU_DEP_2)
	v_sub_nc_u32_e32 v83, 0x78, v10
	v_cmp_gt_u32_e32 vcc_lo, 0x79, v10
	v_dual_cndmask_b32 v83, 0, v83 :: v_dual_and_b32 v82, 0x7fffff, v66
	s_delay_alu instid0(VALU_DEP_1) | instskip(SKIP_2) | instid1(VALU_DEP_4)
	v_or_b32_e32 v100, 0x800000, v82
	v_cmp_eq_u32_e32 vcc_lo, 0, v10
	v_add_nc_u32_e32 v10, 0xffffff89, v10
	v_cndmask_b32_e64 v83, v83, 0x77, vcc_lo
	s_delay_alu instid0(VALU_DEP_4) | instskip(NEXT) | instid1(VALU_DEP_3)
	v_cndmask_b32_e32 v82, v100, v82, vcc_lo
	v_cndmask_b32_e64 v10, v10, 0xffffff8a, vcc_lo
	s_delay_alu instid0(VALU_DEP_3) | instskip(NEXT) | instid1(VALU_DEP_3)
	v_lshl_add_u32 v100, 0x100000, v83, -1
	v_lshrrev_b32_e32 v101, v83, v82
	v_lshlrev_b32_e64 v103, v83, 0x80000
	s_delay_alu instid0(VALU_DEP_4) | instskip(NEXT) | instid1(VALU_DEP_4)
	v_add_nc_u32_e32 v83, v83, v10
	v_and_b32_e32 v82, v100, v82
	s_delay_alu instid0(VALU_DEP_4) | instskip(NEXT) | instid1(VALU_DEP_2)
	v_bfe_u32 v102, v101, 20, 1
	v_cmp_eq_u32_e64 s11, v82, v103
	s_delay_alu instid0(VALU_DEP_2) | instskip(NEXT) | instid1(VALU_DEP_1)
	v_add_nc_u32_e32 v100, -1, v102
	v_cndmask_b32_e64 v82, 0, v100, s11
	v_lshrrev_b32_e32 v100, 23, v101
	s_mov_b32 s11, exec_lo
	s_delay_alu instid0(VALU_DEP_2) | instskip(NEXT) | instid1(VALU_DEP_2)
	v_add_nc_u32_e32 v82, v82, v101
	v_xor_b32_e32 v100, 1, v100
	s_delay_alu instid0(VALU_DEP_2) | instskip(NEXT) | instid1(VALU_DEP_1)
	v_and_b32_e32 v10, 0xfffff, v82
	v_add_nc_u32_e32 v82, v10, v101
                                        ; implicit-def: $vgpr10
	s_delay_alu instid0(VALU_DEP_3)
	v_cmpx_ne_u32_e64 v83, v100
	s_xor_b32 s11, exec_lo, s11
; %bb.11771:                            ;   in Loop: Header=BB6_11719 Depth=2
	s_delay_alu instid0(VALU_DEP_2) | instskip(SKIP_2) | instid1(VALU_DEP_2)
	v_cmp_lt_u32_e32 vcc_lo, 0xffffff, v82
	v_sub_nc_u32_e32 v10, v83, v100
	v_cndmask_b32_e64 v83, 0, 1, vcc_lo
	v_add_co_ci_u32_e32 v10, vcc_lo, 0, v10, vcc_lo
	s_delay_alu instid0(VALU_DEP_2)
	v_lshrrev_b32_e32 v82, v83, v82
; %bb.11772:                            ;   in Loop: Header=BB6_11719 Depth=2
	s_and_not1_saveexec_b32 s11, s11
; %bb.11773:                            ;   in Loop: Header=BB6_11719 Depth=2
	s_delay_alu instid0(VALU_DEP_1)
	v_bfe_u32 v10, v82, 23, 1
; %bb.11774:                            ;   in Loop: Header=BB6_11719 Depth=2
	s_or_b32 exec_lo, exec_lo, s11
	v_lshrrev_b32_e32 v82, 20, v82
	s_delay_alu instid0(VALU_DEP_2) | instskip(SKIP_2) | instid1(VALU_DEP_4)
	v_cmp_gt_i32_e32 vcc_lo, 16, v10
	v_lshrrev_b32_e32 v66, 24, v66
	v_min_i32_e32 v83, 15, v10
	v_cndmask_b32_e32 v82, 7, v82, vcc_lo
	s_delay_alu instid0(VALU_DEP_3) | instskip(NEXT) | instid1(VALU_DEP_3)
	v_and_b32_e32 v66, 0x80, v66
	v_lshlrev_b32_e32 v83, 3, v83
	s_delay_alu instid0(VALU_DEP_3) | instskip(SKIP_1) | instid1(VALU_DEP_2)
	v_and_b32_e32 v100, 7, v82
	v_or_b32_e32 v10, v10, v82
	v_or3_b32 v66, v83, v66, v100
	s_delay_alu instid0(VALU_DEP_2) | instskip(NEXT) | instid1(VALU_DEP_2)
	v_cmp_ne_u32_e32 vcc_lo, 0, v10
	v_cndmask_b32_e32 v10, 0, v66, vcc_lo
.LBB6_11775:                            ;   in Loop: Header=BB6_11719 Depth=2
	s_or_b32 exec_lo, exec_lo, s26
.LBB6_11776:                            ;   in Loop: Header=BB6_11719 Depth=2
	s_delay_alu instid0(SALU_CYCLE_1) | instskip(SKIP_3) | instid1(VALU_DEP_1)
	s_or_b32 exec_lo, exec_lo, s25
	v_and_b32_e32 v82, 0xff, v11
	s_mov_b32 s11, 0
	s_mov_b32 s26, exec_lo
                                        ; implicit-def: $sgpr25
	v_cmpx_lt_i16_e32 0x7f, v82
	s_xor_b32 s26, exec_lo, s26
	s_cbranch_execnz .LBB6_11934
; %bb.11777:                            ;   in Loop: Header=BB6_11719 Depth=2
	s_or_saveexec_b32 s26, s26
	v_mov_b32_e32 v66, s25
	s_xor_b32 exec_lo, exec_lo, s26
	s_cbranch_execnz .LBB6_11937
.LBB6_11778:                            ;   in Loop: Header=BB6_11719 Depth=2
	s_or_b32 exec_lo, exec_lo, s26
	s_and_saveexec_b32 s25, s11
	s_cbranch_execz .LBB6_11780
.LBB6_11779:                            ;   in Loop: Header=BB6_11719 Depth=2
	v_and_b32_e32 v66, 7, v11
	v_bfe_u32 v100, v11, 3, 4
	v_lshlrev_b32_e32 v101, 24, v11
	s_delay_alu instid0(VALU_DEP_3) | instskip(NEXT) | instid1(VALU_DEP_3)
	v_clz_i32_u32_e32 v82, v66
	v_cmp_eq_u32_e32 vcc_lo, 0, v100
	s_delay_alu instid0(VALU_DEP_2) | instskip(NEXT) | instid1(VALU_DEP_1)
	v_min_u32_e32 v82, 32, v82
	v_subrev_nc_u32_e32 v83, 28, v82
	v_sub_nc_u32_e32 v82, 29, v82
	s_delay_alu instid0(VALU_DEP_1) | instskip(NEXT) | instid1(VALU_DEP_1)
	v_dual_cndmask_b32 v82, v100, v82 :: v_dual_lshlrev_b32 v83, v83, v11
	v_and_b32_e32 v83, 7, v83
	s_delay_alu instid0(VALU_DEP_2) | instskip(NEXT) | instid1(VALU_DEP_2)
	v_lshl_add_u32 v82, v82, 23, 0x3b800000
	v_dual_cndmask_b32 v66, v66, v83 :: v_dual_and_b32 v83, 0x80000000, v101
	s_delay_alu instid0(VALU_DEP_1) | instskip(NEXT) | instid1(VALU_DEP_1)
	v_lshlrev_b32_e32 v66, 20, v66
	v_or3_b32 v66, v83, v82, v66
.LBB6_11780:                            ;   in Loop: Header=BB6_11719 Depth=2
	s_or_b32 exec_lo, exec_lo, s25
	s_delay_alu instid0(VALU_DEP_1) | instskip(SKIP_2) | instid1(VALU_DEP_2)
	v_mul_f32_e32 v66, s24, v66
	v_mov_b32_e32 v100, 0x80
	s_mov_b32 s25, exec_lo
	v_and_b32_e32 v82, 0x7f800000, v66
	s_delay_alu instid0(VALU_DEP_1)
	v_cmpx_ne_u32_e32 0x7f800000, v82
	s_cbranch_execz .LBB6_11788
; %bb.11781:                            ;   in Loop: Header=BB6_11719 Depth=2
	v_mov_b32_e32 v100, 0
	s_mov_b32 s26, exec_lo
	v_cmpx_ne_u32_e32 0, v66
	s_cbranch_execz .LBB6_11787
; %bb.11782:                            ;   in Loop: Header=BB6_11719 Depth=2
	v_bfe_u32 v82, v66, 23, 8
	s_delay_alu instid0(VALU_DEP_1) | instskip(SKIP_1) | instid1(VALU_DEP_2)
	v_sub_nc_u32_e32 v100, 0x78, v82
	v_cmp_gt_u32_e32 vcc_lo, 0x79, v82
	v_dual_cndmask_b32 v100, 0, v100 :: v_dual_and_b32 v83, 0x7fffff, v66
	s_delay_alu instid0(VALU_DEP_1) | instskip(SKIP_2) | instid1(VALU_DEP_4)
	v_or_b32_e32 v101, 0x800000, v83
	v_cmp_eq_u32_e32 vcc_lo, 0, v82
	v_add_nc_u32_e32 v82, 0xffffff89, v82
	v_cndmask_b32_e64 v100, v100, 0x77, vcc_lo
	s_delay_alu instid0(VALU_DEP_4) | instskip(NEXT) | instid1(VALU_DEP_3)
	v_cndmask_b32_e32 v83, v101, v83, vcc_lo
	v_cndmask_b32_e64 v82, v82, 0xffffff8a, vcc_lo
	s_delay_alu instid0(VALU_DEP_3) | instskip(NEXT) | instid1(VALU_DEP_3)
	v_lshl_add_u32 v101, 0x100000, v100, -1
	v_lshrrev_b32_e32 v102, v100, v83
	v_lshlrev_b32_e64 v112, v100, 0x80000
	s_delay_alu instid0(VALU_DEP_4) | instskip(NEXT) | instid1(VALU_DEP_4)
	v_add_nc_u32_e32 v100, v100, v82
	v_and_b32_e32 v83, v101, v83
	s_delay_alu instid0(VALU_DEP_4) | instskip(NEXT) | instid1(VALU_DEP_2)
	v_bfe_u32 v103, v102, 20, 1
	v_cmp_eq_u32_e64 s11, v83, v112
	s_delay_alu instid0(VALU_DEP_2) | instskip(NEXT) | instid1(VALU_DEP_1)
	v_add_nc_u32_e32 v101, -1, v103
	v_cndmask_b32_e64 v83, 0, v101, s11
	v_lshrrev_b32_e32 v101, 23, v102
	s_mov_b32 s11, exec_lo
	s_delay_alu instid0(VALU_DEP_2) | instskip(NEXT) | instid1(VALU_DEP_2)
	v_add_nc_u32_e32 v83, v83, v102
	v_xor_b32_e32 v101, 1, v101
	s_delay_alu instid0(VALU_DEP_2) | instskip(NEXT) | instid1(VALU_DEP_1)
	v_and_b32_e32 v82, 0xfffff, v83
	v_add_nc_u32_e32 v83, v82, v102
                                        ; implicit-def: $vgpr82
	s_delay_alu instid0(VALU_DEP_3)
	v_cmpx_ne_u32_e64 v100, v101
	s_xor_b32 s11, exec_lo, s11
; %bb.11783:                            ;   in Loop: Header=BB6_11719 Depth=2
	s_delay_alu instid0(VALU_DEP_2) | instskip(SKIP_2) | instid1(VALU_DEP_2)
	v_cmp_lt_u32_e32 vcc_lo, 0xffffff, v83
	v_sub_nc_u32_e32 v82, v100, v101
	v_cndmask_b32_e64 v100, 0, 1, vcc_lo
	v_add_co_ci_u32_e32 v82, vcc_lo, 0, v82, vcc_lo
	s_delay_alu instid0(VALU_DEP_2)
	v_lshrrev_b32_e32 v83, v100, v83
; %bb.11784:                            ;   in Loop: Header=BB6_11719 Depth=2
	s_and_not1_saveexec_b32 s11, s11
; %bb.11785:                            ;   in Loop: Header=BB6_11719 Depth=2
	s_delay_alu instid0(VALU_DEP_1)
	v_bfe_u32 v82, v83, 23, 1
; %bb.11786:                            ;   in Loop: Header=BB6_11719 Depth=2
	s_or_b32 exec_lo, exec_lo, s11
	v_lshrrev_b32_e32 v83, 20, v83
	s_delay_alu instid0(VALU_DEP_2) | instskip(SKIP_2) | instid1(VALU_DEP_2)
	v_cmp_gt_i32_e32 vcc_lo, 16, v82
	v_min_i32_e32 v100, 15, v82
	v_lshrrev_b32_e32 v66, 24, v66
	v_dual_cndmask_b32 v83, 7, v83 :: v_dual_lshlrev_b32 v100, 3, v100
	s_delay_alu instid0(VALU_DEP_2) | instskip(NEXT) | instid1(VALU_DEP_2)
	v_and_b32_e32 v66, 0x80, v66
	v_or_b32_e32 v82, v82, v83
	s_delay_alu instid0(VALU_DEP_3) | instskip(NEXT) | instid1(VALU_DEP_2)
	v_and_b32_e32 v100, 0xf8, v100
	v_cmp_ne_u32_e32 vcc_lo, 0, v82
	v_and_b32_e32 v101, 7, v83
	s_delay_alu instid0(VALU_DEP_1) | instskip(NEXT) | instid1(VALU_DEP_1)
	v_or3_b32 v66, v100, v66, v101
	v_cndmask_b32_e32 v100, 0, v66, vcc_lo
.LBB6_11787:                            ;   in Loop: Header=BB6_11719 Depth=2
	s_or_b32 exec_lo, exec_lo, s26
.LBB6_11788:                            ;   in Loop: Header=BB6_11719 Depth=2
	s_delay_alu instid0(SALU_CYCLE_1) | instskip(SKIP_3) | instid1(VALU_DEP_1)
	s_or_b32 exec_lo, exec_lo, s25
	v_lshrrev_b16 v66, 8, v11
	s_mov_b32 s11, 0
	s_mov_b32 s26, exec_lo
                                        ; implicit-def: $sgpr25
	v_cmpx_lt_i16_e32 0x7f, v66
	s_xor_b32 s26, exec_lo, s26
	s_cbranch_execnz .LBB6_11938
; %bb.11789:                            ;   in Loop: Header=BB6_11719 Depth=2
	s_or_saveexec_b32 s26, s26
	v_mov_b32_e32 v82, s25
	s_xor_b32 exec_lo, exec_lo, s26
	s_cbranch_execnz .LBB6_11941
.LBB6_11790:                            ;   in Loop: Header=BB6_11719 Depth=2
	s_or_b32 exec_lo, exec_lo, s26
	s_and_saveexec_b32 s25, s11
	s_cbranch_execz .LBB6_11792
.LBB6_11791:                            ;   in Loop: Header=BB6_11719 Depth=2
	v_and_b32_e32 v82, 0xffff, v66
	v_lshlrev_b32_e32 v66, 24, v66
	s_delay_alu instid0(VALU_DEP_2) | instskip(NEXT) | instid1(VALU_DEP_2)
	v_and_b32_e32 v83, 7, v82
	v_and_b32_e32 v66, 0x80000000, v66
	s_delay_alu instid0(VALU_DEP_2) | instskip(NEXT) | instid1(VALU_DEP_1)
	v_clz_i32_u32_e32 v101, v83
	v_min_u32_e32 v101, 32, v101
	s_delay_alu instid0(VALU_DEP_1) | instskip(SKIP_1) | instid1(VALU_DEP_2)
	v_subrev_nc_u32_e32 v102, 28, v101
	v_sub_nc_u32_e32 v101, 29, v101
	v_lshlrev_b32_e32 v102, v102, v82
	v_bfe_u32 v82, v82, 3, 4
	s_delay_alu instid0(VALU_DEP_2) | instskip(NEXT) | instid1(VALU_DEP_2)
	v_and_b32_e32 v102, 7, v102
	v_cmp_eq_u32_e32 vcc_lo, 0, v82
	s_delay_alu instid0(VALU_DEP_2) | instskip(NEXT) | instid1(VALU_DEP_1)
	v_dual_cndmask_b32 v82, v82, v101 :: v_dual_cndmask_b32 v83, v83, v102
	v_lshl_add_u32 v82, v82, 23, 0x3b800000
	s_delay_alu instid0(VALU_DEP_2) | instskip(NEXT) | instid1(VALU_DEP_1)
	v_lshlrev_b32_e32 v83, 20, v83
	v_or3_b32 v82, v66, v82, v83
.LBB6_11792:                            ;   in Loop: Header=BB6_11719 Depth=2
	s_or_b32 exec_lo, exec_lo, s25
	s_delay_alu instid0(VALU_DEP_1) | instskip(SKIP_1) | instid1(VALU_DEP_1)
	v_dual_mul_f32 v66, s24, v82 :: v_dual_mov_b32 v101, 0x8000
	s_mov_b32 s25, exec_lo
	v_and_b32_e32 v82, 0x7f800000, v66
	s_delay_alu instid0(VALU_DEP_1)
	v_cmpx_ne_u32_e32 0x7f800000, v82
	s_cbranch_execz .LBB6_11800
; %bb.11793:                            ;   in Loop: Header=BB6_11719 Depth=2
	v_mov_b32_e32 v101, 0
	s_mov_b32 s26, exec_lo
	v_cmpx_ne_u32_e32 0, v66
	s_cbranch_execz .LBB6_11799
; %bb.11794:                            ;   in Loop: Header=BB6_11719 Depth=2
	v_bfe_u32 v82, v66, 23, 8
	v_and_b32_e32 v83, 0x7fffff, v66
	s_delay_alu instid0(VALU_DEP_2) | instskip(SKIP_1) | instid1(VALU_DEP_3)
	v_sub_nc_u32_e32 v101, 0x78, v82
	v_cmp_gt_u32_e32 vcc_lo, 0x79, v82
	v_or_b32_e32 v102, 0x800000, v83
	s_delay_alu instid0(VALU_DEP_3) | instskip(SKIP_2) | instid1(VALU_DEP_3)
	v_cndmask_b32_e32 v101, 0, v101, vcc_lo
	v_cmp_eq_u32_e32 vcc_lo, 0, v82
	v_add_nc_u32_e32 v82, 0xffffff89, v82
	v_cndmask_b32_e64 v101, v101, 0x77, vcc_lo
	v_cndmask_b32_e32 v83, v102, v83, vcc_lo
	s_delay_alu instid0(VALU_DEP_3) | instskip(NEXT) | instid1(VALU_DEP_3)
	v_cndmask_b32_e64 v82, v82, 0xffffff8a, vcc_lo
	v_lshl_add_u32 v102, 0x100000, v101, -1
	s_delay_alu instid0(VALU_DEP_3) | instskip(SKIP_1) | instid1(VALU_DEP_4)
	v_lshrrev_b32_e32 v103, v101, v83
	v_lshlrev_b32_e64 v113, v101, 0x80000
	v_add_nc_u32_e32 v101, v101, v82
	s_delay_alu instid0(VALU_DEP_4) | instskip(NEXT) | instid1(VALU_DEP_4)
	v_and_b32_e32 v83, v102, v83
	v_bfe_u32 v112, v103, 20, 1
	s_delay_alu instid0(VALU_DEP_2) | instskip(NEXT) | instid1(VALU_DEP_2)
	v_cmp_eq_u32_e64 s11, v83, v113
	v_add_nc_u32_e32 v102, -1, v112
	s_delay_alu instid0(VALU_DEP_1) | instskip(SKIP_2) | instid1(VALU_DEP_2)
	v_cndmask_b32_e64 v83, 0, v102, s11
	v_lshrrev_b32_e32 v102, 23, v103
	s_mov_b32 s11, exec_lo
	v_add_nc_u32_e32 v83, v83, v103
	s_delay_alu instid0(VALU_DEP_2) | instskip(NEXT) | instid1(VALU_DEP_2)
	v_xor_b32_e32 v102, 1, v102
	v_and_b32_e32 v82, 0xfffff, v83
	s_delay_alu instid0(VALU_DEP_1) | instskip(NEXT) | instid1(VALU_DEP_3)
	v_add_nc_u32_e32 v83, v82, v103
                                        ; implicit-def: $vgpr82
	v_cmpx_ne_u32_e64 v101, v102
	s_xor_b32 s11, exec_lo, s11
; %bb.11795:                            ;   in Loop: Header=BB6_11719 Depth=2
	s_delay_alu instid0(VALU_DEP_2) | instskip(SKIP_2) | instid1(VALU_DEP_2)
	v_cmp_lt_u32_e32 vcc_lo, 0xffffff, v83
	v_sub_nc_u32_e32 v82, v101, v102
	v_cndmask_b32_e64 v101, 0, 1, vcc_lo
	v_add_co_ci_u32_e32 v82, vcc_lo, 0, v82, vcc_lo
	s_delay_alu instid0(VALU_DEP_2)
	v_lshrrev_b32_e32 v83, v101, v83
; %bb.11796:                            ;   in Loop: Header=BB6_11719 Depth=2
	s_and_not1_saveexec_b32 s11, s11
; %bb.11797:                            ;   in Loop: Header=BB6_11719 Depth=2
	s_delay_alu instid0(VALU_DEP_1)
	v_bfe_u32 v82, v83, 23, 1
; %bb.11798:                            ;   in Loop: Header=BB6_11719 Depth=2
	s_or_b32 exec_lo, exec_lo, s11
	v_lshrrev_b32_e32 v83, 20, v83
	s_delay_alu instid0(VALU_DEP_2) | instskip(SKIP_2) | instid1(VALU_DEP_4)
	v_cmp_gt_i32_e32 vcc_lo, 16, v82
	v_min_i32_e32 v101, 15, v82
	v_lshrrev_b32_e32 v66, 24, v66
	v_cndmask_b32_e32 v83, 7, v83, vcc_lo
	s_delay_alu instid0(VALU_DEP_3) | instskip(NEXT) | instid1(VALU_DEP_3)
	v_lshlrev_b32_e32 v101, 3, v101
	v_and_b32_e32 v66, 0x80, v66
	s_delay_alu instid0(VALU_DEP_3) | instskip(NEXT) | instid1(VALU_DEP_3)
	v_or_b32_e32 v82, v82, v83
	v_and_b32_e32 v101, 0xf8, v101
	s_delay_alu instid0(VALU_DEP_2) | instskip(SKIP_1) | instid1(VALU_DEP_1)
	v_cmp_ne_u32_e32 vcc_lo, 0, v82
	v_and_b32_e32 v102, 7, v83
	v_or3_b32 v66, v66, v101, v102
	s_delay_alu instid0(VALU_DEP_1) | instskip(NEXT) | instid1(VALU_DEP_1)
	v_lshlrev_b32_e32 v66, 8, v66
	v_cndmask_b32_e32 v101, 0, v66, vcc_lo
.LBB6_11799:                            ;   in Loop: Header=BB6_11719 Depth=2
	s_or_b32 exec_lo, exec_lo, s26
.LBB6_11800:                            ;   in Loop: Header=BB6_11719 Depth=2
	s_delay_alu instid0(SALU_CYCLE_1) | instskip(SKIP_3) | instid1(VALU_DEP_1)
	s_or_b32 exec_lo, exec_lo, s25
	v_lshrrev_b32_e32 v66, 16, v11
	s_mov_b32 s11, 0
	s_mov_b32 s26, exec_lo
                                        ; implicit-def: $sgpr25
	v_and_b32_e32 v83, 0xff, v66
	s_delay_alu instid0(VALU_DEP_1)
	v_cmpx_lt_i16_e32 0x7f, v83
	s_xor_b32 s26, exec_lo, s26
	s_cbranch_execnz .LBB6_11942
; %bb.11801:                            ;   in Loop: Header=BB6_11719 Depth=2
	s_or_saveexec_b32 s26, s26
	v_mov_b32_e32 v82, s25
	s_xor_b32 exec_lo, exec_lo, s26
	s_cbranch_execnz .LBB6_11945
.LBB6_11802:                            ;   in Loop: Header=BB6_11719 Depth=2
	s_or_b32 exec_lo, exec_lo, s26
	s_and_saveexec_b32 s25, s11
	s_cbranch_execz .LBB6_11804
.LBB6_11803:                            ;   in Loop: Header=BB6_11719 Depth=2
	v_bfe_u32 v82, v11, 16, 3
	s_delay_alu instid0(VALU_DEP_1) | instskip(NEXT) | instid1(VALU_DEP_1)
	v_clz_i32_u32_e32 v83, v82
	v_min_u32_e32 v83, 32, v83
	s_delay_alu instid0(VALU_DEP_1) | instskip(SKIP_1) | instid1(VALU_DEP_2)
	v_subrev_nc_u32_e32 v102, 28, v83
	v_sub_nc_u32_e32 v83, 29, v83
	v_lshlrev_b32_e32 v66, v102, v66
	v_bfe_u32 v102, v11, 19, 4
	s_delay_alu instid0(VALU_DEP_1) | instskip(NEXT) | instid1(VALU_DEP_3)
	v_cmp_eq_u32_e32 vcc_lo, 0, v102
	v_dual_cndmask_b32 v83, v102, v83 :: v_dual_and_b32 v66, 7, v66
	s_delay_alu instid0(VALU_DEP_1) | instskip(NEXT) | instid1(VALU_DEP_2)
	v_dual_cndmask_b32 v66, v82, v66 :: v_dual_lshlrev_b32 v103, 8, v11
	v_lshl_add_u32 v83, v83, 23, 0x3b800000
	s_delay_alu instid0(VALU_DEP_2) | instskip(NEXT) | instid1(VALU_DEP_3)
	v_and_b32_e32 v82, 0x80000000, v103
	v_lshlrev_b32_e32 v66, 20, v66
	s_delay_alu instid0(VALU_DEP_1)
	v_or3_b32 v82, v82, v83, v66
.LBB6_11804:                            ;   in Loop: Header=BB6_11719 Depth=2
	s_or_b32 exec_lo, exec_lo, s25
	s_delay_alu instid0(VALU_DEP_1) | instskip(SKIP_2) | instid1(VALU_DEP_2)
	v_mul_f32_e32 v66, s24, v82
	v_mov_b32_e32 v102, 0x80
	s_mov_b32 s25, exec_lo
	v_and_b32_e32 v82, 0x7f800000, v66
	s_delay_alu instid0(VALU_DEP_1)
	v_cmpx_ne_u32_e32 0x7f800000, v82
	s_cbranch_execz .LBB6_11812
; %bb.11805:                            ;   in Loop: Header=BB6_11719 Depth=2
	v_mov_b32_e32 v102, 0
	s_mov_b32 s26, exec_lo
	v_cmpx_ne_u32_e32 0, v66
	s_cbranch_execz .LBB6_11811
; %bb.11806:                            ;   in Loop: Header=BB6_11719 Depth=2
	v_bfe_u32 v82, v66, 23, 8
	v_and_b32_e32 v83, 0x7fffff, v66
	s_delay_alu instid0(VALU_DEP_2) | instskip(SKIP_1) | instid1(VALU_DEP_3)
	v_sub_nc_u32_e32 v102, 0x78, v82
	v_cmp_gt_u32_e32 vcc_lo, 0x79, v82
	v_or_b32_e32 v103, 0x800000, v83
	s_delay_alu instid0(VALU_DEP_3) | instskip(SKIP_1) | instid1(VALU_DEP_3)
	v_cndmask_b32_e32 v102, 0, v102, vcc_lo
	v_cmp_eq_u32_e32 vcc_lo, 0, v82
	v_dual_cndmask_b32 v83, v103, v83 :: v_dual_add_nc_u32 v82, 0xffffff89, v82
	s_delay_alu instid0(VALU_DEP_3) | instskip(NEXT) | instid1(VALU_DEP_2)
	v_cndmask_b32_e64 v102, v102, 0x77, vcc_lo
	v_cndmask_b32_e64 v82, v82, 0xffffff8a, vcc_lo
	s_delay_alu instid0(VALU_DEP_2) | instskip(SKIP_2) | instid1(VALU_DEP_4)
	v_lshrrev_b32_e32 v112, v102, v83
	v_lshl_add_u32 v103, 0x100000, v102, -1
	v_lshlrev_b32_e64 v114, v102, 0x80000
	v_add_nc_u32_e32 v102, v102, v82
	s_delay_alu instid0(VALU_DEP_4) | instskip(NEXT) | instid1(VALU_DEP_4)
	v_bfe_u32 v113, v112, 20, 1
	v_and_b32_e32 v83, v103, v83
	s_delay_alu instid0(VALU_DEP_2) | instskip(NEXT) | instid1(VALU_DEP_2)
	v_add_nc_u32_e32 v103, -1, v113
	v_cmp_eq_u32_e64 s11, v83, v114
	s_delay_alu instid0(VALU_DEP_1) | instskip(SKIP_2) | instid1(VALU_DEP_2)
	v_cndmask_b32_e64 v83, 0, v103, s11
	v_lshrrev_b32_e32 v103, 23, v112
	s_mov_b32 s11, exec_lo
	v_add_nc_u32_e32 v83, v83, v112
	s_delay_alu instid0(VALU_DEP_2) | instskip(NEXT) | instid1(VALU_DEP_2)
	v_xor_b32_e32 v103, 1, v103
	v_and_b32_e32 v82, 0xfffff, v83
	s_delay_alu instid0(VALU_DEP_1) | instskip(NEXT) | instid1(VALU_DEP_3)
	v_add_nc_u32_e32 v83, v82, v112
                                        ; implicit-def: $vgpr82
	v_cmpx_ne_u32_e64 v102, v103
	s_xor_b32 s11, exec_lo, s11
; %bb.11807:                            ;   in Loop: Header=BB6_11719 Depth=2
	s_delay_alu instid0(VALU_DEP_2) | instskip(SKIP_2) | instid1(VALU_DEP_2)
	v_cmp_lt_u32_e32 vcc_lo, 0xffffff, v83
	v_sub_nc_u32_e32 v82, v102, v103
	v_cndmask_b32_e64 v102, 0, 1, vcc_lo
	v_add_co_ci_u32_e32 v82, vcc_lo, 0, v82, vcc_lo
	s_delay_alu instid0(VALU_DEP_2)
	v_lshrrev_b32_e32 v83, v102, v83
; %bb.11808:                            ;   in Loop: Header=BB6_11719 Depth=2
	s_and_not1_saveexec_b32 s11, s11
; %bb.11809:                            ;   in Loop: Header=BB6_11719 Depth=2
	s_delay_alu instid0(VALU_DEP_1)
	v_bfe_u32 v82, v83, 23, 1
; %bb.11810:                            ;   in Loop: Header=BB6_11719 Depth=2
	s_or_b32 exec_lo, exec_lo, s11
	v_lshrrev_b32_e32 v83, 20, v83
	s_delay_alu instid0(VALU_DEP_2) | instskip(SKIP_2) | instid1(VALU_DEP_2)
	v_cmp_gt_i32_e32 vcc_lo, 16, v82
	v_min_i32_e32 v102, 15, v82
	v_lshrrev_b32_e32 v66, 24, v66
	v_dual_cndmask_b32 v83, 7, v83 :: v_dual_lshlrev_b32 v102, 3, v102
	s_delay_alu instid0(VALU_DEP_2) | instskip(NEXT) | instid1(VALU_DEP_2)
	v_and_b32_e32 v66, 0x80, v66
	v_or_b32_e32 v82, v82, v83
	s_delay_alu instid0(VALU_DEP_3) | instskip(NEXT) | instid1(VALU_DEP_2)
	v_and_b32_e32 v102, 0xf8, v102
	v_cmp_ne_u32_e32 vcc_lo, 0, v82
	v_and_b32_e32 v103, 7, v83
	s_delay_alu instid0(VALU_DEP_1) | instskip(NEXT) | instid1(VALU_DEP_1)
	v_or3_b32 v66, v102, v66, v103
	v_cndmask_b32_e32 v102, 0, v66, vcc_lo
.LBB6_11811:                            ;   in Loop: Header=BB6_11719 Depth=2
	s_or_b32 exec_lo, exec_lo, s26
.LBB6_11812:                            ;   in Loop: Header=BB6_11719 Depth=2
	s_delay_alu instid0(SALU_CYCLE_1) | instskip(SKIP_3) | instid1(VALU_DEP_1)
	s_or_b32 exec_lo, exec_lo, s25
	v_lshrrev_b32_e32 v66, 24, v11
	s_mov_b32 s11, 0
	s_mov_b32 s26, exec_lo
                                        ; implicit-def: $sgpr25
	v_cmpx_lt_i16_e32 0x7f, v66
	s_xor_b32 s26, exec_lo, s26
	s_cbranch_execnz .LBB6_11946
; %bb.11813:                            ;   in Loop: Header=BB6_11719 Depth=2
	s_or_saveexec_b32 s26, s26
	v_mov_b32_e32 v82, s25
	s_xor_b32 exec_lo, exec_lo, s26
	s_cbranch_execnz .LBB6_11949
.LBB6_11814:                            ;   in Loop: Header=BB6_11719 Depth=2
	s_or_b32 exec_lo, exec_lo, s26
	s_and_saveexec_b32 s25, s11
	s_cbranch_execz .LBB6_11816
.LBB6_11815:                            ;   in Loop: Header=BB6_11719 Depth=2
	v_bfe_u32 v82, v11, 24, 3
	s_delay_alu instid0(VALU_DEP_1) | instskip(NEXT) | instid1(VALU_DEP_1)
	v_clz_i32_u32_e32 v83, v82
	v_min_u32_e32 v83, 32, v83
	s_delay_alu instid0(VALU_DEP_1) | instskip(SKIP_1) | instid1(VALU_DEP_2)
	v_subrev_nc_u32_e32 v103, 28, v83
	v_sub_nc_u32_e32 v83, 29, v83
	v_lshlrev_b32_e32 v66, v103, v66
	v_bfe_u32 v103, v11, 27, 4
	v_and_b32_e32 v11, 0x80000000, v11
	s_delay_alu instid0(VALU_DEP_2) | instskip(NEXT) | instid1(VALU_DEP_4)
	v_cmp_eq_u32_e32 vcc_lo, 0, v103
	v_dual_cndmask_b32 v83, v103, v83 :: v_dual_and_b32 v66, 7, v66
	s_delay_alu instid0(VALU_DEP_1) | instskip(NEXT) | instid1(VALU_DEP_2)
	v_cndmask_b32_e32 v66, v82, v66, vcc_lo
	v_lshl_add_u32 v82, v83, 23, 0x3b800000
	s_delay_alu instid0(VALU_DEP_2) | instskip(NEXT) | instid1(VALU_DEP_1)
	v_lshlrev_b32_e32 v66, 20, v66
	v_or3_b32 v82, v11, v82, v66
.LBB6_11816:                            ;   in Loop: Header=BB6_11719 Depth=2
	s_or_b32 exec_lo, exec_lo, s25
	s_delay_alu instid0(VALU_DEP_1) | instskip(NEXT) | instid1(VALU_DEP_1)
	v_mul_f32_e32 v66, s24, v82
	v_and_b32_e32 v11, 0x7f800000, v66
	s_delay_alu instid0(VALU_DEP_1)
	v_cmp_ne_u32_e32 vcc_lo, 0x7f800000, v11
	v_mov_b32_e32 v11, 0x8000
	s_and_saveexec_b32 s25, vcc_lo
	s_cbranch_execz .LBB6_11824
; %bb.11817:                            ;   in Loop: Header=BB6_11719 Depth=2
	v_mov_b32_e32 v11, 0
	s_mov_b32 s26, exec_lo
	v_cmpx_ne_u32_e32 0, v66
	s_cbranch_execz .LBB6_11823
; %bb.11818:                            ;   in Loop: Header=BB6_11719 Depth=2
	v_bfe_u32 v11, v66, 23, 8
	s_delay_alu instid0(VALU_DEP_1) | instskip(SKIP_1) | instid1(VALU_DEP_2)
	v_sub_nc_u32_e32 v83, 0x78, v11
	v_cmp_gt_u32_e32 vcc_lo, 0x79, v11
	v_dual_cndmask_b32 v83, 0, v83 :: v_dual_and_b32 v82, 0x7fffff, v66
	s_delay_alu instid0(VALU_DEP_1) | instskip(SKIP_2) | instid1(VALU_DEP_4)
	v_or_b32_e32 v103, 0x800000, v82
	v_cmp_eq_u32_e32 vcc_lo, 0, v11
	v_add_nc_u32_e32 v11, 0xffffff89, v11
	v_cndmask_b32_e64 v83, v83, 0x77, vcc_lo
	s_delay_alu instid0(VALU_DEP_4) | instskip(NEXT) | instid1(VALU_DEP_3)
	v_cndmask_b32_e32 v82, v103, v82, vcc_lo
	v_cndmask_b32_e64 v11, v11, 0xffffff8a, vcc_lo
	s_delay_alu instid0(VALU_DEP_3) | instskip(NEXT) | instid1(VALU_DEP_3)
	v_lshl_add_u32 v103, 0x100000, v83, -1
	v_lshrrev_b32_e32 v112, v83, v82
	v_lshlrev_b32_e64 v114, v83, 0x80000
	s_delay_alu instid0(VALU_DEP_4) | instskip(NEXT) | instid1(VALU_DEP_4)
	v_add_nc_u32_e32 v83, v83, v11
	v_and_b32_e32 v82, v103, v82
	s_delay_alu instid0(VALU_DEP_4) | instskip(NEXT) | instid1(VALU_DEP_2)
	v_bfe_u32 v113, v112, 20, 1
	v_cmp_eq_u32_e64 s11, v82, v114
	s_delay_alu instid0(VALU_DEP_2) | instskip(NEXT) | instid1(VALU_DEP_1)
	v_add_nc_u32_e32 v103, -1, v113
	v_cndmask_b32_e64 v82, 0, v103, s11
	v_lshrrev_b32_e32 v103, 23, v112
	s_mov_b32 s11, exec_lo
	s_delay_alu instid0(VALU_DEP_2) | instskip(NEXT) | instid1(VALU_DEP_2)
	v_add_nc_u32_e32 v82, v82, v112
	v_xor_b32_e32 v103, 1, v103
	s_delay_alu instid0(VALU_DEP_2) | instskip(NEXT) | instid1(VALU_DEP_1)
	v_and_b32_e32 v11, 0xfffff, v82
	v_add_nc_u32_e32 v82, v11, v112
                                        ; implicit-def: $vgpr11
	s_delay_alu instid0(VALU_DEP_3)
	v_cmpx_ne_u32_e64 v83, v103
	s_xor_b32 s11, exec_lo, s11
; %bb.11819:                            ;   in Loop: Header=BB6_11719 Depth=2
	s_delay_alu instid0(VALU_DEP_2) | instskip(SKIP_2) | instid1(VALU_DEP_2)
	v_cmp_lt_u32_e32 vcc_lo, 0xffffff, v82
	v_sub_nc_u32_e32 v11, v83, v103
	v_cndmask_b32_e64 v83, 0, 1, vcc_lo
	v_add_co_ci_u32_e32 v11, vcc_lo, 0, v11, vcc_lo
	s_delay_alu instid0(VALU_DEP_2)
	v_lshrrev_b32_e32 v82, v83, v82
; %bb.11820:                            ;   in Loop: Header=BB6_11719 Depth=2
	s_and_not1_saveexec_b32 s11, s11
; %bb.11821:                            ;   in Loop: Header=BB6_11719 Depth=2
	s_delay_alu instid0(VALU_DEP_1)
	v_bfe_u32 v11, v82, 23, 1
; %bb.11822:                            ;   in Loop: Header=BB6_11719 Depth=2
	s_or_b32 exec_lo, exec_lo, s11
	v_lshrrev_b32_e32 v82, 20, v82
	s_delay_alu instid0(VALU_DEP_2) | instskip(SKIP_2) | instid1(VALU_DEP_3)
	v_min_i32_e32 v83, 15, v11
	v_cmp_gt_i32_e32 vcc_lo, 16, v11
	v_lshrrev_b32_e32 v66, 24, v66
	v_dual_cndmask_b32 v82, 7, v82 :: v_dual_lshlrev_b32 v83, 3, v83
	s_delay_alu instid0(VALU_DEP_2) | instskip(NEXT) | instid1(VALU_DEP_2)
	v_and_b32_e32 v66, 0x80, v66
	v_and_b32_e32 v83, 0xf8, v83
	s_delay_alu instid0(VALU_DEP_3) | instskip(SKIP_1) | instid1(VALU_DEP_2)
	v_and_b32_e32 v103, 7, v82
	v_or_b32_e32 v11, v11, v82
	v_or3_b32 v66, v66, v83, v103
	s_delay_alu instid0(VALU_DEP_2) | instskip(NEXT) | instid1(VALU_DEP_2)
	v_cmp_ne_u32_e32 vcc_lo, 0, v11
	v_lshlrev_b32_e32 v66, 8, v66
	s_delay_alu instid0(VALU_DEP_1)
	v_cndmask_b32_e32 v11, 0, v66, vcc_lo
.LBB6_11823:                            ;   in Loop: Header=BB6_11719 Depth=2
	s_or_b32 exec_lo, exec_lo, s26
.LBB6_11824:                            ;   in Loop: Header=BB6_11719 Depth=2
	s_delay_alu instid0(SALU_CYCLE_1) | instskip(SKIP_3) | instid1(VALU_DEP_1)
	s_or_b32 exec_lo, exec_lo, s25
	v_and_b32_e32 v82, 0xff, v12
	s_mov_b32 s11, 0
	s_mov_b32 s26, exec_lo
                                        ; implicit-def: $sgpr25
	v_cmpx_lt_i16_e32 0x7f, v82
	s_xor_b32 s26, exec_lo, s26
	s_cbranch_execnz .LBB6_11950
; %bb.11825:                            ;   in Loop: Header=BB6_11719 Depth=2
	s_or_saveexec_b32 s26, s26
	v_mov_b32_e32 v66, s25
	s_xor_b32 exec_lo, exec_lo, s26
	s_cbranch_execnz .LBB6_11953
.LBB6_11826:                            ;   in Loop: Header=BB6_11719 Depth=2
	s_or_b32 exec_lo, exec_lo, s26
	s_and_saveexec_b32 s25, s11
	s_cbranch_execz .LBB6_11828
.LBB6_11827:                            ;   in Loop: Header=BB6_11719 Depth=2
	v_and_b32_e32 v66, 7, v12
	v_bfe_u32 v103, v12, 3, 4
	v_lshlrev_b32_e32 v112, 24, v12
	s_delay_alu instid0(VALU_DEP_3) | instskip(NEXT) | instid1(VALU_DEP_3)
	v_clz_i32_u32_e32 v82, v66
	v_cmp_eq_u32_e32 vcc_lo, 0, v103
	s_delay_alu instid0(VALU_DEP_2) | instskip(NEXT) | instid1(VALU_DEP_1)
	v_min_u32_e32 v82, 32, v82
	v_subrev_nc_u32_e32 v83, 28, v82
	v_sub_nc_u32_e32 v82, 29, v82
	s_delay_alu instid0(VALU_DEP_2) | instskip(NEXT) | instid1(VALU_DEP_1)
	v_lshlrev_b32_e32 v83, v83, v12
	v_dual_cndmask_b32 v82, v103, v82 :: v_dual_and_b32 v83, 7, v83
	s_delay_alu instid0(VALU_DEP_1) | instskip(NEXT) | instid1(VALU_DEP_2)
	v_lshl_add_u32 v82, v82, 23, 0x3b800000
	v_dual_cndmask_b32 v66, v66, v83 :: v_dual_and_b32 v83, 0x80000000, v112
	s_delay_alu instid0(VALU_DEP_1) | instskip(NEXT) | instid1(VALU_DEP_1)
	v_lshlrev_b32_e32 v66, 20, v66
	v_or3_b32 v66, v83, v82, v66
.LBB6_11828:                            ;   in Loop: Header=BB6_11719 Depth=2
	s_or_b32 exec_lo, exec_lo, s25
	s_delay_alu instid0(VALU_DEP_1) | instskip(NEXT) | instid1(VALU_DEP_1)
	v_mul_f32_e32 v82, s24, v66
	v_and_b32_e32 v66, 0x7f800000, v82
	s_delay_alu instid0(VALU_DEP_1)
	v_cmp_ne_u32_e32 vcc_lo, 0x7f800000, v66
	v_mov_b32_e32 v66, 0x80
	s_and_saveexec_b32 s25, vcc_lo
	s_cbranch_execz .LBB6_11836
; %bb.11829:                            ;   in Loop: Header=BB6_11719 Depth=2
	v_mov_b32_e32 v66, 0
	s_mov_b32 s26, exec_lo
	v_cmpx_ne_u32_e32 0, v82
	s_cbranch_execz .LBB6_11835
; %bb.11830:                            ;   in Loop: Header=BB6_11719 Depth=2
	v_bfe_u32 v66, v82, 23, 8
	v_and_b32_e32 v83, 0x7fffff, v82
	s_delay_alu instid0(VALU_DEP_2) | instskip(SKIP_1) | instid1(VALU_DEP_3)
	v_sub_nc_u32_e32 v103, 0x78, v66
	v_cmp_gt_u32_e32 vcc_lo, 0x79, v66
	v_or_b32_e32 v112, 0x800000, v83
	s_delay_alu instid0(VALU_DEP_3) | instskip(SKIP_2) | instid1(VALU_DEP_3)
	v_cndmask_b32_e32 v103, 0, v103, vcc_lo
	v_cmp_eq_u32_e32 vcc_lo, 0, v66
	v_add_nc_u32_e32 v66, 0xffffff89, v66
	v_cndmask_b32_e64 v103, v103, 0x77, vcc_lo
	v_cndmask_b32_e32 v83, v112, v83, vcc_lo
	s_delay_alu instid0(VALU_DEP_3) | instskip(NEXT) | instid1(VALU_DEP_3)
	v_cndmask_b32_e64 v66, v66, 0xffffff8a, vcc_lo
	v_lshl_add_u32 v112, 0x100000, v103, -1
	s_delay_alu instid0(VALU_DEP_3) | instskip(SKIP_1) | instid1(VALU_DEP_4)
	v_lshrrev_b32_e32 v113, v103, v83
	v_lshlrev_b32_e64 v115, v103, 0x80000
	v_add_nc_u32_e32 v103, v103, v66
	s_delay_alu instid0(VALU_DEP_4) | instskip(NEXT) | instid1(VALU_DEP_4)
	v_and_b32_e32 v83, v112, v83
	v_bfe_u32 v114, v113, 20, 1
	s_delay_alu instid0(VALU_DEP_2) | instskip(NEXT) | instid1(VALU_DEP_2)
	v_cmp_eq_u32_e64 s11, v83, v115
	v_add_nc_u32_e32 v112, -1, v114
	s_delay_alu instid0(VALU_DEP_1) | instskip(SKIP_2) | instid1(VALU_DEP_2)
	v_cndmask_b32_e64 v83, 0, v112, s11
	v_lshrrev_b32_e32 v112, 23, v113
	s_mov_b32 s11, exec_lo
	v_add_nc_u32_e32 v83, v83, v113
	s_delay_alu instid0(VALU_DEP_2) | instskip(NEXT) | instid1(VALU_DEP_2)
	v_xor_b32_e32 v112, 1, v112
	v_and_b32_e32 v66, 0xfffff, v83
	s_delay_alu instid0(VALU_DEP_1) | instskip(NEXT) | instid1(VALU_DEP_3)
	v_add_nc_u32_e32 v83, v66, v113
                                        ; implicit-def: $vgpr66
	v_cmpx_ne_u32_e64 v103, v112
	s_xor_b32 s11, exec_lo, s11
; %bb.11831:                            ;   in Loop: Header=BB6_11719 Depth=2
	s_delay_alu instid0(VALU_DEP_2) | instskip(SKIP_2) | instid1(VALU_DEP_2)
	v_cmp_lt_u32_e32 vcc_lo, 0xffffff, v83
	v_sub_nc_u32_e32 v66, v103, v112
	v_cndmask_b32_e64 v103, 0, 1, vcc_lo
	v_add_co_ci_u32_e32 v66, vcc_lo, 0, v66, vcc_lo
	s_delay_alu instid0(VALU_DEP_2)
	v_lshrrev_b32_e32 v83, v103, v83
; %bb.11832:                            ;   in Loop: Header=BB6_11719 Depth=2
	s_and_not1_saveexec_b32 s11, s11
; %bb.11833:                            ;   in Loop: Header=BB6_11719 Depth=2
	s_delay_alu instid0(VALU_DEP_1)
	v_bfe_u32 v66, v83, 23, 1
; %bb.11834:                            ;   in Loop: Header=BB6_11719 Depth=2
	s_or_b32 exec_lo, exec_lo, s11
	v_lshrrev_b32_e32 v83, 20, v83
	s_delay_alu instid0(VALU_DEP_2) | instskip(SKIP_2) | instid1(VALU_DEP_2)
	v_cmp_gt_i32_e32 vcc_lo, 16, v66
	v_lshrrev_b32_e32 v82, 24, v82
	v_min_i32_e32 v103, 15, v66
	v_dual_cndmask_b32 v83, 7, v83 :: v_dual_and_b32 v82, 0x80, v82
	s_delay_alu instid0(VALU_DEP_1) | instskip(SKIP_1) | instid1(VALU_DEP_2)
	v_or_b32_e32 v66, v66, v83
	v_and_b32_e32 v112, 7, v83
	v_cmp_ne_u32_e32 vcc_lo, 0, v66
	v_lshlrev_b32_e32 v103, 3, v103
	s_delay_alu instid0(VALU_DEP_1) | instskip(NEXT) | instid1(VALU_DEP_1)
	v_or3_b32 v82, v103, v82, v112
	v_cndmask_b32_e32 v66, 0, v82, vcc_lo
.LBB6_11835:                            ;   in Loop: Header=BB6_11719 Depth=2
	s_or_b32 exec_lo, exec_lo, s26
.LBB6_11836:                            ;   in Loop: Header=BB6_11719 Depth=2
	s_delay_alu instid0(SALU_CYCLE_1) | instskip(SKIP_3) | instid1(VALU_DEP_1)
	s_or_b32 exec_lo, exec_lo, s25
	v_lshrrev_b16 v82, 8, v12
	s_mov_b32 s11, 0
	s_mov_b32 s26, exec_lo
                                        ; implicit-def: $sgpr25
	v_cmpx_lt_i16_e32 0x7f, v82
	s_xor_b32 s26, exec_lo, s26
	s_cbranch_execnz .LBB6_11954
; %bb.11837:                            ;   in Loop: Header=BB6_11719 Depth=2
	s_or_saveexec_b32 s26, s26
	v_mov_b32_e32 v83, s25
	s_xor_b32 exec_lo, exec_lo, s26
	s_cbranch_execnz .LBB6_11957
.LBB6_11838:                            ;   in Loop: Header=BB6_11719 Depth=2
	s_or_b32 exec_lo, exec_lo, s26
	s_and_saveexec_b32 s25, s11
	s_cbranch_execz .LBB6_11840
.LBB6_11839:                            ;   in Loop: Header=BB6_11719 Depth=2
	v_and_b32_e32 v83, 0xffff, v82
	s_delay_alu instid0(VALU_DEP_1) | instskip(NEXT) | instid1(VALU_DEP_1)
	v_and_b32_e32 v103, 7, v83
	v_clz_i32_u32_e32 v112, v103
	s_delay_alu instid0(VALU_DEP_1) | instskip(NEXT) | instid1(VALU_DEP_1)
	v_min_u32_e32 v112, 32, v112
	v_subrev_nc_u32_e32 v113, 28, v112
	v_sub_nc_u32_e32 v112, 29, v112
	s_delay_alu instid0(VALU_DEP_2) | instskip(SKIP_1) | instid1(VALU_DEP_2)
	v_lshlrev_b32_e32 v113, v113, v83
	v_bfe_u32 v83, v83, 3, 4
	v_and_b32_e32 v113, 7, v113
	s_delay_alu instid0(VALU_DEP_2) | instskip(SKIP_1) | instid1(VALU_DEP_1)
	v_cmp_eq_u32_e32 vcc_lo, 0, v83
	v_dual_cndmask_b32 v83, v83, v112 :: v_dual_lshlrev_b32 v82, 24, v82
	v_dual_cndmask_b32 v103, v103, v113 :: v_dual_and_b32 v82, 0x80000000, v82
	s_delay_alu instid0(VALU_DEP_2) | instskip(NEXT) | instid1(VALU_DEP_2)
	v_lshl_add_u32 v83, v83, 23, 0x3b800000
	v_lshlrev_b32_e32 v103, 20, v103
	s_delay_alu instid0(VALU_DEP_1)
	v_or3_b32 v83, v82, v83, v103
.LBB6_11840:                            ;   in Loop: Header=BB6_11719 Depth=2
	s_or_b32 exec_lo, exec_lo, s25
	s_delay_alu instid0(VALU_DEP_1) | instskip(NEXT) | instid1(VALU_DEP_1)
	v_mul_f32_e32 v83, s24, v83
	v_and_b32_e32 v82, 0x7f800000, v83
	s_delay_alu instid0(VALU_DEP_1)
	v_cmp_ne_u32_e32 vcc_lo, 0x7f800000, v82
	v_mov_b32_e32 v82, 0x80
	s_and_saveexec_b32 s25, vcc_lo
	s_cbranch_execz .LBB6_11848
; %bb.11841:                            ;   in Loop: Header=BB6_11719 Depth=2
	v_mov_b32_e32 v82, 0
	s_mov_b32 s26, exec_lo
	v_cmpx_ne_u32_e32 0, v83
	s_cbranch_execz .LBB6_11847
; %bb.11842:                            ;   in Loop: Header=BB6_11719 Depth=2
	v_bfe_u32 v82, v83, 23, 8
	s_delay_alu instid0(VALU_DEP_1) | instskip(SKIP_1) | instid1(VALU_DEP_2)
	v_sub_nc_u32_e32 v112, 0x78, v82
	v_cmp_gt_u32_e32 vcc_lo, 0x79, v82
	v_dual_cndmask_b32 v112, 0, v112 :: v_dual_and_b32 v103, 0x7fffff, v83
	s_delay_alu instid0(VALU_DEP_1) | instskip(SKIP_2) | instid1(VALU_DEP_4)
	v_or_b32_e32 v113, 0x800000, v103
	v_cmp_eq_u32_e32 vcc_lo, 0, v82
	v_add_nc_u32_e32 v82, 0xffffff89, v82
	v_cndmask_b32_e64 v112, v112, 0x77, vcc_lo
	s_delay_alu instid0(VALU_DEP_4) | instskip(NEXT) | instid1(VALU_DEP_3)
	v_cndmask_b32_e32 v103, v113, v103, vcc_lo
	v_cndmask_b32_e64 v82, v82, 0xffffff8a, vcc_lo
	s_delay_alu instid0(VALU_DEP_3) | instskip(NEXT) | instid1(VALU_DEP_3)
	v_lshl_add_u32 v113, 0x100000, v112, -1
	v_lshrrev_b32_e32 v114, v112, v103
	v_lshlrev_b32_e64 v116, v112, 0x80000
	s_delay_alu instid0(VALU_DEP_4) | instskip(NEXT) | instid1(VALU_DEP_4)
	v_add_nc_u32_e32 v112, v112, v82
	v_and_b32_e32 v103, v113, v103
	s_delay_alu instid0(VALU_DEP_4) | instskip(NEXT) | instid1(VALU_DEP_2)
	v_bfe_u32 v115, v114, 20, 1
	v_cmp_eq_u32_e64 s11, v103, v116
	s_delay_alu instid0(VALU_DEP_2) | instskip(NEXT) | instid1(VALU_DEP_1)
	v_add_nc_u32_e32 v113, -1, v115
	v_cndmask_b32_e64 v103, 0, v113, s11
	v_lshrrev_b32_e32 v113, 23, v114
	s_mov_b32 s11, exec_lo
	s_delay_alu instid0(VALU_DEP_2) | instskip(NEXT) | instid1(VALU_DEP_2)
	v_add_nc_u32_e32 v103, v103, v114
	v_xor_b32_e32 v113, 1, v113
	s_delay_alu instid0(VALU_DEP_2) | instskip(NEXT) | instid1(VALU_DEP_1)
	v_and_b32_e32 v82, 0xfffff, v103
	v_add_nc_u32_e32 v103, v82, v114
                                        ; implicit-def: $vgpr82
	s_delay_alu instid0(VALU_DEP_3)
	v_cmpx_ne_u32_e64 v112, v113
	s_xor_b32 s11, exec_lo, s11
; %bb.11843:                            ;   in Loop: Header=BB6_11719 Depth=2
	s_delay_alu instid0(VALU_DEP_2) | instskip(SKIP_2) | instid1(VALU_DEP_2)
	v_cmp_lt_u32_e32 vcc_lo, 0xffffff, v103
	v_sub_nc_u32_e32 v82, v112, v113
	v_cndmask_b32_e64 v112, 0, 1, vcc_lo
	v_add_co_ci_u32_e32 v82, vcc_lo, 0, v82, vcc_lo
	s_delay_alu instid0(VALU_DEP_2)
	v_lshrrev_b32_e32 v103, v112, v103
; %bb.11844:                            ;   in Loop: Header=BB6_11719 Depth=2
	s_and_not1_saveexec_b32 s11, s11
; %bb.11845:                            ;   in Loop: Header=BB6_11719 Depth=2
	s_delay_alu instid0(VALU_DEP_1)
	v_bfe_u32 v82, v103, 23, 1
; %bb.11846:                            ;   in Loop: Header=BB6_11719 Depth=2
	s_or_b32 exec_lo, exec_lo, s11
	v_lshrrev_b32_e32 v103, 20, v103
	s_delay_alu instid0(VALU_DEP_2) | instskip(SKIP_2) | instid1(VALU_DEP_4)
	v_cmp_gt_i32_e32 vcc_lo, 16, v82
	v_lshrrev_b32_e32 v83, 24, v83
	v_min_i32_e32 v112, 15, v82
	v_cndmask_b32_e32 v103, 7, v103, vcc_lo
	s_delay_alu instid0(VALU_DEP_3) | instskip(NEXT) | instid1(VALU_DEP_3)
	v_and_b32_e32 v83, 0x80, v83
	v_lshlrev_b32_e32 v112, 3, v112
	s_delay_alu instid0(VALU_DEP_3) | instskip(SKIP_1) | instid1(VALU_DEP_2)
	v_and_b32_e32 v113, 7, v103
	v_or_b32_e32 v82, v82, v103
	v_or3_b32 v83, v112, v83, v113
	s_delay_alu instid0(VALU_DEP_2) | instskip(NEXT) | instid1(VALU_DEP_2)
	v_cmp_ne_u32_e32 vcc_lo, 0, v82
	v_cndmask_b32_e32 v82, 0, v83, vcc_lo
.LBB6_11847:                            ;   in Loop: Header=BB6_11719 Depth=2
	s_or_b32 exec_lo, exec_lo, s26
.LBB6_11848:                            ;   in Loop: Header=BB6_11719 Depth=2
	s_delay_alu instid0(SALU_CYCLE_1) | instskip(SKIP_3) | instid1(VALU_DEP_1)
	s_or_b32 exec_lo, exec_lo, s25
	v_lshrrev_b32_e32 v83, 16, v12
	s_mov_b32 s11, 0
	s_mov_b32 s26, exec_lo
                                        ; implicit-def: $sgpr25
	v_and_b32_e32 v112, 0xff, v83
	s_delay_alu instid0(VALU_DEP_1)
	v_cmpx_lt_i16_e32 0x7f, v112
	s_xor_b32 s26, exec_lo, s26
	s_cbranch_execnz .LBB6_11958
; %bb.11849:                            ;   in Loop: Header=BB6_11719 Depth=2
	s_or_saveexec_b32 s26, s26
	v_mov_b32_e32 v103, s25
	s_xor_b32 exec_lo, exec_lo, s26
	s_cbranch_execnz .LBB6_11961
.LBB6_11850:                            ;   in Loop: Header=BB6_11719 Depth=2
	s_or_b32 exec_lo, exec_lo, s26
	s_and_saveexec_b32 s25, s11
	s_cbranch_execz .LBB6_11852
.LBB6_11851:                            ;   in Loop: Header=BB6_11719 Depth=2
	v_bfe_u32 v103, v12, 16, 3
	s_delay_alu instid0(VALU_DEP_1) | instskip(NEXT) | instid1(VALU_DEP_1)
	v_clz_i32_u32_e32 v112, v103
	v_min_u32_e32 v112, 32, v112
	s_delay_alu instid0(VALU_DEP_1) | instskip(SKIP_1) | instid1(VALU_DEP_2)
	v_subrev_nc_u32_e32 v113, 28, v112
	v_sub_nc_u32_e32 v112, 29, v112
	v_lshlrev_b32_e32 v83, v113, v83
	v_bfe_u32 v113, v12, 19, 4
	s_delay_alu instid0(VALU_DEP_1) | instskip(NEXT) | instid1(VALU_DEP_3)
	v_cmp_eq_u32_e32 vcc_lo, 0, v113
	v_dual_cndmask_b32 v112, v113, v112 :: v_dual_and_b32 v83, 7, v83
	s_delay_alu instid0(VALU_DEP_1) | instskip(NEXT) | instid1(VALU_DEP_2)
	v_dual_cndmask_b32 v83, v103, v83 :: v_dual_lshlrev_b32 v114, 8, v12
	v_lshl_add_u32 v112, v112, 23, 0x3b800000
	s_delay_alu instid0(VALU_DEP_2) | instskip(NEXT) | instid1(VALU_DEP_3)
	v_and_b32_e32 v103, 0x80000000, v114
	v_lshlrev_b32_e32 v83, 20, v83
	s_delay_alu instid0(VALU_DEP_1)
	v_or3_b32 v103, v103, v112, v83
.LBB6_11852:                            ;   in Loop: Header=BB6_11719 Depth=2
	s_or_b32 exec_lo, exec_lo, s25
	s_delay_alu instid0(VALU_DEP_1) | instskip(NEXT) | instid1(VALU_DEP_1)
	v_mul_f32_e32 v103, s24, v103
	v_and_b32_e32 v83, 0x7f800000, v103
	s_delay_alu instid0(VALU_DEP_1)
	v_cmp_ne_u32_e32 vcc_lo, 0x7f800000, v83
	v_mov_b32_e32 v83, 0x80
	s_and_saveexec_b32 s25, vcc_lo
	s_cbranch_execz .LBB6_11860
; %bb.11853:                            ;   in Loop: Header=BB6_11719 Depth=2
	v_mov_b32_e32 v83, 0
	s_mov_b32 s26, exec_lo
	v_cmpx_ne_u32_e32 0, v103
	s_cbranch_execz .LBB6_11859
; %bb.11854:                            ;   in Loop: Header=BB6_11719 Depth=2
	v_bfe_u32 v83, v103, 23, 8
	s_delay_alu instid0(VALU_DEP_1) | instskip(SKIP_1) | instid1(VALU_DEP_2)
	v_sub_nc_u32_e32 v113, 0x78, v83
	v_cmp_gt_u32_e32 vcc_lo, 0x79, v83
	v_dual_cndmask_b32 v113, 0, v113 :: v_dual_and_b32 v112, 0x7fffff, v103
	s_delay_alu instid0(VALU_DEP_1) | instskip(SKIP_2) | instid1(VALU_DEP_4)
	v_or_b32_e32 v114, 0x800000, v112
	v_cmp_eq_u32_e32 vcc_lo, 0, v83
	v_add_nc_u32_e32 v83, 0xffffff89, v83
	v_cndmask_b32_e64 v113, v113, 0x77, vcc_lo
	s_delay_alu instid0(VALU_DEP_4) | instskip(NEXT) | instid1(VALU_DEP_3)
	v_cndmask_b32_e32 v112, v114, v112, vcc_lo
	v_cndmask_b32_e64 v83, v83, 0xffffff8a, vcc_lo
	s_delay_alu instid0(VALU_DEP_3) | instskip(NEXT) | instid1(VALU_DEP_3)
	v_lshl_add_u32 v114, 0x100000, v113, -1
	v_lshrrev_b32_e32 v115, v113, v112
	v_lshlrev_b32_e64 v117, v113, 0x80000
	s_delay_alu instid0(VALU_DEP_4) | instskip(NEXT) | instid1(VALU_DEP_4)
	v_add_nc_u32_e32 v113, v113, v83
	v_and_b32_e32 v112, v114, v112
	s_delay_alu instid0(VALU_DEP_4) | instskip(NEXT) | instid1(VALU_DEP_2)
	v_bfe_u32 v116, v115, 20, 1
	v_cmp_eq_u32_e64 s11, v112, v117
	s_delay_alu instid0(VALU_DEP_2) | instskip(NEXT) | instid1(VALU_DEP_1)
	v_add_nc_u32_e32 v114, -1, v116
	v_cndmask_b32_e64 v112, 0, v114, s11
	v_lshrrev_b32_e32 v114, 23, v115
	s_mov_b32 s11, exec_lo
	s_delay_alu instid0(VALU_DEP_2) | instskip(NEXT) | instid1(VALU_DEP_2)
	v_add_nc_u32_e32 v112, v112, v115
	v_xor_b32_e32 v114, 1, v114
	s_delay_alu instid0(VALU_DEP_2) | instskip(NEXT) | instid1(VALU_DEP_1)
	v_and_b32_e32 v83, 0xfffff, v112
	v_add_nc_u32_e32 v112, v83, v115
                                        ; implicit-def: $vgpr83
	s_delay_alu instid0(VALU_DEP_3)
	v_cmpx_ne_u32_e64 v113, v114
	s_xor_b32 s11, exec_lo, s11
; %bb.11855:                            ;   in Loop: Header=BB6_11719 Depth=2
	s_delay_alu instid0(VALU_DEP_2) | instskip(SKIP_2) | instid1(VALU_DEP_2)
	v_cmp_lt_u32_e32 vcc_lo, 0xffffff, v112
	v_sub_nc_u32_e32 v83, v113, v114
	v_cndmask_b32_e64 v113, 0, 1, vcc_lo
	v_add_co_ci_u32_e32 v83, vcc_lo, 0, v83, vcc_lo
	s_delay_alu instid0(VALU_DEP_2)
	v_lshrrev_b32_e32 v112, v113, v112
; %bb.11856:                            ;   in Loop: Header=BB6_11719 Depth=2
	s_and_not1_saveexec_b32 s11, s11
; %bb.11857:                            ;   in Loop: Header=BB6_11719 Depth=2
	s_delay_alu instid0(VALU_DEP_1)
	v_bfe_u32 v83, v112, 23, 1
; %bb.11858:                            ;   in Loop: Header=BB6_11719 Depth=2
	s_or_b32 exec_lo, exec_lo, s11
	v_lshrrev_b32_e32 v112, 20, v112
	s_delay_alu instid0(VALU_DEP_2) | instskip(SKIP_2) | instid1(VALU_DEP_2)
	v_cmp_gt_i32_e32 vcc_lo, 16, v83
	v_lshrrev_b32_e32 v103, 24, v103
	v_min_i32_e32 v113, 15, v83
	v_dual_cndmask_b32 v112, 7, v112 :: v_dual_and_b32 v103, 0x80, v103
	s_delay_alu instid0(VALU_DEP_2) | instskip(NEXT) | instid1(VALU_DEP_2)
	v_lshlrev_b32_e32 v113, 3, v113
	v_or_b32_e32 v83, v83, v112
	s_delay_alu instid0(VALU_DEP_1) | instskip(SKIP_1) | instid1(VALU_DEP_1)
	v_cmp_ne_u32_e32 vcc_lo, 0, v83
	v_and_b32_e32 v114, 7, v112
	v_or3_b32 v103, v113, v103, v114
	s_delay_alu instid0(VALU_DEP_1)
	v_cndmask_b32_e32 v83, 0, v103, vcc_lo
.LBB6_11859:                            ;   in Loop: Header=BB6_11719 Depth=2
	s_or_b32 exec_lo, exec_lo, s26
.LBB6_11860:                            ;   in Loop: Header=BB6_11719 Depth=2
	s_delay_alu instid0(SALU_CYCLE_1) | instskip(SKIP_3) | instid1(VALU_DEP_1)
	s_or_b32 exec_lo, exec_lo, s25
	v_lshrrev_b32_e32 v103, 24, v12
	s_mov_b32 s11, 0
	s_mov_b32 s26, exec_lo
                                        ; implicit-def: $sgpr25
	v_cmpx_lt_i16_e32 0x7f, v103
	s_xor_b32 s26, exec_lo, s26
	s_cbranch_execnz .LBB6_11962
; %bb.11861:                            ;   in Loop: Header=BB6_11719 Depth=2
	s_or_saveexec_b32 s26, s26
	v_mov_b32_e32 v112, s25
	s_xor_b32 exec_lo, exec_lo, s26
	s_cbranch_execnz .LBB6_11965
.LBB6_11862:                            ;   in Loop: Header=BB6_11719 Depth=2
	s_or_b32 exec_lo, exec_lo, s26
	s_and_saveexec_b32 s25, s11
	s_cbranch_execz .LBB6_11864
.LBB6_11863:                            ;   in Loop: Header=BB6_11719 Depth=2
	v_bfe_u32 v112, v12, 24, 3
	s_delay_alu instid0(VALU_DEP_1) | instskip(NEXT) | instid1(VALU_DEP_1)
	v_clz_i32_u32_e32 v113, v112
	v_min_u32_e32 v113, 32, v113
	s_delay_alu instid0(VALU_DEP_1) | instskip(SKIP_1) | instid1(VALU_DEP_2)
	v_subrev_nc_u32_e32 v114, 28, v113
	v_sub_nc_u32_e32 v113, 29, v113
	v_lshlrev_b32_e32 v103, v114, v103
	v_bfe_u32 v114, v12, 27, 4
	v_and_b32_e32 v12, 0x80000000, v12
	s_delay_alu instid0(VALU_DEP_3) | instskip(NEXT) | instid1(VALU_DEP_3)
	v_and_b32_e32 v103, 7, v103
	v_cmp_eq_u32_e32 vcc_lo, 0, v114
	v_cndmask_b32_e32 v113, v114, v113, vcc_lo
	s_delay_alu instid0(VALU_DEP_3) | instskip(NEXT) | instid1(VALU_DEP_2)
	v_cndmask_b32_e32 v103, v112, v103, vcc_lo
	v_lshl_add_u32 v112, v113, 23, 0x3b800000
	s_delay_alu instid0(VALU_DEP_2) | instskip(NEXT) | instid1(VALU_DEP_1)
	v_lshlrev_b32_e32 v103, 20, v103
	v_or3_b32 v112, v12, v112, v103
.LBB6_11864:                            ;   in Loop: Header=BB6_11719 Depth=2
	s_or_b32 exec_lo, exec_lo, s25
	s_delay_alu instid0(VALU_DEP_1) | instskip(NEXT) | instid1(VALU_DEP_1)
	v_mul_f32_e32 v103, s24, v112
	v_and_b32_e32 v12, 0x7f800000, v103
	s_delay_alu instid0(VALU_DEP_1)
	v_cmp_ne_u32_e32 vcc_lo, 0x7f800000, v12
	v_mov_b32_e32 v12, 0x80
	s_and_saveexec_b32 s25, vcc_lo
	s_cbranch_execz .LBB6_11872
; %bb.11865:                            ;   in Loop: Header=BB6_11719 Depth=2
	v_mov_b32_e32 v12, 0
	s_mov_b32 s26, exec_lo
	v_cmpx_ne_u32_e32 0, v103
	s_cbranch_execz .LBB6_11871
; %bb.11866:                            ;   in Loop: Header=BB6_11719 Depth=2
	v_bfe_u32 v12, v103, 23, 8
	s_delay_alu instid0(VALU_DEP_1) | instskip(SKIP_1) | instid1(VALU_DEP_2)
	v_sub_nc_u32_e32 v113, 0x78, v12
	v_cmp_gt_u32_e32 vcc_lo, 0x79, v12
	v_dual_cndmask_b32 v113, 0, v113 :: v_dual_and_b32 v112, 0x7fffff, v103
	s_delay_alu instid0(VALU_DEP_1) | instskip(SKIP_2) | instid1(VALU_DEP_4)
	v_or_b32_e32 v114, 0x800000, v112
	v_cmp_eq_u32_e32 vcc_lo, 0, v12
	v_add_nc_u32_e32 v12, 0xffffff89, v12
	v_cndmask_b32_e64 v113, v113, 0x77, vcc_lo
	s_delay_alu instid0(VALU_DEP_4) | instskip(NEXT) | instid1(VALU_DEP_3)
	v_cndmask_b32_e32 v112, v114, v112, vcc_lo
	v_cndmask_b32_e64 v12, v12, 0xffffff8a, vcc_lo
	s_delay_alu instid0(VALU_DEP_3) | instskip(NEXT) | instid1(VALU_DEP_3)
	v_lshl_add_u32 v114, 0x100000, v113, -1
	v_lshrrev_b32_e32 v115, v113, v112
	v_lshlrev_b32_e64 v117, v113, 0x80000
	s_delay_alu instid0(VALU_DEP_4) | instskip(NEXT) | instid1(VALU_DEP_4)
	v_add_nc_u32_e32 v113, v113, v12
	v_and_b32_e32 v112, v114, v112
	s_delay_alu instid0(VALU_DEP_4) | instskip(NEXT) | instid1(VALU_DEP_2)
	v_bfe_u32 v116, v115, 20, 1
	v_cmp_eq_u32_e64 s11, v112, v117
	s_delay_alu instid0(VALU_DEP_2) | instskip(NEXT) | instid1(VALU_DEP_1)
	v_add_nc_u32_e32 v114, -1, v116
	v_cndmask_b32_e64 v112, 0, v114, s11
	v_lshrrev_b32_e32 v114, 23, v115
	s_mov_b32 s11, exec_lo
	s_delay_alu instid0(VALU_DEP_2) | instskip(NEXT) | instid1(VALU_DEP_2)
	v_add_nc_u32_e32 v112, v112, v115
	v_xor_b32_e32 v114, 1, v114
	s_delay_alu instid0(VALU_DEP_2) | instskip(NEXT) | instid1(VALU_DEP_1)
	v_and_b32_e32 v12, 0xfffff, v112
	v_add_nc_u32_e32 v112, v12, v115
                                        ; implicit-def: $vgpr12
	s_delay_alu instid0(VALU_DEP_3)
	v_cmpx_ne_u32_e64 v113, v114
	s_xor_b32 s11, exec_lo, s11
; %bb.11867:                            ;   in Loop: Header=BB6_11719 Depth=2
	s_delay_alu instid0(VALU_DEP_2) | instskip(SKIP_2) | instid1(VALU_DEP_2)
	v_cmp_lt_u32_e32 vcc_lo, 0xffffff, v112
	v_sub_nc_u32_e32 v12, v113, v114
	v_cndmask_b32_e64 v113, 0, 1, vcc_lo
	v_add_co_ci_u32_e32 v12, vcc_lo, 0, v12, vcc_lo
	s_delay_alu instid0(VALU_DEP_2)
	v_lshrrev_b32_e32 v112, v113, v112
; %bb.11868:                            ;   in Loop: Header=BB6_11719 Depth=2
	s_and_not1_saveexec_b32 s11, s11
; %bb.11869:                            ;   in Loop: Header=BB6_11719 Depth=2
	s_delay_alu instid0(VALU_DEP_1)
	v_bfe_u32 v12, v112, 23, 1
; %bb.11870:                            ;   in Loop: Header=BB6_11719 Depth=2
	s_or_b32 exec_lo, exec_lo, s11
	v_lshrrev_b32_e32 v112, 20, v112
	s_delay_alu instid0(VALU_DEP_2) | instskip(SKIP_2) | instid1(VALU_DEP_2)
	v_cmp_gt_i32_e32 vcc_lo, 16, v12
	v_lshrrev_b32_e32 v103, 24, v103
	v_min_i32_e32 v113, 15, v12
	v_dual_cndmask_b32 v112, 7, v112 :: v_dual_and_b32 v103, 0x80, v103
	s_delay_alu instid0(VALU_DEP_1) | instskip(SKIP_1) | instid1(VALU_DEP_2)
	v_or_b32_e32 v12, v12, v112
	v_and_b32_e32 v114, 7, v112
	v_cmp_ne_u32_e32 vcc_lo, 0, v12
	v_lshlrev_b32_e32 v113, 3, v113
	s_delay_alu instid0(VALU_DEP_1) | instskip(NEXT) | instid1(VALU_DEP_1)
	v_or3_b32 v103, v113, v103, v114
	v_cndmask_b32_e32 v12, 0, v103, vcc_lo
.LBB6_11871:                            ;   in Loop: Header=BB6_11719 Depth=2
	s_or_b32 exec_lo, exec_lo, s26
.LBB6_11872:                            ;   in Loop: Header=BB6_11719 Depth=2
	s_delay_alu instid0(SALU_CYCLE_1) | instskip(SKIP_3) | instid1(VALU_DEP_1)
	s_or_b32 exec_lo, exec_lo, s25
	v_and_b32_e32 v112, 0xff, v13
	s_mov_b32 s11, 0
	s_mov_b32 s26, exec_lo
                                        ; implicit-def: $sgpr25
	v_cmpx_lt_i16_e32 0x7f, v112
	s_xor_b32 s26, exec_lo, s26
	s_cbranch_execnz .LBB6_11966
; %bb.11873:                            ;   in Loop: Header=BB6_11719 Depth=2
	s_or_saveexec_b32 s26, s26
	v_mov_b32_e32 v103, s25
	s_xor_b32 exec_lo, exec_lo, s26
	s_cbranch_execnz .LBB6_11969
.LBB6_11874:                            ;   in Loop: Header=BB6_11719 Depth=2
	s_or_b32 exec_lo, exec_lo, s26
	s_and_saveexec_b32 s25, s11
	s_cbranch_execz .LBB6_11876
.LBB6_11875:                            ;   in Loop: Header=BB6_11719 Depth=2
	v_bfe_u32 v114, v13, 3, 4
	v_lshlrev_b32_e32 v115, 24, v13
	s_delay_alu instid0(VALU_DEP_2) | instskip(SKIP_1) | instid1(VALU_DEP_1)
	v_cmp_eq_u32_e32 vcc_lo, 0, v114
	v_and_b32_e32 v103, 7, v13
	v_clz_i32_u32_e32 v112, v103
	s_delay_alu instid0(VALU_DEP_1) | instskip(NEXT) | instid1(VALU_DEP_1)
	v_min_u32_e32 v112, 32, v112
	v_subrev_nc_u32_e32 v113, 28, v112
	v_sub_nc_u32_e32 v112, 29, v112
	s_delay_alu instid0(VALU_DEP_1) | instskip(NEXT) | instid1(VALU_DEP_1)
	v_dual_cndmask_b32 v112, v114, v112 :: v_dual_lshlrev_b32 v113, v113, v13
	v_and_b32_e32 v113, 7, v113
	s_delay_alu instid0(VALU_DEP_2) | instskip(NEXT) | instid1(VALU_DEP_2)
	v_lshl_add_u32 v112, v112, 23, 0x3b800000
	v_cndmask_b32_e32 v103, v103, v113, vcc_lo
	v_and_b32_e32 v113, 0x80000000, v115
	s_delay_alu instid0(VALU_DEP_2) | instskip(NEXT) | instid1(VALU_DEP_1)
	v_lshlrev_b32_e32 v103, 20, v103
	v_or3_b32 v103, v113, v112, v103
.LBB6_11876:                            ;   in Loop: Header=BB6_11719 Depth=2
	s_or_b32 exec_lo, exec_lo, s25
	s_delay_alu instid0(VALU_DEP_1) | instskip(NEXT) | instid1(VALU_DEP_1)
	v_mul_f32_e32 v112, s24, v103
	v_and_b32_e32 v103, 0x7f800000, v112
	s_delay_alu instid0(VALU_DEP_1)
	v_cmp_ne_u32_e32 vcc_lo, 0x7f800000, v103
	v_mov_b32_e32 v103, 0x80
	s_and_saveexec_b32 s25, vcc_lo
	s_cbranch_execz .LBB6_11884
; %bb.11877:                            ;   in Loop: Header=BB6_11719 Depth=2
	v_mov_b32_e32 v103, 0
	s_mov_b32 s26, exec_lo
	v_cmpx_ne_u32_e32 0, v112
	s_cbranch_execz .LBB6_11883
; %bb.11878:                            ;   in Loop: Header=BB6_11719 Depth=2
	v_bfe_u32 v103, v112, 23, 8
	s_delay_alu instid0(VALU_DEP_1) | instskip(SKIP_1) | instid1(VALU_DEP_2)
	v_sub_nc_u32_e32 v114, 0x78, v103
	v_cmp_gt_u32_e32 vcc_lo, 0x79, v103
	v_dual_cndmask_b32 v114, 0, v114 :: v_dual_and_b32 v113, 0x7fffff, v112
	s_delay_alu instid0(VALU_DEP_1) | instskip(SKIP_2) | instid1(VALU_DEP_4)
	v_or_b32_e32 v115, 0x800000, v113
	v_cmp_eq_u32_e32 vcc_lo, 0, v103
	v_add_nc_u32_e32 v103, 0xffffff89, v103
	v_cndmask_b32_e64 v114, v114, 0x77, vcc_lo
	s_delay_alu instid0(VALU_DEP_2) | instskip(SKIP_1) | instid1(VALU_DEP_3)
	v_cndmask_b32_e64 v103, v103, 0xffffff8a, vcc_lo
	v_cndmask_b32_e32 v113, v115, v113, vcc_lo
	v_lshl_add_u32 v115, 0x100000, v114, -1
	v_lshlrev_b32_e64 v118, v114, 0x80000
	s_delay_alu instid0(VALU_DEP_3) | instskip(SKIP_1) | instid1(VALU_DEP_4)
	v_lshrrev_b32_e32 v116, v114, v113
	v_add_nc_u32_e32 v114, v114, v103
	v_and_b32_e32 v113, v115, v113
	s_delay_alu instid0(VALU_DEP_3) | instskip(NEXT) | instid1(VALU_DEP_2)
	v_bfe_u32 v117, v116, 20, 1
	v_cmp_eq_u32_e64 s11, v113, v118
	s_delay_alu instid0(VALU_DEP_2) | instskip(NEXT) | instid1(VALU_DEP_1)
	v_add_nc_u32_e32 v115, -1, v117
	v_cndmask_b32_e64 v113, 0, v115, s11
	v_lshrrev_b32_e32 v115, 23, v116
	s_mov_b32 s11, exec_lo
	s_delay_alu instid0(VALU_DEP_2) | instskip(NEXT) | instid1(VALU_DEP_2)
	v_add_nc_u32_e32 v113, v113, v116
	v_xor_b32_e32 v115, 1, v115
	s_delay_alu instid0(VALU_DEP_2) | instskip(NEXT) | instid1(VALU_DEP_1)
	v_and_b32_e32 v103, 0xfffff, v113
	v_add_nc_u32_e32 v113, v103, v116
                                        ; implicit-def: $vgpr103
	s_delay_alu instid0(VALU_DEP_3)
	v_cmpx_ne_u32_e64 v114, v115
	s_xor_b32 s11, exec_lo, s11
; %bb.11879:                            ;   in Loop: Header=BB6_11719 Depth=2
	s_delay_alu instid0(VALU_DEP_2) | instskip(SKIP_2) | instid1(VALU_DEP_2)
	v_cmp_lt_u32_e32 vcc_lo, 0xffffff, v113
	v_sub_nc_u32_e32 v103, v114, v115
	v_cndmask_b32_e64 v114, 0, 1, vcc_lo
	v_add_co_ci_u32_e32 v103, vcc_lo, 0, v103, vcc_lo
	s_delay_alu instid0(VALU_DEP_2)
	v_lshrrev_b32_e32 v113, v114, v113
; %bb.11880:                            ;   in Loop: Header=BB6_11719 Depth=2
	s_and_not1_saveexec_b32 s11, s11
; %bb.11881:                            ;   in Loop: Header=BB6_11719 Depth=2
	s_delay_alu instid0(VALU_DEP_1)
	v_bfe_u32 v103, v113, 23, 1
; %bb.11882:                            ;   in Loop: Header=BB6_11719 Depth=2
	s_or_b32 exec_lo, exec_lo, s11
	v_lshrrev_b32_e32 v113, 20, v113
	s_delay_alu instid0(VALU_DEP_2) | instskip(SKIP_2) | instid1(VALU_DEP_2)
	v_cmp_gt_i32_e32 vcc_lo, 16, v103
	v_min_i32_e32 v114, 15, v103
	v_lshrrev_b32_e32 v112, 24, v112
	v_dual_cndmask_b32 v113, 7, v113 :: v_dual_lshlrev_b32 v114, 3, v114
	s_delay_alu instid0(VALU_DEP_2) | instskip(NEXT) | instid1(VALU_DEP_2)
	v_and_b32_e32 v112, 0x80, v112
	v_or_b32_e32 v103, v103, v113
	v_and_b32_e32 v115, 7, v113
	s_delay_alu instid0(VALU_DEP_2) | instskip(SKIP_1) | instid1(VALU_DEP_1)
	v_cmp_ne_u32_e32 vcc_lo, 0, v103
	v_and_b32_e32 v114, 0xf8, v114
	v_or3_b32 v112, v114, v112, v115
	s_delay_alu instid0(VALU_DEP_1)
	v_cndmask_b32_e32 v103, 0, v112, vcc_lo
.LBB6_11883:                            ;   in Loop: Header=BB6_11719 Depth=2
	s_or_b32 exec_lo, exec_lo, s26
.LBB6_11884:                            ;   in Loop: Header=BB6_11719 Depth=2
	s_delay_alu instid0(SALU_CYCLE_1) | instskip(SKIP_3) | instid1(VALU_DEP_1)
	s_or_b32 exec_lo, exec_lo, s25
	v_lshrrev_b16 v112, 8, v13
	s_mov_b32 s11, 0
	s_mov_b32 s26, exec_lo
                                        ; implicit-def: $sgpr25
	v_cmpx_lt_i16_e32 0x7f, v112
	s_xor_b32 s26, exec_lo, s26
	s_cbranch_execnz .LBB6_11970
; %bb.11885:                            ;   in Loop: Header=BB6_11719 Depth=2
	s_or_saveexec_b32 s26, s26
	v_mov_b32_e32 v113, s25
	s_xor_b32 exec_lo, exec_lo, s26
	s_cbranch_execnz .LBB6_11973
.LBB6_11886:                            ;   in Loop: Header=BB6_11719 Depth=2
	s_or_b32 exec_lo, exec_lo, s26
	s_and_saveexec_b32 s25, s11
	s_cbranch_execz .LBB6_11888
.LBB6_11887:                            ;   in Loop: Header=BB6_11719 Depth=2
	v_and_b32_e32 v113, 0xffff, v112
	v_lshlrev_b32_e32 v112, 24, v112
	s_delay_alu instid0(VALU_DEP_2) | instskip(NEXT) | instid1(VALU_DEP_2)
	v_and_b32_e32 v114, 7, v113
	v_and_b32_e32 v112, 0x80000000, v112
	s_delay_alu instid0(VALU_DEP_2) | instskip(NEXT) | instid1(VALU_DEP_1)
	v_clz_i32_u32_e32 v115, v114
	v_min_u32_e32 v115, 32, v115
	s_delay_alu instid0(VALU_DEP_1) | instskip(SKIP_1) | instid1(VALU_DEP_2)
	v_subrev_nc_u32_e32 v116, 28, v115
	v_sub_nc_u32_e32 v115, 29, v115
	v_lshlrev_b32_e32 v116, v116, v113
	v_bfe_u32 v113, v113, 3, 4
	s_delay_alu instid0(VALU_DEP_2) | instskip(NEXT) | instid1(VALU_DEP_2)
	v_and_b32_e32 v116, 7, v116
	v_cmp_eq_u32_e32 vcc_lo, 0, v113
	s_delay_alu instid0(VALU_DEP_2) | instskip(NEXT) | instid1(VALU_DEP_1)
	v_dual_cndmask_b32 v113, v113, v115 :: v_dual_cndmask_b32 v114, v114, v116
	v_lshl_add_u32 v113, v113, 23, 0x3b800000
	s_delay_alu instid0(VALU_DEP_2) | instskip(NEXT) | instid1(VALU_DEP_1)
	v_lshlrev_b32_e32 v114, 20, v114
	v_or3_b32 v113, v112, v113, v114
.LBB6_11888:                            ;   in Loop: Header=BB6_11719 Depth=2
	s_or_b32 exec_lo, exec_lo, s25
	s_delay_alu instid0(VALU_DEP_1) | instskip(NEXT) | instid1(VALU_DEP_1)
	v_mul_f32_e32 v113, s24, v113
	v_and_b32_e32 v112, 0x7f800000, v113
	s_delay_alu instid0(VALU_DEP_1)
	v_cmp_ne_u32_e32 vcc_lo, 0x7f800000, v112
	v_mov_b32_e32 v112, 0x8000
	s_and_saveexec_b32 s25, vcc_lo
	s_cbranch_execz .LBB6_11896
; %bb.11889:                            ;   in Loop: Header=BB6_11719 Depth=2
	v_mov_b32_e32 v112, 0
	s_mov_b32 s26, exec_lo
	v_cmpx_ne_u32_e32 0, v113
	s_cbranch_execz .LBB6_11895
; %bb.11890:                            ;   in Loop: Header=BB6_11719 Depth=2
	v_bfe_u32 v112, v113, 23, 8
	s_delay_alu instid0(VALU_DEP_1) | instskip(SKIP_1) | instid1(VALU_DEP_2)
	v_sub_nc_u32_e32 v115, 0x78, v112
	v_cmp_gt_u32_e32 vcc_lo, 0x79, v112
	v_dual_cndmask_b32 v115, 0, v115 :: v_dual_and_b32 v114, 0x7fffff, v113
	s_delay_alu instid0(VALU_DEP_1) | instskip(SKIP_2) | instid1(VALU_DEP_4)
	v_or_b32_e32 v116, 0x800000, v114
	v_cmp_eq_u32_e32 vcc_lo, 0, v112
	v_add_nc_u32_e32 v112, 0xffffff89, v112
	v_cndmask_b32_e64 v115, v115, 0x77, vcc_lo
	s_delay_alu instid0(VALU_DEP_2) | instskip(SKIP_1) | instid1(VALU_DEP_3)
	v_cndmask_b32_e64 v112, v112, 0xffffff8a, vcc_lo
	v_cndmask_b32_e32 v114, v116, v114, vcc_lo
	v_lshl_add_u32 v116, 0x100000, v115, -1
	v_lshlrev_b32_e64 v119, v115, 0x80000
	s_delay_alu instid0(VALU_DEP_3) | instskip(SKIP_1) | instid1(VALU_DEP_4)
	v_lshrrev_b32_e32 v117, v115, v114
	v_add_nc_u32_e32 v115, v115, v112
	v_and_b32_e32 v114, v116, v114
	s_delay_alu instid0(VALU_DEP_3) | instskip(NEXT) | instid1(VALU_DEP_2)
	v_bfe_u32 v118, v117, 20, 1
	v_cmp_eq_u32_e64 s11, v114, v119
	s_delay_alu instid0(VALU_DEP_2) | instskip(NEXT) | instid1(VALU_DEP_1)
	v_add_nc_u32_e32 v116, -1, v118
	v_cndmask_b32_e64 v114, 0, v116, s11
	v_lshrrev_b32_e32 v116, 23, v117
	s_mov_b32 s11, exec_lo
	s_delay_alu instid0(VALU_DEP_2) | instskip(NEXT) | instid1(VALU_DEP_2)
	v_add_nc_u32_e32 v114, v114, v117
	v_xor_b32_e32 v116, 1, v116
	s_delay_alu instid0(VALU_DEP_2) | instskip(NEXT) | instid1(VALU_DEP_1)
	v_and_b32_e32 v112, 0xfffff, v114
	v_add_nc_u32_e32 v114, v112, v117
                                        ; implicit-def: $vgpr112
	s_delay_alu instid0(VALU_DEP_3)
	v_cmpx_ne_u32_e64 v115, v116
	s_xor_b32 s11, exec_lo, s11
; %bb.11891:                            ;   in Loop: Header=BB6_11719 Depth=2
	s_delay_alu instid0(VALU_DEP_2) | instskip(SKIP_2) | instid1(VALU_DEP_2)
	v_cmp_lt_u32_e32 vcc_lo, 0xffffff, v114
	v_sub_nc_u32_e32 v112, v115, v116
	v_cndmask_b32_e64 v115, 0, 1, vcc_lo
	v_add_co_ci_u32_e32 v112, vcc_lo, 0, v112, vcc_lo
	s_delay_alu instid0(VALU_DEP_2)
	v_lshrrev_b32_e32 v114, v115, v114
; %bb.11892:                            ;   in Loop: Header=BB6_11719 Depth=2
	s_and_not1_saveexec_b32 s11, s11
; %bb.11893:                            ;   in Loop: Header=BB6_11719 Depth=2
	s_delay_alu instid0(VALU_DEP_1)
	v_bfe_u32 v112, v114, 23, 1
; %bb.11894:                            ;   in Loop: Header=BB6_11719 Depth=2
	s_or_b32 exec_lo, exec_lo, s11
	v_lshrrev_b32_e32 v114, 20, v114
	s_delay_alu instid0(VALU_DEP_2) | instskip(SKIP_2) | instid1(VALU_DEP_2)
	v_cmp_gt_i32_e32 vcc_lo, 16, v112
	v_min_i32_e32 v115, 15, v112
	v_lshrrev_b32_e32 v113, 24, v113
	v_dual_cndmask_b32 v114, 7, v114 :: v_dual_lshlrev_b32 v115, 3, v115
	s_delay_alu instid0(VALU_DEP_2) | instskip(NEXT) | instid1(VALU_DEP_2)
	v_and_b32_e32 v113, 0x80, v113
	v_or_b32_e32 v112, v112, v114
	v_and_b32_e32 v116, 7, v114
	s_delay_alu instid0(VALU_DEP_2) | instskip(SKIP_1) | instid1(VALU_DEP_1)
	v_cmp_ne_u32_e32 vcc_lo, 0, v112
	v_and_b32_e32 v115, 0xf8, v115
	v_or3_b32 v113, v113, v115, v116
	s_delay_alu instid0(VALU_DEP_1) | instskip(NEXT) | instid1(VALU_DEP_1)
	v_lshlrev_b32_e32 v113, 8, v113
	v_cndmask_b32_e32 v112, 0, v113, vcc_lo
.LBB6_11895:                            ;   in Loop: Header=BB6_11719 Depth=2
	s_or_b32 exec_lo, exec_lo, s26
.LBB6_11896:                            ;   in Loop: Header=BB6_11719 Depth=2
	s_delay_alu instid0(SALU_CYCLE_1) | instskip(SKIP_3) | instid1(VALU_DEP_1)
	s_or_b32 exec_lo, exec_lo, s25
	v_lshrrev_b32_e32 v113, 16, v13
	s_mov_b32 s11, 0
	s_mov_b32 s26, exec_lo
                                        ; implicit-def: $sgpr25
	v_and_b32_e32 v115, 0xff, v113
	s_delay_alu instid0(VALU_DEP_1)
	v_cmpx_lt_i16_e32 0x7f, v115
	s_xor_b32 s26, exec_lo, s26
	s_cbranch_execnz .LBB6_11974
; %bb.11897:                            ;   in Loop: Header=BB6_11719 Depth=2
	s_or_saveexec_b32 s26, s26
	v_mov_b32_e32 v114, s25
	s_xor_b32 exec_lo, exec_lo, s26
	s_cbranch_execnz .LBB6_11977
.LBB6_11898:                            ;   in Loop: Header=BB6_11719 Depth=2
	s_or_b32 exec_lo, exec_lo, s26
	s_and_saveexec_b32 s25, s11
	s_cbranch_execz .LBB6_11900
.LBB6_11899:                            ;   in Loop: Header=BB6_11719 Depth=2
	v_bfe_u32 v114, v13, 16, 3
	v_lshlrev_b32_e32 v117, 8, v13
	s_delay_alu instid0(VALU_DEP_2) | instskip(NEXT) | instid1(VALU_DEP_1)
	v_clz_i32_u32_e32 v115, v114
	v_min_u32_e32 v115, 32, v115
	s_delay_alu instid0(VALU_DEP_1) | instskip(SKIP_1) | instid1(VALU_DEP_2)
	v_subrev_nc_u32_e32 v116, 28, v115
	v_sub_nc_u32_e32 v115, 29, v115
	v_lshlrev_b32_e32 v113, v116, v113
	v_bfe_u32 v116, v13, 19, 4
	s_delay_alu instid0(VALU_DEP_2) | instskip(NEXT) | instid1(VALU_DEP_2)
	v_and_b32_e32 v113, 7, v113
	v_cmp_eq_u32_e32 vcc_lo, 0, v116
	v_cndmask_b32_e32 v115, v116, v115, vcc_lo
	s_delay_alu instid0(VALU_DEP_3) | instskip(SKIP_1) | instid1(VALU_DEP_3)
	v_cndmask_b32_e32 v113, v114, v113, vcc_lo
	v_and_b32_e32 v114, 0x80000000, v117
	v_lshl_add_u32 v115, v115, 23, 0x3b800000
	s_delay_alu instid0(VALU_DEP_3) | instskip(NEXT) | instid1(VALU_DEP_1)
	v_lshlrev_b32_e32 v113, 20, v113
	v_or3_b32 v114, v114, v115, v113
.LBB6_11900:                            ;   in Loop: Header=BB6_11719 Depth=2
	s_or_b32 exec_lo, exec_lo, s25
	s_delay_alu instid0(VALU_DEP_1) | instskip(NEXT) | instid1(VALU_DEP_1)
	v_mul_f32_e32 v114, s24, v114
	v_and_b32_e32 v113, 0x7f800000, v114
	s_delay_alu instid0(VALU_DEP_1)
	v_cmp_ne_u32_e32 vcc_lo, 0x7f800000, v113
	v_mov_b32_e32 v113, 0x80
	s_and_saveexec_b32 s25, vcc_lo
	s_cbranch_execz .LBB6_11908
; %bb.11901:                            ;   in Loop: Header=BB6_11719 Depth=2
	v_mov_b32_e32 v113, 0
	s_mov_b32 s26, exec_lo
	v_cmpx_ne_u32_e32 0, v114
	s_cbranch_execz .LBB6_11907
; %bb.11902:                            ;   in Loop: Header=BB6_11719 Depth=2
	v_bfe_u32 v113, v114, 23, 8
	s_delay_alu instid0(VALU_DEP_1) | instskip(SKIP_1) | instid1(VALU_DEP_2)
	v_sub_nc_u32_e32 v116, 0x78, v113
	v_cmp_gt_u32_e32 vcc_lo, 0x79, v113
	v_dual_cndmask_b32 v116, 0, v116 :: v_dual_and_b32 v115, 0x7fffff, v114
	s_delay_alu instid0(VALU_DEP_1) | instskip(SKIP_2) | instid1(VALU_DEP_4)
	v_or_b32_e32 v117, 0x800000, v115
	v_cmp_eq_u32_e32 vcc_lo, 0, v113
	v_add_nc_u32_e32 v113, 0xffffff89, v113
	v_cndmask_b32_e64 v116, v116, 0x77, vcc_lo
	s_delay_alu instid0(VALU_DEP_2) | instskip(SKIP_1) | instid1(VALU_DEP_3)
	v_cndmask_b32_e64 v113, v113, 0xffffff8a, vcc_lo
	v_cndmask_b32_e32 v115, v117, v115, vcc_lo
	v_lshl_add_u32 v117, 0x100000, v116, -1
	v_lshlrev_b32_e64 v128, v116, 0x80000
	s_delay_alu instid0(VALU_DEP_3) | instskip(SKIP_1) | instid1(VALU_DEP_4)
	v_lshrrev_b32_e32 v118, v116, v115
	v_add_nc_u32_e32 v116, v116, v113
	v_and_b32_e32 v115, v117, v115
	s_delay_alu instid0(VALU_DEP_3) | instskip(NEXT) | instid1(VALU_DEP_2)
	v_bfe_u32 v119, v118, 20, 1
	v_cmp_eq_u32_e64 s11, v115, v128
	s_delay_alu instid0(VALU_DEP_2) | instskip(NEXT) | instid1(VALU_DEP_1)
	v_add_nc_u32_e32 v117, -1, v119
	v_cndmask_b32_e64 v115, 0, v117, s11
	v_lshrrev_b32_e32 v117, 23, v118
	s_mov_b32 s11, exec_lo
	s_delay_alu instid0(VALU_DEP_2) | instskip(NEXT) | instid1(VALU_DEP_2)
	v_add_nc_u32_e32 v115, v115, v118
	v_xor_b32_e32 v117, 1, v117
	s_delay_alu instid0(VALU_DEP_2) | instskip(NEXT) | instid1(VALU_DEP_1)
	v_and_b32_e32 v113, 0xfffff, v115
	v_add_nc_u32_e32 v115, v113, v118
                                        ; implicit-def: $vgpr113
	s_delay_alu instid0(VALU_DEP_3)
	v_cmpx_ne_u32_e64 v116, v117
	s_xor_b32 s11, exec_lo, s11
; %bb.11903:                            ;   in Loop: Header=BB6_11719 Depth=2
	s_delay_alu instid0(VALU_DEP_2) | instskip(SKIP_2) | instid1(VALU_DEP_2)
	v_cmp_lt_u32_e32 vcc_lo, 0xffffff, v115
	v_sub_nc_u32_e32 v113, v116, v117
	v_cndmask_b32_e64 v116, 0, 1, vcc_lo
	v_add_co_ci_u32_e32 v113, vcc_lo, 0, v113, vcc_lo
	s_delay_alu instid0(VALU_DEP_2)
	v_lshrrev_b32_e32 v115, v116, v115
; %bb.11904:                            ;   in Loop: Header=BB6_11719 Depth=2
	s_and_not1_saveexec_b32 s11, s11
; %bb.11905:                            ;   in Loop: Header=BB6_11719 Depth=2
	s_delay_alu instid0(VALU_DEP_1)
	v_bfe_u32 v113, v115, 23, 1
; %bb.11906:                            ;   in Loop: Header=BB6_11719 Depth=2
	s_or_b32 exec_lo, exec_lo, s11
	v_lshrrev_b32_e32 v115, 20, v115
	s_delay_alu instid0(VALU_DEP_2) | instskip(SKIP_2) | instid1(VALU_DEP_2)
	v_cmp_gt_i32_e32 vcc_lo, 16, v113
	v_min_i32_e32 v116, 15, v113
	v_lshrrev_b32_e32 v114, 24, v114
	v_dual_cndmask_b32 v115, 7, v115 :: v_dual_lshlrev_b32 v116, 3, v116
	s_delay_alu instid0(VALU_DEP_2) | instskip(NEXT) | instid1(VALU_DEP_2)
	v_and_b32_e32 v114, 0x80, v114
	v_or_b32_e32 v113, v113, v115
	v_and_b32_e32 v117, 7, v115
	s_delay_alu instid0(VALU_DEP_2) | instskip(SKIP_1) | instid1(VALU_DEP_1)
	v_cmp_ne_u32_e32 vcc_lo, 0, v113
	v_and_b32_e32 v116, 0xf8, v116
	v_or3_b32 v114, v116, v114, v117
	s_delay_alu instid0(VALU_DEP_1)
	v_cndmask_b32_e32 v113, 0, v114, vcc_lo
.LBB6_11907:                            ;   in Loop: Header=BB6_11719 Depth=2
	s_or_b32 exec_lo, exec_lo, s26
.LBB6_11908:                            ;   in Loop: Header=BB6_11719 Depth=2
	s_delay_alu instid0(SALU_CYCLE_1) | instskip(SKIP_3) | instid1(VALU_DEP_1)
	s_or_b32 exec_lo, exec_lo, s25
	v_lshrrev_b32_e32 v114, 24, v13
	s_mov_b32 s11, 0
	s_mov_b32 s26, exec_lo
                                        ; implicit-def: $sgpr25
	v_cmpx_lt_i16_e32 0x7f, v114
	s_xor_b32 s26, exec_lo, s26
	s_cbranch_execnz .LBB6_11978
; %bb.11909:                            ;   in Loop: Header=BB6_11719 Depth=2
	s_or_saveexec_b32 s26, s26
	v_mov_b32_e32 v115, s25
	s_xor_b32 exec_lo, exec_lo, s26
	s_cbranch_execnz .LBB6_11981
.LBB6_11910:                            ;   in Loop: Header=BB6_11719 Depth=2
	s_or_b32 exec_lo, exec_lo, s26
	s_and_saveexec_b32 s25, s11
	s_cbranch_execz .LBB6_11912
.LBB6_11911:                            ;   in Loop: Header=BB6_11719 Depth=2
	v_bfe_u32 v115, v13, 24, 3
	s_delay_alu instid0(VALU_DEP_1) | instskip(NEXT) | instid1(VALU_DEP_1)
	v_clz_i32_u32_e32 v116, v115
	v_min_u32_e32 v116, 32, v116
	s_delay_alu instid0(VALU_DEP_1) | instskip(SKIP_1) | instid1(VALU_DEP_2)
	v_subrev_nc_u32_e32 v117, 28, v116
	v_sub_nc_u32_e32 v116, 29, v116
	v_lshlrev_b32_e32 v114, v117, v114
	v_bfe_u32 v117, v13, 27, 4
	v_and_b32_e32 v13, 0x80000000, v13
	s_delay_alu instid0(VALU_DEP_3) | instskip(NEXT) | instid1(VALU_DEP_3)
	v_and_b32_e32 v114, 7, v114
	v_cmp_eq_u32_e32 vcc_lo, 0, v117
	v_cndmask_b32_e32 v116, v117, v116, vcc_lo
	s_delay_alu instid0(VALU_DEP_3) | instskip(NEXT) | instid1(VALU_DEP_2)
	v_cndmask_b32_e32 v114, v115, v114, vcc_lo
	v_lshl_add_u32 v115, v116, 23, 0x3b800000
	s_delay_alu instid0(VALU_DEP_2) | instskip(NEXT) | instid1(VALU_DEP_1)
	v_lshlrev_b32_e32 v114, 20, v114
	v_or3_b32 v115, v13, v115, v114
.LBB6_11912:                            ;   in Loop: Header=BB6_11719 Depth=2
	s_or_b32 exec_lo, exec_lo, s25
	s_delay_alu instid0(VALU_DEP_1) | instskip(NEXT) | instid1(VALU_DEP_1)
	v_mul_f32_e32 v13, s24, v115
	v_and_b32_e32 v114, 0x7f800000, v13
	s_delay_alu instid0(VALU_DEP_1)
	v_cmp_ne_u32_e32 vcc_lo, 0x7f800000, v114
	v_mov_b32_e32 v114, 0x8000
	s_and_saveexec_b32 s24, vcc_lo
	s_cbranch_execz .LBB6_11718
; %bb.11913:                            ;   in Loop: Header=BB6_11719 Depth=2
	v_mov_b32_e32 v114, 0
	s_mov_b32 s25, exec_lo
	v_cmpx_ne_u32_e32 0, v13
	s_cbranch_execz .LBB6_11717
; %bb.11914:                            ;   in Loop: Header=BB6_11719 Depth=2
	v_bfe_u32 v114, v13, 23, 8
	s_delay_alu instid0(VALU_DEP_1) | instskip(SKIP_1) | instid1(VALU_DEP_2)
	v_sub_nc_u32_e32 v116, 0x78, v114
	v_cmp_gt_u32_e32 vcc_lo, 0x79, v114
	v_dual_cndmask_b32 v116, 0, v116 :: v_dual_and_b32 v115, 0x7fffff, v13
	s_delay_alu instid0(VALU_DEP_1) | instskip(SKIP_2) | instid1(VALU_DEP_4)
	v_or_b32_e32 v117, 0x800000, v115
	v_cmp_eq_u32_e32 vcc_lo, 0, v114
	v_add_nc_u32_e32 v114, 0xffffff89, v114
	v_cndmask_b32_e64 v116, v116, 0x77, vcc_lo
	s_delay_alu instid0(VALU_DEP_4) | instskip(NEXT) | instid1(VALU_DEP_3)
	v_cndmask_b32_e32 v115, v117, v115, vcc_lo
	v_cndmask_b32_e64 v114, v114, 0xffffff8a, vcc_lo
	s_delay_alu instid0(VALU_DEP_3) | instskip(NEXT) | instid1(VALU_DEP_3)
	v_lshl_add_u32 v117, 0x100000, v116, -1
	v_lshrrev_b32_e32 v118, v116, v115
	v_lshlrev_b32_e64 v128, v116, 0x80000
	s_delay_alu instid0(VALU_DEP_4) | instskip(NEXT) | instid1(VALU_DEP_4)
	v_add_nc_u32_e32 v116, v116, v114
	v_and_b32_e32 v115, v117, v115
	s_delay_alu instid0(VALU_DEP_4) | instskip(NEXT) | instid1(VALU_DEP_2)
	v_bfe_u32 v119, v118, 20, 1
	v_cmp_eq_u32_e64 s11, v115, v128
	s_delay_alu instid0(VALU_DEP_2) | instskip(NEXT) | instid1(VALU_DEP_1)
	v_add_nc_u32_e32 v117, -1, v119
	v_cndmask_b32_e64 v115, 0, v117, s11
	v_lshrrev_b32_e32 v117, 23, v118
	s_mov_b32 s11, exec_lo
	s_delay_alu instid0(VALU_DEP_2) | instskip(NEXT) | instid1(VALU_DEP_2)
	v_add_nc_u32_e32 v115, v115, v118
	v_xor_b32_e32 v117, 1, v117
	s_delay_alu instid0(VALU_DEP_2) | instskip(NEXT) | instid1(VALU_DEP_1)
	v_and_b32_e32 v114, 0xfffff, v115
	v_add_nc_u32_e32 v115, v114, v118
                                        ; implicit-def: $vgpr114
	s_delay_alu instid0(VALU_DEP_3)
	v_cmpx_ne_u32_e64 v116, v117
	s_xor_b32 s11, exec_lo, s11
; %bb.11915:                            ;   in Loop: Header=BB6_11719 Depth=2
	s_delay_alu instid0(VALU_DEP_2) | instskip(SKIP_2) | instid1(VALU_DEP_2)
	v_cmp_lt_u32_e32 vcc_lo, 0xffffff, v115
	v_sub_nc_u32_e32 v114, v116, v117
	v_cndmask_b32_e64 v116, 0, 1, vcc_lo
	v_add_co_ci_u32_e32 v114, vcc_lo, 0, v114, vcc_lo
	s_delay_alu instid0(VALU_DEP_2)
	v_lshrrev_b32_e32 v115, v116, v115
; %bb.11916:                            ;   in Loop: Header=BB6_11719 Depth=2
	s_and_not1_saveexec_b32 s11, s11
	s_cbranch_execz .LBB6_11716
; %bb.11917:                            ;   in Loop: Header=BB6_11719 Depth=2
	s_delay_alu instid0(VALU_DEP_1)
	v_bfe_u32 v114, v115, 23, 1
	s_branch .LBB6_11716
.LBB6_11918:                            ;   in Loop: Header=BB6_11719 Depth=2
	s_mov_b32 s11, -1
	s_mov_b32 s27, exec_lo
                                        ; implicit-def: $sgpr25
	v_cmpx_eq_u16_e32 0x80, v82
; %bb.11919:                            ;   in Loop: Header=BB6_11719 Depth=2
	s_mov_b32 s25, 0x7f800001
	s_xor_b32 s11, exec_lo, -1
; %bb.11920:                            ;   in Loop: Header=BB6_11719 Depth=2
	s_or_b32 exec_lo, exec_lo, s27
	s_delay_alu instid0(SALU_CYCLE_1)
	s_and_b32 s11, s11, exec_lo
                                        ; implicit-def: $vgpr82
	s_or_saveexec_b32 s26, s26
	v_mov_b32_e32 v66, s25
	s_xor_b32 exec_lo, exec_lo, s26
	s_cbranch_execz .LBB6_11730
.LBB6_11921:                            ;   in Loop: Header=BB6_11719 Depth=2
	v_cmp_ne_u16_e32 vcc_lo, 0, v82
	v_mov_b32_e32 v66, 0
	s_and_not1_b32 s11, s11, exec_lo
	s_and_b32 s25, vcc_lo, exec_lo
	s_delay_alu instid0(SALU_CYCLE_1)
	s_or_b32 s11, s11, s25
	s_or_b32 exec_lo, exec_lo, s26
	s_and_saveexec_b32 s25, s11
	s_cbranch_execnz .LBB6_11731
	s_branch .LBB6_11732
.LBB6_11922:                            ;   in Loop: Header=BB6_11719 Depth=2
	s_mov_b32 s11, -1
	s_mov_b32 s27, exec_lo
                                        ; implicit-def: $sgpr25
	v_cmpx_eq_u16_e32 0x80, v66
; %bb.11923:                            ;   in Loop: Header=BB6_11719 Depth=2
	s_mov_b32 s25, 0x7f800001
	s_xor_b32 s11, exec_lo, -1
; %bb.11924:                            ;   in Loop: Header=BB6_11719 Depth=2
	s_or_b32 exec_lo, exec_lo, s27
	s_delay_alu instid0(SALU_CYCLE_1)
	s_and_b32 s11, s11, exec_lo
	s_or_saveexec_b32 s26, s26
	v_mov_b32_e32 v82, s25
	s_xor_b32 exec_lo, exec_lo, s26
	s_cbranch_execz .LBB6_11742
.LBB6_11925:                            ;   in Loop: Header=BB6_11719 Depth=2
	v_cmp_ne_u16_e32 vcc_lo, 0, v66
	v_mov_b32_e32 v82, 0
	s_and_not1_b32 s11, s11, exec_lo
	s_and_b32 s25, vcc_lo, exec_lo
	s_delay_alu instid0(SALU_CYCLE_1)
	s_or_b32 s11, s11, s25
	s_or_b32 exec_lo, exec_lo, s26
	s_and_saveexec_b32 s25, s11
	s_cbranch_execnz .LBB6_11743
	s_branch .LBB6_11744
.LBB6_11926:                            ;   in Loop: Header=BB6_11719 Depth=2
	s_mov_b32 s11, -1
	s_mov_b32 s27, exec_lo
                                        ; implicit-def: $sgpr25
	v_cmpx_eq_u16_e32 0x80, v83
; %bb.11927:                            ;   in Loop: Header=BB6_11719 Depth=2
	s_mov_b32 s25, 0x7f800001
	s_xor_b32 s11, exec_lo, -1
; %bb.11928:                            ;   in Loop: Header=BB6_11719 Depth=2
	s_or_b32 exec_lo, exec_lo, s27
	s_delay_alu instid0(SALU_CYCLE_1)
	s_and_b32 s11, s11, exec_lo
                                        ; implicit-def: $vgpr83
	s_or_saveexec_b32 s26, s26
	v_mov_b32_e32 v82, s25
	s_xor_b32 exec_lo, exec_lo, s26
	s_cbranch_execz .LBB6_11754
.LBB6_11929:                            ;   in Loop: Header=BB6_11719 Depth=2
	v_cmp_ne_u16_e32 vcc_lo, 0, v83
	v_mov_b32_e32 v82, 0
	s_and_not1_b32 s11, s11, exec_lo
	s_and_b32 s25, vcc_lo, exec_lo
	s_delay_alu instid0(SALU_CYCLE_1)
	s_or_b32 s11, s11, s25
	s_or_b32 exec_lo, exec_lo, s26
	s_and_saveexec_b32 s25, s11
	s_cbranch_execnz .LBB6_11755
	s_branch .LBB6_11756
.LBB6_11930:                            ;   in Loop: Header=BB6_11719 Depth=2
	s_mov_b32 s11, -1
	s_mov_b32 s27, exec_lo
                                        ; implicit-def: $sgpr25
	v_cmpx_eq_u16_e32 0x80, v66
; %bb.11931:                            ;   in Loop: Header=BB6_11719 Depth=2
	s_mov_b32 s25, 0x7f800001
	s_xor_b32 s11, exec_lo, -1
; %bb.11932:                            ;   in Loop: Header=BB6_11719 Depth=2
	s_or_b32 exec_lo, exec_lo, s27
	s_delay_alu instid0(SALU_CYCLE_1)
	s_and_b32 s11, s11, exec_lo
	s_or_saveexec_b32 s26, s26
	v_mov_b32_e32 v82, s25
	s_xor_b32 exec_lo, exec_lo, s26
	s_cbranch_execz .LBB6_11766
.LBB6_11933:                            ;   in Loop: Header=BB6_11719 Depth=2
	v_cmp_ne_u16_e32 vcc_lo, 0, v66
	v_mov_b32_e32 v82, 0
	s_and_not1_b32 s11, s11, exec_lo
	s_and_b32 s25, vcc_lo, exec_lo
	s_delay_alu instid0(SALU_CYCLE_1)
	s_or_b32 s11, s11, s25
	s_or_b32 exec_lo, exec_lo, s26
	s_and_saveexec_b32 s25, s11
	s_cbranch_execnz .LBB6_11767
	s_branch .LBB6_11768
.LBB6_11934:                            ;   in Loop: Header=BB6_11719 Depth=2
	s_mov_b32 s11, -1
	s_mov_b32 s27, exec_lo
                                        ; implicit-def: $sgpr25
	v_cmpx_eq_u16_e32 0x80, v82
; %bb.11935:                            ;   in Loop: Header=BB6_11719 Depth=2
	s_mov_b32 s25, 0x7f800001
	s_xor_b32 s11, exec_lo, -1
; %bb.11936:                            ;   in Loop: Header=BB6_11719 Depth=2
	s_or_b32 exec_lo, exec_lo, s27
	s_delay_alu instid0(SALU_CYCLE_1)
	s_and_b32 s11, s11, exec_lo
                                        ; implicit-def: $vgpr82
	s_or_saveexec_b32 s26, s26
	v_mov_b32_e32 v66, s25
	s_xor_b32 exec_lo, exec_lo, s26
	s_cbranch_execz .LBB6_11778
.LBB6_11937:                            ;   in Loop: Header=BB6_11719 Depth=2
	v_cmp_ne_u16_e32 vcc_lo, 0, v82
	v_mov_b32_e32 v66, 0
	s_and_not1_b32 s11, s11, exec_lo
	s_and_b32 s25, vcc_lo, exec_lo
	s_delay_alu instid0(SALU_CYCLE_1)
	s_or_b32 s11, s11, s25
	s_or_b32 exec_lo, exec_lo, s26
	s_and_saveexec_b32 s25, s11
	s_cbranch_execnz .LBB6_11779
	s_branch .LBB6_11780
.LBB6_11938:                            ;   in Loop: Header=BB6_11719 Depth=2
	s_mov_b32 s11, -1
	s_mov_b32 s27, exec_lo
                                        ; implicit-def: $sgpr25
	v_cmpx_eq_u16_e32 0x80, v66
; %bb.11939:                            ;   in Loop: Header=BB6_11719 Depth=2
	s_mov_b32 s25, 0x7f800001
	s_xor_b32 s11, exec_lo, -1
; %bb.11940:                            ;   in Loop: Header=BB6_11719 Depth=2
	s_or_b32 exec_lo, exec_lo, s27
	s_delay_alu instid0(SALU_CYCLE_1)
	s_and_b32 s11, s11, exec_lo
	s_or_saveexec_b32 s26, s26
	v_mov_b32_e32 v82, s25
	s_xor_b32 exec_lo, exec_lo, s26
	s_cbranch_execz .LBB6_11790
.LBB6_11941:                            ;   in Loop: Header=BB6_11719 Depth=2
	v_cmp_ne_u16_e32 vcc_lo, 0, v66
	v_mov_b32_e32 v82, 0
	s_and_not1_b32 s11, s11, exec_lo
	s_and_b32 s25, vcc_lo, exec_lo
	s_delay_alu instid0(SALU_CYCLE_1)
	s_or_b32 s11, s11, s25
	s_or_b32 exec_lo, exec_lo, s26
	s_and_saveexec_b32 s25, s11
	s_cbranch_execnz .LBB6_11791
	s_branch .LBB6_11792
.LBB6_11942:                            ;   in Loop: Header=BB6_11719 Depth=2
	s_mov_b32 s11, -1
	s_mov_b32 s27, exec_lo
                                        ; implicit-def: $sgpr25
	v_cmpx_eq_u16_e32 0x80, v83
; %bb.11943:                            ;   in Loop: Header=BB6_11719 Depth=2
	s_mov_b32 s25, 0x7f800001
	s_xor_b32 s11, exec_lo, -1
; %bb.11944:                            ;   in Loop: Header=BB6_11719 Depth=2
	s_or_b32 exec_lo, exec_lo, s27
	s_delay_alu instid0(SALU_CYCLE_1)
	s_and_b32 s11, s11, exec_lo
                                        ; implicit-def: $vgpr83
	s_or_saveexec_b32 s26, s26
	v_mov_b32_e32 v82, s25
	s_xor_b32 exec_lo, exec_lo, s26
	s_cbranch_execz .LBB6_11802
.LBB6_11945:                            ;   in Loop: Header=BB6_11719 Depth=2
	v_cmp_ne_u16_e32 vcc_lo, 0, v83
	v_mov_b32_e32 v82, 0
	s_and_not1_b32 s11, s11, exec_lo
	s_and_b32 s25, vcc_lo, exec_lo
	s_delay_alu instid0(SALU_CYCLE_1)
	s_or_b32 s11, s11, s25
	s_or_b32 exec_lo, exec_lo, s26
	s_and_saveexec_b32 s25, s11
	s_cbranch_execnz .LBB6_11803
	s_branch .LBB6_11804
.LBB6_11946:                            ;   in Loop: Header=BB6_11719 Depth=2
	s_mov_b32 s11, -1
	s_mov_b32 s27, exec_lo
                                        ; implicit-def: $sgpr25
	v_cmpx_eq_u16_e32 0x80, v66
; %bb.11947:                            ;   in Loop: Header=BB6_11719 Depth=2
	s_mov_b32 s25, 0x7f800001
	s_xor_b32 s11, exec_lo, -1
; %bb.11948:                            ;   in Loop: Header=BB6_11719 Depth=2
	s_or_b32 exec_lo, exec_lo, s27
	s_delay_alu instid0(SALU_CYCLE_1)
	s_and_b32 s11, s11, exec_lo
	s_or_saveexec_b32 s26, s26
	v_mov_b32_e32 v82, s25
	s_xor_b32 exec_lo, exec_lo, s26
	s_cbranch_execz .LBB6_11814
.LBB6_11949:                            ;   in Loop: Header=BB6_11719 Depth=2
	v_cmp_ne_u16_e32 vcc_lo, 0, v66
	v_mov_b32_e32 v82, 0
	s_and_not1_b32 s11, s11, exec_lo
	s_and_b32 s25, vcc_lo, exec_lo
	s_delay_alu instid0(SALU_CYCLE_1)
	s_or_b32 s11, s11, s25
	s_or_b32 exec_lo, exec_lo, s26
	s_and_saveexec_b32 s25, s11
	s_cbranch_execnz .LBB6_11815
	s_branch .LBB6_11816
.LBB6_11950:                            ;   in Loop: Header=BB6_11719 Depth=2
	s_mov_b32 s11, -1
	s_mov_b32 s27, exec_lo
                                        ; implicit-def: $sgpr25
	v_cmpx_eq_u16_e32 0x80, v82
; %bb.11951:                            ;   in Loop: Header=BB6_11719 Depth=2
	s_mov_b32 s25, 0x7f800001
	s_xor_b32 s11, exec_lo, -1
; %bb.11952:                            ;   in Loop: Header=BB6_11719 Depth=2
	s_or_b32 exec_lo, exec_lo, s27
	s_delay_alu instid0(SALU_CYCLE_1)
	s_and_b32 s11, s11, exec_lo
                                        ; implicit-def: $vgpr82
	s_or_saveexec_b32 s26, s26
	v_mov_b32_e32 v66, s25
	s_xor_b32 exec_lo, exec_lo, s26
	s_cbranch_execz .LBB6_11826
.LBB6_11953:                            ;   in Loop: Header=BB6_11719 Depth=2
	v_cmp_ne_u16_e32 vcc_lo, 0, v82
	v_mov_b32_e32 v66, 0
	s_and_not1_b32 s11, s11, exec_lo
	s_and_b32 s25, vcc_lo, exec_lo
	s_delay_alu instid0(SALU_CYCLE_1)
	s_or_b32 s11, s11, s25
	s_or_b32 exec_lo, exec_lo, s26
	s_and_saveexec_b32 s25, s11
	s_cbranch_execnz .LBB6_11827
	s_branch .LBB6_11828
.LBB6_11954:                            ;   in Loop: Header=BB6_11719 Depth=2
	s_mov_b32 s11, -1
	s_mov_b32 s27, exec_lo
                                        ; implicit-def: $sgpr25
	v_cmpx_eq_u16_e32 0x80, v82
; %bb.11955:                            ;   in Loop: Header=BB6_11719 Depth=2
	s_mov_b32 s25, 0x7f800001
	s_xor_b32 s11, exec_lo, -1
; %bb.11956:                            ;   in Loop: Header=BB6_11719 Depth=2
	s_or_b32 exec_lo, exec_lo, s27
	s_delay_alu instid0(SALU_CYCLE_1)
	s_and_b32 s11, s11, exec_lo
	s_or_saveexec_b32 s26, s26
	v_mov_b32_e32 v83, s25
	s_xor_b32 exec_lo, exec_lo, s26
	s_cbranch_execz .LBB6_11838
.LBB6_11957:                            ;   in Loop: Header=BB6_11719 Depth=2
	v_cmp_ne_u16_e32 vcc_lo, 0, v82
	v_mov_b32_e32 v83, 0
	s_and_not1_b32 s11, s11, exec_lo
	s_and_b32 s25, vcc_lo, exec_lo
	s_delay_alu instid0(SALU_CYCLE_1)
	s_or_b32 s11, s11, s25
	s_or_b32 exec_lo, exec_lo, s26
	s_and_saveexec_b32 s25, s11
	s_cbranch_execnz .LBB6_11839
	s_branch .LBB6_11840
.LBB6_11958:                            ;   in Loop: Header=BB6_11719 Depth=2
	s_mov_b32 s11, -1
	s_mov_b32 s27, exec_lo
                                        ; implicit-def: $sgpr25
	v_cmpx_eq_u16_e32 0x80, v112
; %bb.11959:                            ;   in Loop: Header=BB6_11719 Depth=2
	s_mov_b32 s25, 0x7f800001
	s_xor_b32 s11, exec_lo, -1
; %bb.11960:                            ;   in Loop: Header=BB6_11719 Depth=2
	s_or_b32 exec_lo, exec_lo, s27
	s_delay_alu instid0(SALU_CYCLE_1)
	s_and_b32 s11, s11, exec_lo
                                        ; implicit-def: $vgpr112
	s_or_saveexec_b32 s26, s26
	v_mov_b32_e32 v103, s25
	s_xor_b32 exec_lo, exec_lo, s26
	s_cbranch_execz .LBB6_11850
.LBB6_11961:                            ;   in Loop: Header=BB6_11719 Depth=2
	v_cmp_ne_u16_e32 vcc_lo, 0, v112
	v_mov_b32_e32 v103, 0
	s_and_not1_b32 s11, s11, exec_lo
	s_and_b32 s25, vcc_lo, exec_lo
	s_delay_alu instid0(SALU_CYCLE_1)
	s_or_b32 s11, s11, s25
	s_or_b32 exec_lo, exec_lo, s26
	s_and_saveexec_b32 s25, s11
	s_cbranch_execnz .LBB6_11851
	s_branch .LBB6_11852
.LBB6_11962:                            ;   in Loop: Header=BB6_11719 Depth=2
	s_mov_b32 s11, -1
	s_mov_b32 s27, exec_lo
                                        ; implicit-def: $sgpr25
	v_cmpx_eq_u16_e32 0x80, v103
; %bb.11963:                            ;   in Loop: Header=BB6_11719 Depth=2
	s_mov_b32 s25, 0x7f800001
	s_xor_b32 s11, exec_lo, -1
; %bb.11964:                            ;   in Loop: Header=BB6_11719 Depth=2
	s_or_b32 exec_lo, exec_lo, s27
	s_delay_alu instid0(SALU_CYCLE_1)
	s_and_b32 s11, s11, exec_lo
	s_or_saveexec_b32 s26, s26
	v_mov_b32_e32 v112, s25
	s_xor_b32 exec_lo, exec_lo, s26
	s_cbranch_execz .LBB6_11862
.LBB6_11965:                            ;   in Loop: Header=BB6_11719 Depth=2
	v_cmp_ne_u16_e32 vcc_lo, 0, v103
	v_mov_b32_e32 v112, 0
	s_and_not1_b32 s11, s11, exec_lo
	s_and_b32 s25, vcc_lo, exec_lo
	s_delay_alu instid0(SALU_CYCLE_1)
	s_or_b32 s11, s11, s25
	s_or_b32 exec_lo, exec_lo, s26
	s_and_saveexec_b32 s25, s11
	s_cbranch_execnz .LBB6_11863
	s_branch .LBB6_11864
.LBB6_11966:                            ;   in Loop: Header=BB6_11719 Depth=2
	s_mov_b32 s11, -1
	s_mov_b32 s27, exec_lo
                                        ; implicit-def: $sgpr25
	v_cmpx_eq_u16_e32 0x80, v112
; %bb.11967:                            ;   in Loop: Header=BB6_11719 Depth=2
	s_mov_b32 s25, 0x7f800001
	s_xor_b32 s11, exec_lo, -1
; %bb.11968:                            ;   in Loop: Header=BB6_11719 Depth=2
	s_or_b32 exec_lo, exec_lo, s27
	s_delay_alu instid0(SALU_CYCLE_1)
	s_and_b32 s11, s11, exec_lo
                                        ; implicit-def: $vgpr112
	s_or_saveexec_b32 s26, s26
	v_mov_b32_e32 v103, s25
	s_xor_b32 exec_lo, exec_lo, s26
	s_cbranch_execz .LBB6_11874
.LBB6_11969:                            ;   in Loop: Header=BB6_11719 Depth=2
	v_cmp_ne_u16_e32 vcc_lo, 0, v112
	v_mov_b32_e32 v103, 0
	s_and_not1_b32 s11, s11, exec_lo
	s_and_b32 s25, vcc_lo, exec_lo
	s_delay_alu instid0(SALU_CYCLE_1)
	s_or_b32 s11, s11, s25
	s_or_b32 exec_lo, exec_lo, s26
	s_and_saveexec_b32 s25, s11
	s_cbranch_execnz .LBB6_11875
	s_branch .LBB6_11876
.LBB6_11970:                            ;   in Loop: Header=BB6_11719 Depth=2
	s_mov_b32 s11, -1
	s_mov_b32 s27, exec_lo
                                        ; implicit-def: $sgpr25
	v_cmpx_eq_u16_e32 0x80, v112
; %bb.11971:                            ;   in Loop: Header=BB6_11719 Depth=2
	s_mov_b32 s25, 0x7f800001
	s_xor_b32 s11, exec_lo, -1
; %bb.11972:                            ;   in Loop: Header=BB6_11719 Depth=2
	s_or_b32 exec_lo, exec_lo, s27
	s_delay_alu instid0(SALU_CYCLE_1)
	s_and_b32 s11, s11, exec_lo
	s_or_saveexec_b32 s26, s26
	v_mov_b32_e32 v113, s25
	s_xor_b32 exec_lo, exec_lo, s26
	s_cbranch_execz .LBB6_11886
.LBB6_11973:                            ;   in Loop: Header=BB6_11719 Depth=2
	v_cmp_ne_u16_e32 vcc_lo, 0, v112
	v_mov_b32_e32 v113, 0
	s_and_not1_b32 s11, s11, exec_lo
	s_and_b32 s25, vcc_lo, exec_lo
	s_delay_alu instid0(SALU_CYCLE_1)
	s_or_b32 s11, s11, s25
	s_or_b32 exec_lo, exec_lo, s26
	s_and_saveexec_b32 s25, s11
	s_cbranch_execnz .LBB6_11887
	s_branch .LBB6_11888
.LBB6_11974:                            ;   in Loop: Header=BB6_11719 Depth=2
	s_mov_b32 s11, -1
	s_mov_b32 s27, exec_lo
                                        ; implicit-def: $sgpr25
	v_cmpx_eq_u16_e32 0x80, v115
; %bb.11975:                            ;   in Loop: Header=BB6_11719 Depth=2
	s_mov_b32 s25, 0x7f800001
	s_xor_b32 s11, exec_lo, -1
; %bb.11976:                            ;   in Loop: Header=BB6_11719 Depth=2
	s_or_b32 exec_lo, exec_lo, s27
	s_delay_alu instid0(SALU_CYCLE_1)
	s_and_b32 s11, s11, exec_lo
                                        ; implicit-def: $vgpr115
	s_or_saveexec_b32 s26, s26
	v_mov_b32_e32 v114, s25
	s_xor_b32 exec_lo, exec_lo, s26
	s_cbranch_execz .LBB6_11898
.LBB6_11977:                            ;   in Loop: Header=BB6_11719 Depth=2
	v_cmp_ne_u16_e32 vcc_lo, 0, v115
	v_mov_b32_e32 v114, 0
	s_and_not1_b32 s11, s11, exec_lo
	s_and_b32 s25, vcc_lo, exec_lo
	s_delay_alu instid0(SALU_CYCLE_1)
	s_or_b32 s11, s11, s25
	s_or_b32 exec_lo, exec_lo, s26
	s_and_saveexec_b32 s25, s11
	s_cbranch_execnz .LBB6_11899
	s_branch .LBB6_11900
.LBB6_11978:                            ;   in Loop: Header=BB6_11719 Depth=2
	s_mov_b32 s11, -1
	s_mov_b32 s27, exec_lo
                                        ; implicit-def: $sgpr25
	v_cmpx_eq_u16_e32 0x80, v114
; %bb.11979:                            ;   in Loop: Header=BB6_11719 Depth=2
	s_mov_b32 s25, 0x7f800001
	s_xor_b32 s11, exec_lo, -1
; %bb.11980:                            ;   in Loop: Header=BB6_11719 Depth=2
	s_or_b32 exec_lo, exec_lo, s27
	s_delay_alu instid0(SALU_CYCLE_1)
	s_and_b32 s11, s11, exec_lo
	s_or_saveexec_b32 s26, s26
	v_mov_b32_e32 v115, s25
	s_xor_b32 exec_lo, exec_lo, s26
	s_cbranch_execz .LBB6_11910
.LBB6_11981:                            ;   in Loop: Header=BB6_11719 Depth=2
	v_cmp_ne_u16_e32 vcc_lo, 0, v114
	v_mov_b32_e32 v115, 0
	s_and_not1_b32 s11, s11, exec_lo
	s_and_b32 s25, vcc_lo, exec_lo
	s_delay_alu instid0(SALU_CYCLE_1)
	s_or_b32 s11, s11, s25
	s_or_b32 exec_lo, exec_lo, s26
	s_and_saveexec_b32 s25, s11
	s_cbranch_execnz .LBB6_11911
	s_branch .LBB6_11912
.LBB6_11982:                            ;   in Loop: Header=BB6_9570 Depth=1
	s_or_b32 exec_lo, exec_lo, s22
.LBB6_11983:                            ;   in Loop: Header=BB6_9570 Depth=1
	s_delay_alu instid0(SALU_CYCLE_1)
	s_or_b32 exec_lo, exec_lo, s21
	scratch_load_b32 v10, off, s33 offset:440 ; 4-byte Folded Reload
	v_mov_b32_e32 v22, 0
	s_mov_b32 s11, 0
	s_mov_b32 s21, exec_lo
                                        ; implicit-def: $vgpr23
                                        ; implicit-def: $vgpr12
	s_waitcnt vmcnt(0)
	v_and_b32_e32 v10, 15, v10
	s_delay_alu instid0(VALU_DEP_1) | instskip(NEXT) | instid1(VALU_DEP_1)
	v_cndmask_b32_e64 v21, v84, v10, s10
	v_cmpx_ne_u32_e32 0, v21
	s_cbranch_execz .LBB6_11985
; %bb.11984:                            ;   in Loop: Header=BB6_9570 Depth=1
	scratch_load_b32 v12, off, s33 offset:440 ; 4-byte Folded Reload
	v_cmp_lt_i32_e32 vcc_lo, 0, v85
	v_sub_nc_u32_e32 v10, v84, v10
	s_mov_b32 s11, exec_lo
	v_cndmask_b32_e32 v11, 0, v25, vcc_lo
	s_delay_alu instid0(VALU_DEP_2) | instskip(SKIP_2) | instid1(VALU_DEP_3)
	v_cndmask_b32_e64 v10, 0, v10, s10
	s_waitcnt vmcnt(0)
	v_and_b32_e32 v12, 0x3ffffe00, v12
	v_sub_nc_u32_e32 v11, v11, v85
	s_delay_alu instid0(VALU_DEP_2) | instskip(NEXT) | instid1(VALU_DEP_2)
	v_add_nc_u32_e32 v22, v10, v12
	v_lshl_add_u32 v23, v11, 5, v24
	s_delay_alu instid0(VALU_DEP_1) | instskip(NEXT) | instid1(VALU_DEP_1)
	v_ashrrev_i32_e32 v11, 31, v23
	v_lshrrev_b32_e32 v11, 27, v11
	s_delay_alu instid0(VALU_DEP_1) | instskip(NEXT) | instid1(VALU_DEP_1)
	v_add_nc_u32_e32 v11, v23, v11
	v_ashrrev_i32_e32 v12, 5, v11
.LBB6_11985:                            ;   in Loop: Header=BB6_9570 Depth=1
	s_or_b32 exec_lo, exec_lo, s21
	s_delay_alu instid0(SALU_CYCLE_1)
	s_and_b32 s10, s11, exec_lo
.LBB6_11986:                            ;   in Loop: Header=BB6_9570 Depth=1
	s_or_b32 exec_lo, exec_lo, s20
.LBB6_11987:                            ;   in Loop: Header=BB6_9570 Depth=1
	s_and_saveexec_b32 s11, s10
	s_cbranch_execz .LBB6_12546
; %bb.11988:                            ;   in Loop: Header=BB6_9570 Depth=1
	v_ashrrev_i32_e32 v10, 31, v21
	s_mov_b32 s20, exec_lo
	s_delay_alu instid0(VALU_DEP_1) | instskip(NEXT) | instid1(VALU_DEP_1)
	v_lshrrev_b32_e32 v10, 22, v10
	v_add_nc_u32_e32 v10, v21, v10
	s_delay_alu instid0(VALU_DEP_1) | instskip(NEXT) | instid1(VALU_DEP_1)
	v_ashrrev_i32_e32 v84, 10, v10
	v_sub_nc_u32_e32 v24, v84, v12
	s_delay_alu instid0(VALU_DEP_1)
	v_cmpx_lt_i32_e32 0, v24
	s_cbranch_execz .LBB6_12515
; %bb.11989:                            ;   in Loop: Header=BB6_9570 Depth=1
	s_cbranch_execnz .LBB6_12795
; %bb.11990:                            ;   in Loop: Header=BB6_9570 Depth=1
	v_ashrrev_i32_e32 v10, 31, v23
	v_lshlrev_b32_e32 v12, 10, v12
	s_mov_b32 s21, 0
	s_delay_alu instid0(VALU_DEP_2) | instskip(NEXT) | instid1(VALU_DEP_1)
	v_lshrrev_b32_e32 v10, 27, v10
	v_add_nc_u32_e32 v13, v23, v10
	ds_load_b64 v[10:11], v0
	v_and_b32_e32 v13, 0xffffffe0, v13
	s_delay_alu instid0(VALU_DEP_1) | instskip(NEXT) | instid1(VALU_DEP_1)
	v_sub_nc_u32_e32 v13, v23, v13
	v_add3_u32 v85, v22, v13, v12
	s_delay_alu instid0(VALU_DEP_1)
	v_ashrrev_i32_e32 v86, 31, v85
	s_waitcnt lgkmcnt(0)
	v_dual_mov_b32 v13, v11 :: v_dual_mov_b32 v12, v10
.LBB6_11991:                            ;   Parent Loop BB6_9570 Depth=1
                                        ; =>  This Inner Loop Header: Depth=2
	s_cbranch_execnz .LBB6_12799
; %bb.11992:                            ;   in Loop: Header=BB6_11991 Depth=2
	ds_load_b64 v[19:20], v0
	s_waitcnt lgkmcnt(0)
	v_and_b32_e32 v20, 0xff, v19
	v_readfirstlane_b32 s10, v19
	s_delay_alu instid0(VALU_DEP_2)
	v_cmp_gt_i16_e32 vcc_lo, 0x80, v20
	s_cbranch_vccnz .LBB6_11996
; %bb.11993:                            ;   in Loop: Header=BB6_11991 Depth=2
	v_cmp_eq_u16_e32 vcc_lo, 0x80, v20
	s_mov_b32 s22, -1
                                        ; implicit-def: $sgpr23
	s_cbranch_vccz .LBB6_11995
; %bb.11994:                            ;   in Loop: Header=BB6_11991 Depth=2
	s_mov_b32 s22, 0
	s_mov_b32 s23, 0x7f800001
.LBB6_11995:                            ;   in Loop: Header=BB6_11991 Depth=2
	s_mov_b32 s24, 0
	s_branch .LBB6_11997
.LBB6_11996:                            ;   in Loop: Header=BB6_11991 Depth=2
	s_mov_b32 s24, -1
	s_mov_b32 s22, 0
                                        ; implicit-def: $sgpr23
.LBB6_11997:                            ;   in Loop: Header=BB6_11991 Depth=2
	s_and_b32 vcc_lo, exec_lo, s24
	s_cbranch_vccz .LBB6_11999
; %bb.11998:                            ;   in Loop: Header=BB6_11991 Depth=2
	v_cmp_ne_u16_e64 s22, 0, v20
	s_mov_b32 s23, 0
.LBB6_11999:                            ;   in Loop: Header=BB6_11991 Depth=2
	s_delay_alu instid0(SALU_CYCLE_1) | instskip(NEXT) | instid1(VALU_DEP_2)
	v_mov_b32_e32 v87, s23
	s_and_not1_b32 vcc_lo, exec_lo, s22
	s_cbranch_vccnz .LBB6_12001
; %bb.12000:                            ;   in Loop: Header=BB6_11991 Depth=2
	s_and_b32 s22, s10, 7
	s_bfe_u32 s24, s10, 0x40003
	s_clz_i32_u32 s23, s22
	v_lshlrev_b32_e32 v19, 24, v19
	s_min_u32 s23, s23, 32
	s_delay_alu instid0(SALU_CYCLE_1)
	s_sub_i32 s25, s23, 28
	s_sub_i32 s23, 29, s23
	s_lshl_b32 s10, s10, s25
	v_and_b32_e32 v19, 0x80000000, v19
	s_and_b32 s10, s10, 7
	s_cmp_eq_u32 s24, 0
	s_cselect_b32 s23, s23, s24
	s_cselect_b32 s10, s10, s22
	s_lshl_b32 s22, s23, 23
	s_lshl_b32 s10, s10, 20
	s_add_i32 s22, s22, 0x3b800000
	s_delay_alu instid0(SALU_CYCLE_1) | instskip(NEXT) | instid1(VALU_DEP_1)
	v_or_b32_e32 v19, s22, v19
	v_or_b32_e32 v87, s10, v19
.LBB6_12001:                            ;   in Loop: Header=BB6_11991 Depth=2
	v_add_co_u32 v19, vcc_lo, v85, v12
	v_add_co_ci_u32_e32 v20, vcc_lo, v86, v13, vcc_lo
	s_mov_b32 s10, 0
	s_mov_b32 s23, exec_lo
                                        ; implicit-def: $sgpr22
	flat_load_u8 v66, v[19:20] slc dlc
	s_waitcnt vmcnt(0) lgkmcnt(0)
	v_cmpx_lt_i16_e32 0x7f, v66
	s_xor_b32 s23, exec_lo, s23
	s_cbranch_execnz .LBB6_12386
; %bb.12002:                            ;   in Loop: Header=BB6_11991 Depth=2
	s_or_saveexec_b32 s23, s23
	v_mov_b32_e32 v82, s22
	s_xor_b32 exec_lo, exec_lo, s23
	s_cbranch_execnz .LBB6_12389
.LBB6_12003:                            ;   in Loop: Header=BB6_11991 Depth=2
	s_or_b32 exec_lo, exec_lo, s23
	s_and_saveexec_b32 s22, s10
	s_cbranch_execz .LBB6_12005
.LBB6_12004:                            ;   in Loop: Header=BB6_11991 Depth=2
	v_and_b32_e32 v82, 0xffff, v66
	v_lshlrev_b32_e32 v66, 24, v66
	s_delay_alu instid0(VALU_DEP_2) | instskip(NEXT) | instid1(VALU_DEP_2)
	v_and_b32_e32 v83, 7, v82
	v_and_b32_e32 v66, 0x80000000, v66
	s_delay_alu instid0(VALU_DEP_2) | instskip(NEXT) | instid1(VALU_DEP_1)
	v_clz_i32_u32_e32 v96, v83
	v_min_u32_e32 v96, 32, v96
	s_delay_alu instid0(VALU_DEP_1) | instskip(SKIP_1) | instid1(VALU_DEP_2)
	v_subrev_nc_u32_e32 v97, 28, v96
	v_sub_nc_u32_e32 v96, 29, v96
	v_lshlrev_b32_e32 v97, v97, v82
	v_bfe_u32 v82, v82, 3, 4
	s_delay_alu instid0(VALU_DEP_2) | instskip(NEXT) | instid1(VALU_DEP_2)
	v_and_b32_e32 v97, 7, v97
	v_cmp_eq_u32_e32 vcc_lo, 0, v82
	s_delay_alu instid0(VALU_DEP_2) | instskip(NEXT) | instid1(VALU_DEP_1)
	v_dual_cndmask_b32 v82, v82, v96 :: v_dual_cndmask_b32 v83, v83, v97
	v_lshl_add_u32 v82, v82, 23, 0x3b800000
	s_delay_alu instid0(VALU_DEP_2) | instskip(NEXT) | instid1(VALU_DEP_1)
	v_lshlrev_b32_e32 v83, 20, v83
	v_or3_b32 v82, v66, v82, v83
.LBB6_12005:                            ;   in Loop: Header=BB6_11991 Depth=2
	s_or_b32 exec_lo, exec_lo, s22
	s_delay_alu instid0(VALU_DEP_1) | instskip(SKIP_2) | instid1(VALU_DEP_2)
	v_mul_f32_e32 v66, v87, v82
	v_mov_b32_e32 v96, 0x80
	s_mov_b32 s22, exec_lo
	v_and_b32_e32 v82, 0x7f800000, v66
	s_delay_alu instid0(VALU_DEP_1)
	v_cmpx_ne_u32_e32 0x7f800000, v82
	s_cbranch_execz .LBB6_12013
; %bb.12006:                            ;   in Loop: Header=BB6_11991 Depth=2
	v_mov_b32_e32 v96, 0
	s_mov_b32 s23, exec_lo
	v_cmpx_ne_u32_e32 0, v66
	s_cbranch_execz .LBB6_12012
; %bb.12007:                            ;   in Loop: Header=BB6_11991 Depth=2
	v_bfe_u32 v82, v66, 23, 8
	s_delay_alu instid0(VALU_DEP_1) | instskip(SKIP_1) | instid1(VALU_DEP_2)
	v_sub_nc_u32_e32 v96, 0x78, v82
	v_cmp_gt_u32_e32 vcc_lo, 0x79, v82
	v_dual_cndmask_b32 v96, 0, v96 :: v_dual_and_b32 v83, 0x7fffff, v66
	s_delay_alu instid0(VALU_DEP_1) | instskip(SKIP_2) | instid1(VALU_DEP_4)
	v_or_b32_e32 v97, 0x800000, v83
	v_cmp_eq_u32_e32 vcc_lo, 0, v82
	v_add_nc_u32_e32 v82, 0xffffff89, v82
	v_cndmask_b32_e64 v96, v96, 0x77, vcc_lo
	s_delay_alu instid0(VALU_DEP_4) | instskip(NEXT) | instid1(VALU_DEP_3)
	v_cndmask_b32_e32 v83, v97, v83, vcc_lo
	v_cndmask_b32_e64 v82, v82, 0xffffff8a, vcc_lo
	s_delay_alu instid0(VALU_DEP_3) | instskip(NEXT) | instid1(VALU_DEP_3)
	v_lshl_add_u32 v97, 0x100000, v96, -1
	v_lshrrev_b32_e32 v98, v96, v83
	v_lshlrev_b32_e64 v100, v96, 0x80000
	s_delay_alu instid0(VALU_DEP_4) | instskip(NEXT) | instid1(VALU_DEP_4)
	v_add_nc_u32_e32 v96, v96, v82
	v_and_b32_e32 v83, v97, v83
	s_delay_alu instid0(VALU_DEP_4) | instskip(NEXT) | instid1(VALU_DEP_2)
	v_bfe_u32 v99, v98, 20, 1
	v_cmp_eq_u32_e64 s10, v83, v100
	s_delay_alu instid0(VALU_DEP_2) | instskip(NEXT) | instid1(VALU_DEP_1)
	v_add_nc_u32_e32 v97, -1, v99
	v_cndmask_b32_e64 v83, 0, v97, s10
	v_lshrrev_b32_e32 v97, 23, v98
	s_mov_b32 s10, exec_lo
	s_delay_alu instid0(VALU_DEP_2) | instskip(NEXT) | instid1(VALU_DEP_2)
	v_add_nc_u32_e32 v83, v83, v98
	v_xor_b32_e32 v97, 1, v97
	s_delay_alu instid0(VALU_DEP_2) | instskip(NEXT) | instid1(VALU_DEP_1)
	v_and_b32_e32 v82, 0xfffff, v83
	v_add_nc_u32_e32 v83, v82, v98
                                        ; implicit-def: $vgpr82
	s_delay_alu instid0(VALU_DEP_3)
	v_cmpx_ne_u32_e64 v96, v97
	s_xor_b32 s10, exec_lo, s10
; %bb.12008:                            ;   in Loop: Header=BB6_11991 Depth=2
	s_delay_alu instid0(VALU_DEP_2) | instskip(SKIP_2) | instid1(VALU_DEP_2)
	v_cmp_lt_u32_e32 vcc_lo, 0xffffff, v83
	v_sub_nc_u32_e32 v82, v96, v97
	v_cndmask_b32_e64 v96, 0, 1, vcc_lo
	v_add_co_ci_u32_e32 v82, vcc_lo, 0, v82, vcc_lo
	s_delay_alu instid0(VALU_DEP_2)
	v_lshrrev_b32_e32 v83, v96, v83
; %bb.12009:                            ;   in Loop: Header=BB6_11991 Depth=2
	s_and_not1_saveexec_b32 s10, s10
; %bb.12010:                            ;   in Loop: Header=BB6_11991 Depth=2
	s_delay_alu instid0(VALU_DEP_1)
	v_bfe_u32 v82, v83, 23, 1
; %bb.12011:                            ;   in Loop: Header=BB6_11991 Depth=2
	s_or_b32 exec_lo, exec_lo, s10
	v_lshrrev_b32_e32 v83, 20, v83
	s_delay_alu instid0(VALU_DEP_2) | instskip(SKIP_2) | instid1(VALU_DEP_2)
	v_cmp_gt_i32_e32 vcc_lo, 16, v82
	v_lshrrev_b32_e32 v66, 24, v66
	v_min_i32_e32 v96, 15, v82
	v_dual_cndmask_b32 v83, 7, v83 :: v_dual_and_b32 v66, 0x80, v66
	s_delay_alu instid0(VALU_DEP_2) | instskip(NEXT) | instid1(VALU_DEP_2)
	v_lshlrev_b32_e32 v96, 3, v96
	v_or_b32_e32 v82, v82, v83
	s_delay_alu instid0(VALU_DEP_1) | instskip(SKIP_1) | instid1(VALU_DEP_1)
	v_cmp_ne_u32_e32 vcc_lo, 0, v82
	v_and_b32_e32 v97, 7, v83
	v_or3_b32 v66, v96, v66, v97
	s_delay_alu instid0(VALU_DEP_1)
	v_cndmask_b32_e32 v96, 0, v66, vcc_lo
.LBB6_12012:                            ;   in Loop: Header=BB6_11991 Depth=2
	s_or_b32 exec_lo, exec_lo, s23
.LBB6_12013:                            ;   in Loop: Header=BB6_11991 Depth=2
	s_delay_alu instid0(SALU_CYCLE_1)
	s_or_b32 exec_lo, exec_lo, s22
	flat_load_u8 v66, v[19:20] offset:32 slc dlc
	s_mov_b32 s10, 0
	s_mov_b32 s23, exec_lo
                                        ; implicit-def: $sgpr22
	s_waitcnt vmcnt(0) lgkmcnt(0)
	v_cmpx_lt_i16_e32 0x7f, v66
	s_xor_b32 s23, exec_lo, s23
	s_cbranch_execnz .LBB6_12390
; %bb.12014:                            ;   in Loop: Header=BB6_11991 Depth=2
	s_or_saveexec_b32 s23, s23
	v_mov_b32_e32 v82, s22
	s_xor_b32 exec_lo, exec_lo, s23
	s_cbranch_execnz .LBB6_12393
.LBB6_12015:                            ;   in Loop: Header=BB6_11991 Depth=2
	s_or_b32 exec_lo, exec_lo, s23
	s_and_saveexec_b32 s22, s10
	s_cbranch_execz .LBB6_12017
.LBB6_12016:                            ;   in Loop: Header=BB6_11991 Depth=2
	v_and_b32_e32 v82, 0xffff, v66
	v_lshlrev_b32_e32 v66, 24, v66
	s_delay_alu instid0(VALU_DEP_2) | instskip(NEXT) | instid1(VALU_DEP_2)
	v_and_b32_e32 v83, 7, v82
	v_and_b32_e32 v66, 0x80000000, v66
	s_delay_alu instid0(VALU_DEP_2) | instskip(NEXT) | instid1(VALU_DEP_1)
	v_clz_i32_u32_e32 v97, v83
	v_min_u32_e32 v97, 32, v97
	s_delay_alu instid0(VALU_DEP_1) | instskip(SKIP_1) | instid1(VALU_DEP_2)
	v_subrev_nc_u32_e32 v98, 28, v97
	v_sub_nc_u32_e32 v97, 29, v97
	v_lshlrev_b32_e32 v98, v98, v82
	v_bfe_u32 v82, v82, 3, 4
	s_delay_alu instid0(VALU_DEP_2) | instskip(NEXT) | instid1(VALU_DEP_2)
	v_and_b32_e32 v98, 7, v98
	v_cmp_eq_u32_e32 vcc_lo, 0, v82
	s_delay_alu instid0(VALU_DEP_2) | instskip(NEXT) | instid1(VALU_DEP_1)
	v_dual_cndmask_b32 v82, v82, v97 :: v_dual_cndmask_b32 v83, v83, v98
	v_lshl_add_u32 v82, v82, 23, 0x3b800000
	s_delay_alu instid0(VALU_DEP_2) | instskip(NEXT) | instid1(VALU_DEP_1)
	v_lshlrev_b32_e32 v83, 20, v83
	v_or3_b32 v82, v66, v82, v83
.LBB6_12017:                            ;   in Loop: Header=BB6_11991 Depth=2
	s_or_b32 exec_lo, exec_lo, s22
	s_delay_alu instid0(VALU_DEP_1) | instskip(SKIP_1) | instid1(VALU_DEP_1)
	v_dual_mul_f32 v66, v87, v82 :: v_dual_mov_b32 v97, 0x80
	s_mov_b32 s22, exec_lo
	v_and_b32_e32 v82, 0x7f800000, v66
	s_delay_alu instid0(VALU_DEP_1)
	v_cmpx_ne_u32_e32 0x7f800000, v82
	s_cbranch_execz .LBB6_12025
; %bb.12018:                            ;   in Loop: Header=BB6_11991 Depth=2
	v_mov_b32_e32 v97, 0
	s_mov_b32 s23, exec_lo
	v_cmpx_ne_u32_e32 0, v66
	s_cbranch_execz .LBB6_12024
; %bb.12019:                            ;   in Loop: Header=BB6_11991 Depth=2
	v_bfe_u32 v82, v66, 23, 8
	v_and_b32_e32 v83, 0x7fffff, v66
	s_delay_alu instid0(VALU_DEP_2) | instskip(SKIP_1) | instid1(VALU_DEP_3)
	v_sub_nc_u32_e32 v97, 0x78, v82
	v_cmp_gt_u32_e32 vcc_lo, 0x79, v82
	v_or_b32_e32 v98, 0x800000, v83
	s_delay_alu instid0(VALU_DEP_3) | instskip(SKIP_2) | instid1(VALU_DEP_3)
	v_cndmask_b32_e32 v97, 0, v97, vcc_lo
	v_cmp_eq_u32_e32 vcc_lo, 0, v82
	v_add_nc_u32_e32 v82, 0xffffff89, v82
	v_cndmask_b32_e64 v97, v97, 0x77, vcc_lo
	v_cndmask_b32_e32 v83, v98, v83, vcc_lo
	s_delay_alu instid0(VALU_DEP_3) | instskip(NEXT) | instid1(VALU_DEP_3)
	v_cndmask_b32_e64 v82, v82, 0xffffff8a, vcc_lo
	v_lshl_add_u32 v98, 0x100000, v97, -1
	s_delay_alu instid0(VALU_DEP_3) | instskip(SKIP_1) | instid1(VALU_DEP_4)
	v_lshrrev_b32_e32 v99, v97, v83
	v_lshlrev_b32_e64 v101, v97, 0x80000
	v_add_nc_u32_e32 v97, v97, v82
	s_delay_alu instid0(VALU_DEP_4) | instskip(NEXT) | instid1(VALU_DEP_4)
	v_and_b32_e32 v83, v98, v83
	v_bfe_u32 v100, v99, 20, 1
	s_delay_alu instid0(VALU_DEP_2) | instskip(NEXT) | instid1(VALU_DEP_2)
	v_cmp_eq_u32_e64 s10, v83, v101
	v_add_nc_u32_e32 v98, -1, v100
	s_delay_alu instid0(VALU_DEP_1) | instskip(SKIP_2) | instid1(VALU_DEP_2)
	v_cndmask_b32_e64 v83, 0, v98, s10
	v_lshrrev_b32_e32 v98, 23, v99
	s_mov_b32 s10, exec_lo
	v_add_nc_u32_e32 v83, v83, v99
	s_delay_alu instid0(VALU_DEP_2) | instskip(NEXT) | instid1(VALU_DEP_2)
	v_xor_b32_e32 v98, 1, v98
	v_and_b32_e32 v82, 0xfffff, v83
	s_delay_alu instid0(VALU_DEP_1) | instskip(NEXT) | instid1(VALU_DEP_3)
	v_add_nc_u32_e32 v83, v82, v99
                                        ; implicit-def: $vgpr82
	v_cmpx_ne_u32_e64 v97, v98
	s_xor_b32 s10, exec_lo, s10
; %bb.12020:                            ;   in Loop: Header=BB6_11991 Depth=2
	s_delay_alu instid0(VALU_DEP_2) | instskip(SKIP_2) | instid1(VALU_DEP_2)
	v_cmp_lt_u32_e32 vcc_lo, 0xffffff, v83
	v_sub_nc_u32_e32 v82, v97, v98
	v_cndmask_b32_e64 v97, 0, 1, vcc_lo
	v_add_co_ci_u32_e32 v82, vcc_lo, 0, v82, vcc_lo
	s_delay_alu instid0(VALU_DEP_2)
	v_lshrrev_b32_e32 v83, v97, v83
; %bb.12021:                            ;   in Loop: Header=BB6_11991 Depth=2
	s_and_not1_saveexec_b32 s10, s10
; %bb.12022:                            ;   in Loop: Header=BB6_11991 Depth=2
	s_delay_alu instid0(VALU_DEP_1)
	v_bfe_u32 v82, v83, 23, 1
; %bb.12023:                            ;   in Loop: Header=BB6_11991 Depth=2
	s_or_b32 exec_lo, exec_lo, s10
	v_lshrrev_b32_e32 v83, 20, v83
	s_delay_alu instid0(VALU_DEP_2) | instskip(SKIP_2) | instid1(VALU_DEP_2)
	v_cmp_gt_i32_e32 vcc_lo, 16, v82
	v_lshrrev_b32_e32 v66, 24, v66
	v_min_i32_e32 v97, 15, v82
	v_dual_cndmask_b32 v83, 7, v83 :: v_dual_and_b32 v66, 0x80, v66
	s_delay_alu instid0(VALU_DEP_2) | instskip(NEXT) | instid1(VALU_DEP_2)
	v_lshlrev_b32_e32 v97, 3, v97
	v_or_b32_e32 v82, v82, v83
	s_delay_alu instid0(VALU_DEP_1) | instskip(SKIP_1) | instid1(VALU_DEP_1)
	v_cmp_ne_u32_e32 vcc_lo, 0, v82
	v_and_b32_e32 v98, 7, v83
	v_or3_b32 v66, v97, v66, v98
	s_delay_alu instid0(VALU_DEP_1)
	v_cndmask_b32_e32 v97, 0, v66, vcc_lo
.LBB6_12024:                            ;   in Loop: Header=BB6_11991 Depth=2
	s_or_b32 exec_lo, exec_lo, s23
.LBB6_12025:                            ;   in Loop: Header=BB6_11991 Depth=2
	s_delay_alu instid0(SALU_CYCLE_1)
	s_or_b32 exec_lo, exec_lo, s22
	flat_load_u8 v66, v[19:20] offset:64 slc dlc
	s_mov_b32 s10, 0
	s_mov_b32 s23, exec_lo
                                        ; implicit-def: $sgpr22
	s_waitcnt vmcnt(0) lgkmcnt(0)
	v_cmpx_lt_i16_e32 0x7f, v66
	s_xor_b32 s23, exec_lo, s23
	s_cbranch_execnz .LBB6_12394
; %bb.12026:                            ;   in Loop: Header=BB6_11991 Depth=2
	s_or_saveexec_b32 s23, s23
	v_mov_b32_e32 v82, s22
	s_xor_b32 exec_lo, exec_lo, s23
	s_cbranch_execnz .LBB6_12397
.LBB6_12027:                            ;   in Loop: Header=BB6_11991 Depth=2
	s_or_b32 exec_lo, exec_lo, s23
	s_and_saveexec_b32 s22, s10
	s_cbranch_execz .LBB6_12029
.LBB6_12028:                            ;   in Loop: Header=BB6_11991 Depth=2
	v_and_b32_e32 v82, 0xffff, v66
	v_lshlrev_b32_e32 v66, 24, v66
	s_delay_alu instid0(VALU_DEP_2) | instskip(NEXT) | instid1(VALU_DEP_2)
	v_and_b32_e32 v83, 7, v82
	v_and_b32_e32 v66, 0x80000000, v66
	s_delay_alu instid0(VALU_DEP_2) | instskip(NEXT) | instid1(VALU_DEP_1)
	v_clz_i32_u32_e32 v98, v83
	v_min_u32_e32 v98, 32, v98
	s_delay_alu instid0(VALU_DEP_1) | instskip(SKIP_1) | instid1(VALU_DEP_2)
	v_subrev_nc_u32_e32 v99, 28, v98
	v_sub_nc_u32_e32 v98, 29, v98
	v_lshlrev_b32_e32 v99, v99, v82
	v_bfe_u32 v82, v82, 3, 4
	s_delay_alu instid0(VALU_DEP_1) | instskip(NEXT) | instid1(VALU_DEP_3)
	v_cmp_eq_u32_e32 vcc_lo, 0, v82
	v_dual_cndmask_b32 v82, v82, v98 :: v_dual_and_b32 v99, 7, v99
	s_delay_alu instid0(VALU_DEP_1) | instskip(NEXT) | instid1(VALU_DEP_2)
	v_cndmask_b32_e32 v83, v83, v99, vcc_lo
	v_lshl_add_u32 v82, v82, 23, 0x3b800000
	s_delay_alu instid0(VALU_DEP_2) | instskip(NEXT) | instid1(VALU_DEP_1)
	v_lshlrev_b32_e32 v83, 20, v83
	v_or3_b32 v82, v66, v82, v83
.LBB6_12029:                            ;   in Loop: Header=BB6_11991 Depth=2
	s_or_b32 exec_lo, exec_lo, s22
	s_delay_alu instid0(VALU_DEP_1) | instskip(SKIP_2) | instid1(VALU_DEP_2)
	v_mul_f32_e32 v66, v87, v82
	v_mov_b32_e32 v98, 0x80
	s_mov_b32 s22, exec_lo
	v_and_b32_e32 v82, 0x7f800000, v66
	s_delay_alu instid0(VALU_DEP_1)
	v_cmpx_ne_u32_e32 0x7f800000, v82
	s_cbranch_execz .LBB6_12037
; %bb.12030:                            ;   in Loop: Header=BB6_11991 Depth=2
	v_mov_b32_e32 v98, 0
	s_mov_b32 s23, exec_lo
	v_cmpx_ne_u32_e32 0, v66
	s_cbranch_execz .LBB6_12036
; %bb.12031:                            ;   in Loop: Header=BB6_11991 Depth=2
	v_bfe_u32 v82, v66, 23, 8
	v_and_b32_e32 v83, 0x7fffff, v66
	s_delay_alu instid0(VALU_DEP_2) | instskip(SKIP_1) | instid1(VALU_DEP_3)
	v_sub_nc_u32_e32 v98, 0x78, v82
	v_cmp_gt_u32_e32 vcc_lo, 0x79, v82
	v_or_b32_e32 v99, 0x800000, v83
	s_delay_alu instid0(VALU_DEP_3) | instskip(SKIP_1) | instid1(VALU_DEP_3)
	v_cndmask_b32_e32 v98, 0, v98, vcc_lo
	v_cmp_eq_u32_e32 vcc_lo, 0, v82
	v_dual_cndmask_b32 v83, v99, v83 :: v_dual_add_nc_u32 v82, 0xffffff89, v82
	s_delay_alu instid0(VALU_DEP_3) | instskip(NEXT) | instid1(VALU_DEP_2)
	v_cndmask_b32_e64 v98, v98, 0x77, vcc_lo
	v_cndmask_b32_e64 v82, v82, 0xffffff8a, vcc_lo
	s_delay_alu instid0(VALU_DEP_2) | instskip(SKIP_2) | instid1(VALU_DEP_4)
	v_lshrrev_b32_e32 v100, v98, v83
	v_lshl_add_u32 v99, 0x100000, v98, -1
	v_lshlrev_b32_e64 v102, v98, 0x80000
	v_add_nc_u32_e32 v98, v98, v82
	s_delay_alu instid0(VALU_DEP_4) | instskip(NEXT) | instid1(VALU_DEP_4)
	v_bfe_u32 v101, v100, 20, 1
	v_and_b32_e32 v83, v99, v83
	s_delay_alu instid0(VALU_DEP_2) | instskip(NEXT) | instid1(VALU_DEP_2)
	v_add_nc_u32_e32 v99, -1, v101
	v_cmp_eq_u32_e64 s10, v83, v102
	s_delay_alu instid0(VALU_DEP_1) | instskip(SKIP_2) | instid1(VALU_DEP_2)
	v_cndmask_b32_e64 v83, 0, v99, s10
	v_lshrrev_b32_e32 v99, 23, v100
	s_mov_b32 s10, exec_lo
	v_add_nc_u32_e32 v83, v83, v100
	s_delay_alu instid0(VALU_DEP_2) | instskip(NEXT) | instid1(VALU_DEP_2)
	v_xor_b32_e32 v99, 1, v99
	v_and_b32_e32 v82, 0xfffff, v83
	s_delay_alu instid0(VALU_DEP_1) | instskip(NEXT) | instid1(VALU_DEP_3)
	v_add_nc_u32_e32 v83, v82, v100
                                        ; implicit-def: $vgpr82
	v_cmpx_ne_u32_e64 v98, v99
	s_xor_b32 s10, exec_lo, s10
; %bb.12032:                            ;   in Loop: Header=BB6_11991 Depth=2
	s_delay_alu instid0(VALU_DEP_2) | instskip(SKIP_2) | instid1(VALU_DEP_2)
	v_cmp_lt_u32_e32 vcc_lo, 0xffffff, v83
	v_sub_nc_u32_e32 v82, v98, v99
	v_cndmask_b32_e64 v98, 0, 1, vcc_lo
	v_add_co_ci_u32_e32 v82, vcc_lo, 0, v82, vcc_lo
	s_delay_alu instid0(VALU_DEP_2)
	v_lshrrev_b32_e32 v83, v98, v83
; %bb.12033:                            ;   in Loop: Header=BB6_11991 Depth=2
	s_and_not1_saveexec_b32 s10, s10
; %bb.12034:                            ;   in Loop: Header=BB6_11991 Depth=2
	s_delay_alu instid0(VALU_DEP_1)
	v_bfe_u32 v82, v83, 23, 1
; %bb.12035:                            ;   in Loop: Header=BB6_11991 Depth=2
	s_or_b32 exec_lo, exec_lo, s10
	v_lshrrev_b32_e32 v83, 20, v83
	s_delay_alu instid0(VALU_DEP_2) | instskip(SKIP_2) | instid1(VALU_DEP_2)
	v_cmp_gt_i32_e32 vcc_lo, 16, v82
	v_lshrrev_b32_e32 v66, 24, v66
	v_min_i32_e32 v98, 15, v82
	v_dual_cndmask_b32 v83, 7, v83 :: v_dual_and_b32 v66, 0x80, v66
	s_delay_alu instid0(VALU_DEP_2) | instskip(NEXT) | instid1(VALU_DEP_2)
	v_lshlrev_b32_e32 v98, 3, v98
	v_or_b32_e32 v82, v82, v83
	s_delay_alu instid0(VALU_DEP_1) | instskip(SKIP_1) | instid1(VALU_DEP_1)
	v_cmp_ne_u32_e32 vcc_lo, 0, v82
	v_and_b32_e32 v99, 7, v83
	v_or3_b32 v66, v98, v66, v99
	s_delay_alu instid0(VALU_DEP_1)
	v_cndmask_b32_e32 v98, 0, v66, vcc_lo
.LBB6_12036:                            ;   in Loop: Header=BB6_11991 Depth=2
	s_or_b32 exec_lo, exec_lo, s23
.LBB6_12037:                            ;   in Loop: Header=BB6_11991 Depth=2
	s_delay_alu instid0(SALU_CYCLE_1)
	s_or_b32 exec_lo, exec_lo, s22
	flat_load_u8 v66, v[19:20] offset:96 slc dlc
	s_mov_b32 s10, 0
	s_mov_b32 s23, exec_lo
                                        ; implicit-def: $sgpr22
	s_waitcnt vmcnt(0) lgkmcnt(0)
	v_cmpx_lt_i16_e32 0x7f, v66
	s_xor_b32 s23, exec_lo, s23
	s_cbranch_execnz .LBB6_12398
; %bb.12038:                            ;   in Loop: Header=BB6_11991 Depth=2
	s_or_saveexec_b32 s23, s23
	v_mov_b32_e32 v82, s22
	s_xor_b32 exec_lo, exec_lo, s23
	s_cbranch_execnz .LBB6_12401
.LBB6_12039:                            ;   in Loop: Header=BB6_11991 Depth=2
	s_or_b32 exec_lo, exec_lo, s23
	s_and_saveexec_b32 s22, s10
	s_cbranch_execz .LBB6_12041
.LBB6_12040:                            ;   in Loop: Header=BB6_11991 Depth=2
	v_and_b32_e32 v82, 0xffff, v66
	v_lshlrev_b32_e32 v66, 24, v66
	s_delay_alu instid0(VALU_DEP_2) | instskip(NEXT) | instid1(VALU_DEP_2)
	v_and_b32_e32 v83, 7, v82
	v_and_b32_e32 v66, 0x80000000, v66
	s_delay_alu instid0(VALU_DEP_2) | instskip(NEXT) | instid1(VALU_DEP_1)
	v_clz_i32_u32_e32 v99, v83
	v_min_u32_e32 v99, 32, v99
	s_delay_alu instid0(VALU_DEP_1) | instskip(SKIP_1) | instid1(VALU_DEP_2)
	v_subrev_nc_u32_e32 v100, 28, v99
	v_sub_nc_u32_e32 v99, 29, v99
	v_lshlrev_b32_e32 v100, v100, v82
	v_bfe_u32 v82, v82, 3, 4
	s_delay_alu instid0(VALU_DEP_2) | instskip(NEXT) | instid1(VALU_DEP_2)
	v_and_b32_e32 v100, 7, v100
	v_cmp_eq_u32_e32 vcc_lo, 0, v82
	s_delay_alu instid0(VALU_DEP_2) | instskip(NEXT) | instid1(VALU_DEP_1)
	v_dual_cndmask_b32 v82, v82, v99 :: v_dual_cndmask_b32 v83, v83, v100
	v_lshl_add_u32 v82, v82, 23, 0x3b800000
	s_delay_alu instid0(VALU_DEP_2) | instskip(NEXT) | instid1(VALU_DEP_1)
	v_lshlrev_b32_e32 v83, 20, v83
	v_or3_b32 v82, v66, v82, v83
.LBB6_12041:                            ;   in Loop: Header=BB6_11991 Depth=2
	s_or_b32 exec_lo, exec_lo, s22
	s_delay_alu instid0(VALU_DEP_1) | instskip(SKIP_1) | instid1(VALU_DEP_1)
	v_dual_mul_f32 v66, v87, v82 :: v_dual_mov_b32 v99, 0x80
	s_mov_b32 s22, exec_lo
	v_and_b32_e32 v82, 0x7f800000, v66
	s_delay_alu instid0(VALU_DEP_1)
	v_cmpx_ne_u32_e32 0x7f800000, v82
	s_cbranch_execz .LBB6_12049
; %bb.12042:                            ;   in Loop: Header=BB6_11991 Depth=2
	v_mov_b32_e32 v99, 0
	s_mov_b32 s23, exec_lo
	v_cmpx_ne_u32_e32 0, v66
	s_cbranch_execz .LBB6_12048
; %bb.12043:                            ;   in Loop: Header=BB6_11991 Depth=2
	v_bfe_u32 v82, v66, 23, 8
	v_and_b32_e32 v83, 0x7fffff, v66
	s_delay_alu instid0(VALU_DEP_2) | instskip(SKIP_1) | instid1(VALU_DEP_3)
	v_sub_nc_u32_e32 v99, 0x78, v82
	v_cmp_gt_u32_e32 vcc_lo, 0x79, v82
	v_or_b32_e32 v100, 0x800000, v83
	s_delay_alu instid0(VALU_DEP_3) | instskip(SKIP_2) | instid1(VALU_DEP_3)
	v_cndmask_b32_e32 v99, 0, v99, vcc_lo
	v_cmp_eq_u32_e32 vcc_lo, 0, v82
	v_add_nc_u32_e32 v82, 0xffffff89, v82
	v_cndmask_b32_e64 v99, v99, 0x77, vcc_lo
	v_cndmask_b32_e32 v83, v100, v83, vcc_lo
	s_delay_alu instid0(VALU_DEP_3) | instskip(NEXT) | instid1(VALU_DEP_3)
	v_cndmask_b32_e64 v82, v82, 0xffffff8a, vcc_lo
	v_lshl_add_u32 v100, 0x100000, v99, -1
	s_delay_alu instid0(VALU_DEP_3) | instskip(SKIP_1) | instid1(VALU_DEP_4)
	v_lshrrev_b32_e32 v101, v99, v83
	v_lshlrev_b32_e64 v103, v99, 0x80000
	v_add_nc_u32_e32 v99, v99, v82
	s_delay_alu instid0(VALU_DEP_4) | instskip(NEXT) | instid1(VALU_DEP_4)
	v_and_b32_e32 v83, v100, v83
	v_bfe_u32 v102, v101, 20, 1
	s_delay_alu instid0(VALU_DEP_2) | instskip(NEXT) | instid1(VALU_DEP_2)
	v_cmp_eq_u32_e64 s10, v83, v103
	v_add_nc_u32_e32 v100, -1, v102
	s_delay_alu instid0(VALU_DEP_1) | instskip(SKIP_2) | instid1(VALU_DEP_2)
	v_cndmask_b32_e64 v83, 0, v100, s10
	v_lshrrev_b32_e32 v100, 23, v101
	s_mov_b32 s10, exec_lo
	v_add_nc_u32_e32 v83, v83, v101
	s_delay_alu instid0(VALU_DEP_2) | instskip(NEXT) | instid1(VALU_DEP_2)
	v_xor_b32_e32 v100, 1, v100
	v_and_b32_e32 v82, 0xfffff, v83
	s_delay_alu instid0(VALU_DEP_1) | instskip(NEXT) | instid1(VALU_DEP_3)
	v_add_nc_u32_e32 v83, v82, v101
                                        ; implicit-def: $vgpr82
	v_cmpx_ne_u32_e64 v99, v100
	s_xor_b32 s10, exec_lo, s10
; %bb.12044:                            ;   in Loop: Header=BB6_11991 Depth=2
	s_delay_alu instid0(VALU_DEP_2) | instskip(SKIP_2) | instid1(VALU_DEP_2)
	v_cmp_lt_u32_e32 vcc_lo, 0xffffff, v83
	v_sub_nc_u32_e32 v82, v99, v100
	v_cndmask_b32_e64 v99, 0, 1, vcc_lo
	v_add_co_ci_u32_e32 v82, vcc_lo, 0, v82, vcc_lo
	s_delay_alu instid0(VALU_DEP_2)
	v_lshrrev_b32_e32 v83, v99, v83
; %bb.12045:                            ;   in Loop: Header=BB6_11991 Depth=2
	s_and_not1_saveexec_b32 s10, s10
; %bb.12046:                            ;   in Loop: Header=BB6_11991 Depth=2
	s_delay_alu instid0(VALU_DEP_1)
	v_bfe_u32 v82, v83, 23, 1
; %bb.12047:                            ;   in Loop: Header=BB6_11991 Depth=2
	s_or_b32 exec_lo, exec_lo, s10
	v_lshrrev_b32_e32 v83, 20, v83
	s_delay_alu instid0(VALU_DEP_2) | instskip(SKIP_2) | instid1(VALU_DEP_2)
	v_cmp_gt_i32_e32 vcc_lo, 16, v82
	v_lshrrev_b32_e32 v66, 24, v66
	v_min_i32_e32 v99, 15, v82
	v_dual_cndmask_b32 v83, 7, v83 :: v_dual_and_b32 v66, 0x80, v66
	s_delay_alu instid0(VALU_DEP_2) | instskip(NEXT) | instid1(VALU_DEP_2)
	v_lshlrev_b32_e32 v99, 3, v99
	v_or_b32_e32 v82, v82, v83
	s_delay_alu instid0(VALU_DEP_1) | instskip(SKIP_1) | instid1(VALU_DEP_1)
	v_cmp_ne_u32_e32 vcc_lo, 0, v82
	v_and_b32_e32 v100, 7, v83
	v_or3_b32 v66, v99, v66, v100
	s_delay_alu instid0(VALU_DEP_1)
	v_cndmask_b32_e32 v99, 0, v66, vcc_lo
.LBB6_12048:                            ;   in Loop: Header=BB6_11991 Depth=2
	s_or_b32 exec_lo, exec_lo, s23
.LBB6_12049:                            ;   in Loop: Header=BB6_11991 Depth=2
	s_delay_alu instid0(SALU_CYCLE_1)
	s_or_b32 exec_lo, exec_lo, s22
	flat_load_u8 v66, v[19:20] offset:128 slc dlc
	s_mov_b32 s10, 0
	s_mov_b32 s23, exec_lo
                                        ; implicit-def: $sgpr22
	s_waitcnt vmcnt(0) lgkmcnt(0)
	v_cmpx_lt_i16_e32 0x7f, v66
	s_xor_b32 s23, exec_lo, s23
	s_cbranch_execnz .LBB6_12402
; %bb.12050:                            ;   in Loop: Header=BB6_11991 Depth=2
	s_or_saveexec_b32 s23, s23
	v_mov_b32_e32 v82, s22
	s_xor_b32 exec_lo, exec_lo, s23
	s_cbranch_execnz .LBB6_12405
.LBB6_12051:                            ;   in Loop: Header=BB6_11991 Depth=2
	s_or_b32 exec_lo, exec_lo, s23
	s_and_saveexec_b32 s22, s10
	s_cbranch_execz .LBB6_12053
.LBB6_12052:                            ;   in Loop: Header=BB6_11991 Depth=2
	v_and_b32_e32 v82, 0xffff, v66
	v_lshlrev_b32_e32 v66, 24, v66
	s_delay_alu instid0(VALU_DEP_2) | instskip(NEXT) | instid1(VALU_DEP_2)
	v_and_b32_e32 v83, 7, v82
	v_and_b32_e32 v66, 0x80000000, v66
	s_delay_alu instid0(VALU_DEP_2) | instskip(NEXT) | instid1(VALU_DEP_1)
	v_clz_i32_u32_e32 v100, v83
	v_min_u32_e32 v100, 32, v100
	s_delay_alu instid0(VALU_DEP_1) | instskip(SKIP_1) | instid1(VALU_DEP_2)
	v_subrev_nc_u32_e32 v101, 28, v100
	v_sub_nc_u32_e32 v100, 29, v100
	v_lshlrev_b32_e32 v101, v101, v82
	v_bfe_u32 v82, v82, 3, 4
	s_delay_alu instid0(VALU_DEP_2) | instskip(NEXT) | instid1(VALU_DEP_2)
	v_and_b32_e32 v101, 7, v101
	v_cmp_eq_u32_e32 vcc_lo, 0, v82
	s_delay_alu instid0(VALU_DEP_2) | instskip(NEXT) | instid1(VALU_DEP_1)
	v_dual_cndmask_b32 v82, v82, v100 :: v_dual_cndmask_b32 v83, v83, v101
	v_lshl_add_u32 v82, v82, 23, 0x3b800000
	s_delay_alu instid0(VALU_DEP_2) | instskip(NEXT) | instid1(VALU_DEP_1)
	v_lshlrev_b32_e32 v83, 20, v83
	v_or3_b32 v82, v66, v82, v83
.LBB6_12053:                            ;   in Loop: Header=BB6_11991 Depth=2
	s_or_b32 exec_lo, exec_lo, s22
	s_delay_alu instid0(VALU_DEP_1) | instskip(SKIP_2) | instid1(VALU_DEP_2)
	v_mul_f32_e32 v66, v87, v82
	v_mov_b32_e32 v100, 0x80
	s_mov_b32 s22, exec_lo
	v_and_b32_e32 v82, 0x7f800000, v66
	s_delay_alu instid0(VALU_DEP_1)
	v_cmpx_ne_u32_e32 0x7f800000, v82
	s_cbranch_execz .LBB6_12061
; %bb.12054:                            ;   in Loop: Header=BB6_11991 Depth=2
	v_mov_b32_e32 v100, 0
	s_mov_b32 s23, exec_lo
	v_cmpx_ne_u32_e32 0, v66
	s_cbranch_execz .LBB6_12060
; %bb.12055:                            ;   in Loop: Header=BB6_11991 Depth=2
	v_bfe_u32 v82, v66, 23, 8
	s_delay_alu instid0(VALU_DEP_1) | instskip(SKIP_1) | instid1(VALU_DEP_2)
	v_sub_nc_u32_e32 v100, 0x78, v82
	v_cmp_gt_u32_e32 vcc_lo, 0x79, v82
	v_dual_cndmask_b32 v100, 0, v100 :: v_dual_and_b32 v83, 0x7fffff, v66
	s_delay_alu instid0(VALU_DEP_1) | instskip(SKIP_2) | instid1(VALU_DEP_4)
	v_or_b32_e32 v101, 0x800000, v83
	v_cmp_eq_u32_e32 vcc_lo, 0, v82
	v_add_nc_u32_e32 v82, 0xffffff89, v82
	v_cndmask_b32_e64 v100, v100, 0x77, vcc_lo
	s_delay_alu instid0(VALU_DEP_4) | instskip(NEXT) | instid1(VALU_DEP_3)
	v_cndmask_b32_e32 v83, v101, v83, vcc_lo
	v_cndmask_b32_e64 v82, v82, 0xffffff8a, vcc_lo
	s_delay_alu instid0(VALU_DEP_3) | instskip(NEXT) | instid1(VALU_DEP_3)
	v_lshl_add_u32 v101, 0x100000, v100, -1
	v_lshrrev_b32_e32 v102, v100, v83
	v_lshlrev_b32_e64 v112, v100, 0x80000
	s_delay_alu instid0(VALU_DEP_4) | instskip(NEXT) | instid1(VALU_DEP_4)
	v_add_nc_u32_e32 v100, v100, v82
	v_and_b32_e32 v83, v101, v83
	s_delay_alu instid0(VALU_DEP_4) | instskip(NEXT) | instid1(VALU_DEP_2)
	v_bfe_u32 v103, v102, 20, 1
	v_cmp_eq_u32_e64 s10, v83, v112
	s_delay_alu instid0(VALU_DEP_2) | instskip(NEXT) | instid1(VALU_DEP_1)
	v_add_nc_u32_e32 v101, -1, v103
	v_cndmask_b32_e64 v83, 0, v101, s10
	v_lshrrev_b32_e32 v101, 23, v102
	s_mov_b32 s10, exec_lo
	s_delay_alu instid0(VALU_DEP_2) | instskip(NEXT) | instid1(VALU_DEP_2)
	v_add_nc_u32_e32 v83, v83, v102
	v_xor_b32_e32 v101, 1, v101
	s_delay_alu instid0(VALU_DEP_2) | instskip(NEXT) | instid1(VALU_DEP_1)
	v_and_b32_e32 v82, 0xfffff, v83
	v_add_nc_u32_e32 v83, v82, v102
                                        ; implicit-def: $vgpr82
	s_delay_alu instid0(VALU_DEP_3)
	v_cmpx_ne_u32_e64 v100, v101
	s_xor_b32 s10, exec_lo, s10
; %bb.12056:                            ;   in Loop: Header=BB6_11991 Depth=2
	s_delay_alu instid0(VALU_DEP_2) | instskip(SKIP_2) | instid1(VALU_DEP_2)
	v_cmp_lt_u32_e32 vcc_lo, 0xffffff, v83
	v_sub_nc_u32_e32 v82, v100, v101
	v_cndmask_b32_e64 v100, 0, 1, vcc_lo
	v_add_co_ci_u32_e32 v82, vcc_lo, 0, v82, vcc_lo
	s_delay_alu instid0(VALU_DEP_2)
	v_lshrrev_b32_e32 v83, v100, v83
; %bb.12057:                            ;   in Loop: Header=BB6_11991 Depth=2
	s_and_not1_saveexec_b32 s10, s10
; %bb.12058:                            ;   in Loop: Header=BB6_11991 Depth=2
	s_delay_alu instid0(VALU_DEP_1)
	v_bfe_u32 v82, v83, 23, 1
; %bb.12059:                            ;   in Loop: Header=BB6_11991 Depth=2
	s_or_b32 exec_lo, exec_lo, s10
	v_lshrrev_b32_e32 v83, 20, v83
	s_delay_alu instid0(VALU_DEP_2) | instskip(SKIP_2) | instid1(VALU_DEP_2)
	v_cmp_gt_i32_e32 vcc_lo, 16, v82
	v_lshrrev_b32_e32 v66, 24, v66
	v_min_i32_e32 v100, 15, v82
	v_dual_cndmask_b32 v83, 7, v83 :: v_dual_and_b32 v66, 0x80, v66
	s_delay_alu instid0(VALU_DEP_2) | instskip(NEXT) | instid1(VALU_DEP_2)
	v_lshlrev_b32_e32 v100, 3, v100
	v_or_b32_e32 v82, v82, v83
	s_delay_alu instid0(VALU_DEP_1) | instskip(SKIP_1) | instid1(VALU_DEP_1)
	v_cmp_ne_u32_e32 vcc_lo, 0, v82
	v_and_b32_e32 v101, 7, v83
	v_or3_b32 v66, v100, v66, v101
	s_delay_alu instid0(VALU_DEP_1)
	v_cndmask_b32_e32 v100, 0, v66, vcc_lo
.LBB6_12060:                            ;   in Loop: Header=BB6_11991 Depth=2
	s_or_b32 exec_lo, exec_lo, s23
.LBB6_12061:                            ;   in Loop: Header=BB6_11991 Depth=2
	s_delay_alu instid0(SALU_CYCLE_1)
	s_or_b32 exec_lo, exec_lo, s22
	flat_load_u8 v66, v[19:20] offset:160 slc dlc
	s_mov_b32 s10, 0
	s_mov_b32 s23, exec_lo
                                        ; implicit-def: $sgpr22
	s_waitcnt vmcnt(0) lgkmcnt(0)
	v_cmpx_lt_i16_e32 0x7f, v66
	s_xor_b32 s23, exec_lo, s23
	s_cbranch_execnz .LBB6_12406
; %bb.12062:                            ;   in Loop: Header=BB6_11991 Depth=2
	s_or_saveexec_b32 s23, s23
	v_mov_b32_e32 v82, s22
	s_xor_b32 exec_lo, exec_lo, s23
	s_cbranch_execnz .LBB6_12409
.LBB6_12063:                            ;   in Loop: Header=BB6_11991 Depth=2
	s_or_b32 exec_lo, exec_lo, s23
	s_and_saveexec_b32 s22, s10
	s_cbranch_execz .LBB6_12065
.LBB6_12064:                            ;   in Loop: Header=BB6_11991 Depth=2
	v_and_b32_e32 v82, 0xffff, v66
	v_lshlrev_b32_e32 v66, 24, v66
	s_delay_alu instid0(VALU_DEP_2) | instskip(NEXT) | instid1(VALU_DEP_2)
	v_and_b32_e32 v83, 7, v82
	v_and_b32_e32 v66, 0x80000000, v66
	s_delay_alu instid0(VALU_DEP_2) | instskip(NEXT) | instid1(VALU_DEP_1)
	v_clz_i32_u32_e32 v101, v83
	v_min_u32_e32 v101, 32, v101
	s_delay_alu instid0(VALU_DEP_1) | instskip(SKIP_1) | instid1(VALU_DEP_2)
	v_subrev_nc_u32_e32 v102, 28, v101
	v_sub_nc_u32_e32 v101, 29, v101
	v_lshlrev_b32_e32 v102, v102, v82
	v_bfe_u32 v82, v82, 3, 4
	s_delay_alu instid0(VALU_DEP_2) | instskip(NEXT) | instid1(VALU_DEP_2)
	v_and_b32_e32 v102, 7, v102
	v_cmp_eq_u32_e32 vcc_lo, 0, v82
	s_delay_alu instid0(VALU_DEP_2) | instskip(NEXT) | instid1(VALU_DEP_1)
	v_dual_cndmask_b32 v82, v82, v101 :: v_dual_cndmask_b32 v83, v83, v102
	v_lshl_add_u32 v82, v82, 23, 0x3b800000
	s_delay_alu instid0(VALU_DEP_2) | instskip(NEXT) | instid1(VALU_DEP_1)
	v_lshlrev_b32_e32 v83, 20, v83
	v_or3_b32 v82, v66, v82, v83
.LBB6_12065:                            ;   in Loop: Header=BB6_11991 Depth=2
	s_or_b32 exec_lo, exec_lo, s22
	s_delay_alu instid0(VALU_DEP_1) | instskip(SKIP_1) | instid1(VALU_DEP_1)
	v_dual_mul_f32 v66, v87, v82 :: v_dual_mov_b32 v101, 0x80
	s_mov_b32 s22, exec_lo
	v_and_b32_e32 v82, 0x7f800000, v66
	s_delay_alu instid0(VALU_DEP_1)
	v_cmpx_ne_u32_e32 0x7f800000, v82
	s_cbranch_execz .LBB6_12073
; %bb.12066:                            ;   in Loop: Header=BB6_11991 Depth=2
	v_mov_b32_e32 v101, 0
	s_mov_b32 s23, exec_lo
	v_cmpx_ne_u32_e32 0, v66
	s_cbranch_execz .LBB6_12072
; %bb.12067:                            ;   in Loop: Header=BB6_11991 Depth=2
	v_bfe_u32 v82, v66, 23, 8
	v_and_b32_e32 v83, 0x7fffff, v66
	s_delay_alu instid0(VALU_DEP_2) | instskip(SKIP_1) | instid1(VALU_DEP_3)
	v_sub_nc_u32_e32 v101, 0x78, v82
	v_cmp_gt_u32_e32 vcc_lo, 0x79, v82
	v_or_b32_e32 v102, 0x800000, v83
	s_delay_alu instid0(VALU_DEP_3) | instskip(SKIP_2) | instid1(VALU_DEP_3)
	v_cndmask_b32_e32 v101, 0, v101, vcc_lo
	v_cmp_eq_u32_e32 vcc_lo, 0, v82
	v_add_nc_u32_e32 v82, 0xffffff89, v82
	v_cndmask_b32_e64 v101, v101, 0x77, vcc_lo
	v_cndmask_b32_e32 v83, v102, v83, vcc_lo
	s_delay_alu instid0(VALU_DEP_3) | instskip(NEXT) | instid1(VALU_DEP_3)
	v_cndmask_b32_e64 v82, v82, 0xffffff8a, vcc_lo
	v_lshl_add_u32 v102, 0x100000, v101, -1
	s_delay_alu instid0(VALU_DEP_3) | instskip(SKIP_1) | instid1(VALU_DEP_4)
	v_lshrrev_b32_e32 v103, v101, v83
	v_lshlrev_b32_e64 v113, v101, 0x80000
	v_add_nc_u32_e32 v101, v101, v82
	s_delay_alu instid0(VALU_DEP_4) | instskip(NEXT) | instid1(VALU_DEP_4)
	v_and_b32_e32 v83, v102, v83
	v_bfe_u32 v112, v103, 20, 1
	s_delay_alu instid0(VALU_DEP_2) | instskip(NEXT) | instid1(VALU_DEP_2)
	v_cmp_eq_u32_e64 s10, v83, v113
	v_add_nc_u32_e32 v102, -1, v112
	s_delay_alu instid0(VALU_DEP_1) | instskip(SKIP_2) | instid1(VALU_DEP_2)
	v_cndmask_b32_e64 v83, 0, v102, s10
	v_lshrrev_b32_e32 v102, 23, v103
	s_mov_b32 s10, exec_lo
	v_add_nc_u32_e32 v83, v83, v103
	s_delay_alu instid0(VALU_DEP_2) | instskip(NEXT) | instid1(VALU_DEP_2)
	v_xor_b32_e32 v102, 1, v102
	v_and_b32_e32 v82, 0xfffff, v83
	s_delay_alu instid0(VALU_DEP_1) | instskip(NEXT) | instid1(VALU_DEP_3)
	v_add_nc_u32_e32 v83, v82, v103
                                        ; implicit-def: $vgpr82
	v_cmpx_ne_u32_e64 v101, v102
	s_xor_b32 s10, exec_lo, s10
; %bb.12068:                            ;   in Loop: Header=BB6_11991 Depth=2
	s_delay_alu instid0(VALU_DEP_2) | instskip(SKIP_2) | instid1(VALU_DEP_2)
	v_cmp_lt_u32_e32 vcc_lo, 0xffffff, v83
	v_sub_nc_u32_e32 v82, v101, v102
	v_cndmask_b32_e64 v101, 0, 1, vcc_lo
	v_add_co_ci_u32_e32 v82, vcc_lo, 0, v82, vcc_lo
	s_delay_alu instid0(VALU_DEP_2)
	v_lshrrev_b32_e32 v83, v101, v83
; %bb.12069:                            ;   in Loop: Header=BB6_11991 Depth=2
	s_and_not1_saveexec_b32 s10, s10
; %bb.12070:                            ;   in Loop: Header=BB6_11991 Depth=2
	s_delay_alu instid0(VALU_DEP_1)
	v_bfe_u32 v82, v83, 23, 1
; %bb.12071:                            ;   in Loop: Header=BB6_11991 Depth=2
	s_or_b32 exec_lo, exec_lo, s10
	v_lshrrev_b32_e32 v83, 20, v83
	s_delay_alu instid0(VALU_DEP_2) | instskip(SKIP_2) | instid1(VALU_DEP_2)
	v_cmp_gt_i32_e32 vcc_lo, 16, v82
	v_lshrrev_b32_e32 v66, 24, v66
	v_min_i32_e32 v101, 15, v82
	v_dual_cndmask_b32 v83, 7, v83 :: v_dual_and_b32 v66, 0x80, v66
	s_delay_alu instid0(VALU_DEP_2) | instskip(NEXT) | instid1(VALU_DEP_2)
	v_lshlrev_b32_e32 v101, 3, v101
	v_or_b32_e32 v82, v82, v83
	s_delay_alu instid0(VALU_DEP_1) | instskip(SKIP_1) | instid1(VALU_DEP_1)
	v_cmp_ne_u32_e32 vcc_lo, 0, v82
	v_and_b32_e32 v102, 7, v83
	v_or3_b32 v66, v101, v66, v102
	s_delay_alu instid0(VALU_DEP_1)
	v_cndmask_b32_e32 v101, 0, v66, vcc_lo
.LBB6_12072:                            ;   in Loop: Header=BB6_11991 Depth=2
	s_or_b32 exec_lo, exec_lo, s23
.LBB6_12073:                            ;   in Loop: Header=BB6_11991 Depth=2
	s_delay_alu instid0(SALU_CYCLE_1)
	s_or_b32 exec_lo, exec_lo, s22
	flat_load_u8 v66, v[19:20] offset:192 slc dlc
	s_mov_b32 s10, 0
	s_mov_b32 s23, exec_lo
                                        ; implicit-def: $sgpr22
	s_waitcnt vmcnt(0) lgkmcnt(0)
	v_cmpx_lt_i16_e32 0x7f, v66
	s_xor_b32 s23, exec_lo, s23
	s_cbranch_execnz .LBB6_12410
; %bb.12074:                            ;   in Loop: Header=BB6_11991 Depth=2
	s_or_saveexec_b32 s23, s23
	v_mov_b32_e32 v82, s22
	s_xor_b32 exec_lo, exec_lo, s23
	s_cbranch_execnz .LBB6_12413
.LBB6_12075:                            ;   in Loop: Header=BB6_11991 Depth=2
	s_or_b32 exec_lo, exec_lo, s23
	s_and_saveexec_b32 s22, s10
	s_cbranch_execz .LBB6_12077
.LBB6_12076:                            ;   in Loop: Header=BB6_11991 Depth=2
	v_and_b32_e32 v82, 0xffff, v66
	v_lshlrev_b32_e32 v66, 24, v66
	s_delay_alu instid0(VALU_DEP_2) | instskip(NEXT) | instid1(VALU_DEP_2)
	v_and_b32_e32 v83, 7, v82
	v_and_b32_e32 v66, 0x80000000, v66
	s_delay_alu instid0(VALU_DEP_2) | instskip(NEXT) | instid1(VALU_DEP_1)
	v_clz_i32_u32_e32 v102, v83
	v_min_u32_e32 v102, 32, v102
	s_delay_alu instid0(VALU_DEP_1) | instskip(SKIP_1) | instid1(VALU_DEP_2)
	v_subrev_nc_u32_e32 v103, 28, v102
	v_sub_nc_u32_e32 v102, 29, v102
	v_lshlrev_b32_e32 v103, v103, v82
	v_bfe_u32 v82, v82, 3, 4
	s_delay_alu instid0(VALU_DEP_1) | instskip(NEXT) | instid1(VALU_DEP_3)
	v_cmp_eq_u32_e32 vcc_lo, 0, v82
	v_dual_cndmask_b32 v82, v82, v102 :: v_dual_and_b32 v103, 7, v103
	s_delay_alu instid0(VALU_DEP_1) | instskip(NEXT) | instid1(VALU_DEP_2)
	v_cndmask_b32_e32 v83, v83, v103, vcc_lo
	v_lshl_add_u32 v82, v82, 23, 0x3b800000
	s_delay_alu instid0(VALU_DEP_2) | instskip(NEXT) | instid1(VALU_DEP_1)
	v_lshlrev_b32_e32 v83, 20, v83
	v_or3_b32 v82, v66, v82, v83
.LBB6_12077:                            ;   in Loop: Header=BB6_11991 Depth=2
	s_or_b32 exec_lo, exec_lo, s22
	s_delay_alu instid0(VALU_DEP_1) | instskip(SKIP_2) | instid1(VALU_DEP_2)
	v_mul_f32_e32 v66, v87, v82
	v_mov_b32_e32 v102, 0x80
	s_mov_b32 s22, exec_lo
	v_and_b32_e32 v82, 0x7f800000, v66
	s_delay_alu instid0(VALU_DEP_1)
	v_cmpx_ne_u32_e32 0x7f800000, v82
	s_cbranch_execz .LBB6_12085
; %bb.12078:                            ;   in Loop: Header=BB6_11991 Depth=2
	v_mov_b32_e32 v102, 0
	s_mov_b32 s23, exec_lo
	v_cmpx_ne_u32_e32 0, v66
	s_cbranch_execz .LBB6_12084
; %bb.12079:                            ;   in Loop: Header=BB6_11991 Depth=2
	v_bfe_u32 v82, v66, 23, 8
	v_and_b32_e32 v83, 0x7fffff, v66
	s_delay_alu instid0(VALU_DEP_2) | instskip(SKIP_1) | instid1(VALU_DEP_3)
	v_sub_nc_u32_e32 v102, 0x78, v82
	v_cmp_gt_u32_e32 vcc_lo, 0x79, v82
	v_or_b32_e32 v103, 0x800000, v83
	s_delay_alu instid0(VALU_DEP_3) | instskip(SKIP_1) | instid1(VALU_DEP_3)
	v_cndmask_b32_e32 v102, 0, v102, vcc_lo
	v_cmp_eq_u32_e32 vcc_lo, 0, v82
	v_dual_cndmask_b32 v83, v103, v83 :: v_dual_add_nc_u32 v82, 0xffffff89, v82
	s_delay_alu instid0(VALU_DEP_3) | instskip(NEXT) | instid1(VALU_DEP_2)
	v_cndmask_b32_e64 v102, v102, 0x77, vcc_lo
	v_cndmask_b32_e64 v82, v82, 0xffffff8a, vcc_lo
	s_delay_alu instid0(VALU_DEP_2) | instskip(SKIP_2) | instid1(VALU_DEP_4)
	v_lshrrev_b32_e32 v112, v102, v83
	v_lshl_add_u32 v103, 0x100000, v102, -1
	v_lshlrev_b32_e64 v114, v102, 0x80000
	v_add_nc_u32_e32 v102, v102, v82
	s_delay_alu instid0(VALU_DEP_4) | instskip(NEXT) | instid1(VALU_DEP_4)
	v_bfe_u32 v113, v112, 20, 1
	v_and_b32_e32 v83, v103, v83
	s_delay_alu instid0(VALU_DEP_2) | instskip(NEXT) | instid1(VALU_DEP_2)
	v_add_nc_u32_e32 v103, -1, v113
	v_cmp_eq_u32_e64 s10, v83, v114
	s_delay_alu instid0(VALU_DEP_1) | instskip(SKIP_2) | instid1(VALU_DEP_2)
	v_cndmask_b32_e64 v83, 0, v103, s10
	v_lshrrev_b32_e32 v103, 23, v112
	s_mov_b32 s10, exec_lo
	v_add_nc_u32_e32 v83, v83, v112
	s_delay_alu instid0(VALU_DEP_2) | instskip(NEXT) | instid1(VALU_DEP_2)
	v_xor_b32_e32 v103, 1, v103
	v_and_b32_e32 v82, 0xfffff, v83
	s_delay_alu instid0(VALU_DEP_1) | instskip(NEXT) | instid1(VALU_DEP_3)
	v_add_nc_u32_e32 v83, v82, v112
                                        ; implicit-def: $vgpr82
	v_cmpx_ne_u32_e64 v102, v103
	s_xor_b32 s10, exec_lo, s10
; %bb.12080:                            ;   in Loop: Header=BB6_11991 Depth=2
	s_delay_alu instid0(VALU_DEP_2) | instskip(SKIP_2) | instid1(VALU_DEP_2)
	v_cmp_lt_u32_e32 vcc_lo, 0xffffff, v83
	v_sub_nc_u32_e32 v82, v102, v103
	v_cndmask_b32_e64 v102, 0, 1, vcc_lo
	v_add_co_ci_u32_e32 v82, vcc_lo, 0, v82, vcc_lo
	s_delay_alu instid0(VALU_DEP_2)
	v_lshrrev_b32_e32 v83, v102, v83
; %bb.12081:                            ;   in Loop: Header=BB6_11991 Depth=2
	s_and_not1_saveexec_b32 s10, s10
; %bb.12082:                            ;   in Loop: Header=BB6_11991 Depth=2
	s_delay_alu instid0(VALU_DEP_1)
	v_bfe_u32 v82, v83, 23, 1
; %bb.12083:                            ;   in Loop: Header=BB6_11991 Depth=2
	s_or_b32 exec_lo, exec_lo, s10
	v_lshrrev_b32_e32 v83, 20, v83
	s_delay_alu instid0(VALU_DEP_2) | instskip(SKIP_2) | instid1(VALU_DEP_2)
	v_cmp_gt_i32_e32 vcc_lo, 16, v82
	v_lshrrev_b32_e32 v66, 24, v66
	v_min_i32_e32 v102, 15, v82
	v_dual_cndmask_b32 v83, 7, v83 :: v_dual_and_b32 v66, 0x80, v66
	s_delay_alu instid0(VALU_DEP_2) | instskip(NEXT) | instid1(VALU_DEP_2)
	v_lshlrev_b32_e32 v102, 3, v102
	v_or_b32_e32 v82, v82, v83
	s_delay_alu instid0(VALU_DEP_1) | instskip(SKIP_1) | instid1(VALU_DEP_1)
	v_cmp_ne_u32_e32 vcc_lo, 0, v82
	v_and_b32_e32 v103, 7, v83
	v_or3_b32 v66, v102, v66, v103
	s_delay_alu instid0(VALU_DEP_1)
	v_cndmask_b32_e32 v102, 0, v66, vcc_lo
.LBB6_12084:                            ;   in Loop: Header=BB6_11991 Depth=2
	s_or_b32 exec_lo, exec_lo, s23
.LBB6_12085:                            ;   in Loop: Header=BB6_11991 Depth=2
	s_delay_alu instid0(SALU_CYCLE_1)
	s_or_b32 exec_lo, exec_lo, s22
	flat_load_u8 v66, v[19:20] offset:224 slc dlc
	s_mov_b32 s10, 0
	s_mov_b32 s23, exec_lo
                                        ; implicit-def: $sgpr22
	s_waitcnt vmcnt(0) lgkmcnt(0)
	v_cmpx_lt_i16_e32 0x7f, v66
	s_xor_b32 s23, exec_lo, s23
	s_cbranch_execnz .LBB6_12414
; %bb.12086:                            ;   in Loop: Header=BB6_11991 Depth=2
	s_or_saveexec_b32 s23, s23
	v_mov_b32_e32 v82, s22
	s_xor_b32 exec_lo, exec_lo, s23
	s_cbranch_execnz .LBB6_12417
.LBB6_12087:                            ;   in Loop: Header=BB6_11991 Depth=2
	s_or_b32 exec_lo, exec_lo, s23
	s_and_saveexec_b32 s22, s10
	s_cbranch_execz .LBB6_12089
.LBB6_12088:                            ;   in Loop: Header=BB6_11991 Depth=2
	v_and_b32_e32 v82, 0xffff, v66
	v_lshlrev_b32_e32 v66, 24, v66
	s_delay_alu instid0(VALU_DEP_2) | instskip(NEXT) | instid1(VALU_DEP_2)
	v_and_b32_e32 v83, 7, v82
	v_and_b32_e32 v66, 0x80000000, v66
	s_delay_alu instid0(VALU_DEP_2) | instskip(NEXT) | instid1(VALU_DEP_1)
	v_clz_i32_u32_e32 v103, v83
	v_min_u32_e32 v103, 32, v103
	s_delay_alu instid0(VALU_DEP_1) | instskip(SKIP_1) | instid1(VALU_DEP_2)
	v_subrev_nc_u32_e32 v112, 28, v103
	v_sub_nc_u32_e32 v103, 29, v103
	v_lshlrev_b32_e32 v112, v112, v82
	v_bfe_u32 v82, v82, 3, 4
	s_delay_alu instid0(VALU_DEP_2) | instskip(NEXT) | instid1(VALU_DEP_2)
	v_and_b32_e32 v112, 7, v112
	v_cmp_eq_u32_e32 vcc_lo, 0, v82
	s_delay_alu instid0(VALU_DEP_2) | instskip(NEXT) | instid1(VALU_DEP_1)
	v_dual_cndmask_b32 v82, v82, v103 :: v_dual_cndmask_b32 v83, v83, v112
	v_lshl_add_u32 v82, v82, 23, 0x3b800000
	s_delay_alu instid0(VALU_DEP_2) | instskip(NEXT) | instid1(VALU_DEP_1)
	v_lshlrev_b32_e32 v83, 20, v83
	v_or3_b32 v82, v66, v82, v83
.LBB6_12089:                            ;   in Loop: Header=BB6_11991 Depth=2
	s_or_b32 exec_lo, exec_lo, s22
	s_delay_alu instid0(VALU_DEP_1) | instskip(SKIP_1) | instid1(VALU_DEP_1)
	v_dual_mul_f32 v66, v87, v82 :: v_dual_mov_b32 v103, 0x80
	s_mov_b32 s22, exec_lo
	v_and_b32_e32 v82, 0x7f800000, v66
	s_delay_alu instid0(VALU_DEP_1)
	v_cmpx_ne_u32_e32 0x7f800000, v82
	s_cbranch_execz .LBB6_12097
; %bb.12090:                            ;   in Loop: Header=BB6_11991 Depth=2
	v_mov_b32_e32 v103, 0
	s_mov_b32 s23, exec_lo
	v_cmpx_ne_u32_e32 0, v66
	s_cbranch_execz .LBB6_12096
; %bb.12091:                            ;   in Loop: Header=BB6_11991 Depth=2
	v_bfe_u32 v82, v66, 23, 8
	v_and_b32_e32 v83, 0x7fffff, v66
	s_delay_alu instid0(VALU_DEP_2) | instskip(SKIP_1) | instid1(VALU_DEP_3)
	v_sub_nc_u32_e32 v103, 0x78, v82
	v_cmp_gt_u32_e32 vcc_lo, 0x79, v82
	v_or_b32_e32 v112, 0x800000, v83
	s_delay_alu instid0(VALU_DEP_3) | instskip(SKIP_2) | instid1(VALU_DEP_3)
	v_cndmask_b32_e32 v103, 0, v103, vcc_lo
	v_cmp_eq_u32_e32 vcc_lo, 0, v82
	v_add_nc_u32_e32 v82, 0xffffff89, v82
	v_cndmask_b32_e64 v103, v103, 0x77, vcc_lo
	v_cndmask_b32_e32 v83, v112, v83, vcc_lo
	s_delay_alu instid0(VALU_DEP_3) | instskip(NEXT) | instid1(VALU_DEP_3)
	v_cndmask_b32_e64 v82, v82, 0xffffff8a, vcc_lo
	v_lshl_add_u32 v112, 0x100000, v103, -1
	s_delay_alu instid0(VALU_DEP_3) | instskip(SKIP_1) | instid1(VALU_DEP_4)
	v_lshrrev_b32_e32 v113, v103, v83
	v_lshlrev_b32_e64 v115, v103, 0x80000
	v_add_nc_u32_e32 v103, v103, v82
	s_delay_alu instid0(VALU_DEP_4) | instskip(NEXT) | instid1(VALU_DEP_4)
	v_and_b32_e32 v83, v112, v83
	v_bfe_u32 v114, v113, 20, 1
	s_delay_alu instid0(VALU_DEP_2) | instskip(NEXT) | instid1(VALU_DEP_2)
	v_cmp_eq_u32_e64 s10, v83, v115
	v_add_nc_u32_e32 v112, -1, v114
	s_delay_alu instid0(VALU_DEP_1) | instskip(SKIP_2) | instid1(VALU_DEP_2)
	v_cndmask_b32_e64 v83, 0, v112, s10
	v_lshrrev_b32_e32 v112, 23, v113
	s_mov_b32 s10, exec_lo
	v_add_nc_u32_e32 v83, v83, v113
	s_delay_alu instid0(VALU_DEP_2) | instskip(NEXT) | instid1(VALU_DEP_2)
	v_xor_b32_e32 v112, 1, v112
	v_and_b32_e32 v82, 0xfffff, v83
	s_delay_alu instid0(VALU_DEP_1) | instskip(NEXT) | instid1(VALU_DEP_3)
	v_add_nc_u32_e32 v83, v82, v113
                                        ; implicit-def: $vgpr82
	v_cmpx_ne_u32_e64 v103, v112
	s_xor_b32 s10, exec_lo, s10
; %bb.12092:                            ;   in Loop: Header=BB6_11991 Depth=2
	s_delay_alu instid0(VALU_DEP_2) | instskip(SKIP_2) | instid1(VALU_DEP_2)
	v_cmp_lt_u32_e32 vcc_lo, 0xffffff, v83
	v_sub_nc_u32_e32 v82, v103, v112
	v_cndmask_b32_e64 v103, 0, 1, vcc_lo
	v_add_co_ci_u32_e32 v82, vcc_lo, 0, v82, vcc_lo
	s_delay_alu instid0(VALU_DEP_2)
	v_lshrrev_b32_e32 v83, v103, v83
; %bb.12093:                            ;   in Loop: Header=BB6_11991 Depth=2
	s_and_not1_saveexec_b32 s10, s10
; %bb.12094:                            ;   in Loop: Header=BB6_11991 Depth=2
	s_delay_alu instid0(VALU_DEP_1)
	v_bfe_u32 v82, v83, 23, 1
; %bb.12095:                            ;   in Loop: Header=BB6_11991 Depth=2
	s_or_b32 exec_lo, exec_lo, s10
	v_lshrrev_b32_e32 v83, 20, v83
	s_delay_alu instid0(VALU_DEP_2) | instskip(SKIP_2) | instid1(VALU_DEP_2)
	v_cmp_gt_i32_e32 vcc_lo, 16, v82
	v_lshrrev_b32_e32 v66, 24, v66
	v_min_i32_e32 v103, 15, v82
	v_dual_cndmask_b32 v83, 7, v83 :: v_dual_and_b32 v66, 0x80, v66
	s_delay_alu instid0(VALU_DEP_2) | instskip(NEXT) | instid1(VALU_DEP_2)
	v_lshlrev_b32_e32 v103, 3, v103
	v_or_b32_e32 v82, v82, v83
	s_delay_alu instid0(VALU_DEP_1) | instskip(SKIP_1) | instid1(VALU_DEP_1)
	v_cmp_ne_u32_e32 vcc_lo, 0, v82
	v_and_b32_e32 v112, 7, v83
	v_or3_b32 v66, v103, v66, v112
	s_delay_alu instid0(VALU_DEP_1)
	v_cndmask_b32_e32 v103, 0, v66, vcc_lo
.LBB6_12096:                            ;   in Loop: Header=BB6_11991 Depth=2
	s_or_b32 exec_lo, exec_lo, s23
.LBB6_12097:                            ;   in Loop: Header=BB6_11991 Depth=2
	s_delay_alu instid0(SALU_CYCLE_1)
	s_or_b32 exec_lo, exec_lo, s22
	flat_load_u8 v66, v[19:20] offset:256 slc dlc
	s_mov_b32 s10, 0
	s_mov_b32 s23, exec_lo
                                        ; implicit-def: $sgpr22
	s_waitcnt vmcnt(0) lgkmcnt(0)
	v_cmpx_lt_i16_e32 0x7f, v66
	s_xor_b32 s23, exec_lo, s23
	s_cbranch_execnz .LBB6_12418
; %bb.12098:                            ;   in Loop: Header=BB6_11991 Depth=2
	s_or_saveexec_b32 s23, s23
	v_mov_b32_e32 v82, s22
	s_xor_b32 exec_lo, exec_lo, s23
	s_cbranch_execnz .LBB6_12421
.LBB6_12099:                            ;   in Loop: Header=BB6_11991 Depth=2
	s_or_b32 exec_lo, exec_lo, s23
	s_and_saveexec_b32 s22, s10
	s_cbranch_execz .LBB6_12101
.LBB6_12100:                            ;   in Loop: Header=BB6_11991 Depth=2
	v_and_b32_e32 v82, 0xffff, v66
	v_lshlrev_b32_e32 v66, 24, v66
	s_delay_alu instid0(VALU_DEP_2) | instskip(NEXT) | instid1(VALU_DEP_2)
	v_and_b32_e32 v83, 7, v82
	v_and_b32_e32 v66, 0x80000000, v66
	s_delay_alu instid0(VALU_DEP_2) | instskip(NEXT) | instid1(VALU_DEP_1)
	v_clz_i32_u32_e32 v112, v83
	v_min_u32_e32 v112, 32, v112
	s_delay_alu instid0(VALU_DEP_1) | instskip(SKIP_1) | instid1(VALU_DEP_2)
	v_subrev_nc_u32_e32 v113, 28, v112
	v_sub_nc_u32_e32 v112, 29, v112
	v_lshlrev_b32_e32 v113, v113, v82
	v_bfe_u32 v82, v82, 3, 4
	s_delay_alu instid0(VALU_DEP_2) | instskip(NEXT) | instid1(VALU_DEP_2)
	v_and_b32_e32 v113, 7, v113
	v_cmp_eq_u32_e32 vcc_lo, 0, v82
	s_delay_alu instid0(VALU_DEP_2) | instskip(NEXT) | instid1(VALU_DEP_1)
	v_dual_cndmask_b32 v82, v82, v112 :: v_dual_cndmask_b32 v83, v83, v113
	v_lshl_add_u32 v82, v82, 23, 0x3b800000
	s_delay_alu instid0(VALU_DEP_2) | instskip(NEXT) | instid1(VALU_DEP_1)
	v_lshlrev_b32_e32 v83, 20, v83
	v_or3_b32 v82, v66, v82, v83
.LBB6_12101:                            ;   in Loop: Header=BB6_11991 Depth=2
	s_or_b32 exec_lo, exec_lo, s22
	s_delay_alu instid0(VALU_DEP_1) | instskip(SKIP_2) | instid1(VALU_DEP_2)
	v_mul_f32_e32 v66, v87, v82
	v_mov_b32_e32 v112, 0x80
	s_mov_b32 s22, exec_lo
	v_and_b32_e32 v82, 0x7f800000, v66
	s_delay_alu instid0(VALU_DEP_1)
	v_cmpx_ne_u32_e32 0x7f800000, v82
	s_cbranch_execz .LBB6_12109
; %bb.12102:                            ;   in Loop: Header=BB6_11991 Depth=2
	v_mov_b32_e32 v112, 0
	s_mov_b32 s23, exec_lo
	v_cmpx_ne_u32_e32 0, v66
	s_cbranch_execz .LBB6_12108
; %bb.12103:                            ;   in Loop: Header=BB6_11991 Depth=2
	v_bfe_u32 v82, v66, 23, 8
	s_delay_alu instid0(VALU_DEP_1) | instskip(SKIP_1) | instid1(VALU_DEP_2)
	v_sub_nc_u32_e32 v112, 0x78, v82
	v_cmp_gt_u32_e32 vcc_lo, 0x79, v82
	v_dual_cndmask_b32 v112, 0, v112 :: v_dual_and_b32 v83, 0x7fffff, v66
	s_delay_alu instid0(VALU_DEP_1) | instskip(SKIP_2) | instid1(VALU_DEP_4)
	v_or_b32_e32 v113, 0x800000, v83
	v_cmp_eq_u32_e32 vcc_lo, 0, v82
	v_add_nc_u32_e32 v82, 0xffffff89, v82
	v_cndmask_b32_e64 v112, v112, 0x77, vcc_lo
	s_delay_alu instid0(VALU_DEP_4) | instskip(NEXT) | instid1(VALU_DEP_3)
	v_cndmask_b32_e32 v83, v113, v83, vcc_lo
	v_cndmask_b32_e64 v82, v82, 0xffffff8a, vcc_lo
	s_delay_alu instid0(VALU_DEP_3) | instskip(NEXT) | instid1(VALU_DEP_3)
	v_lshl_add_u32 v113, 0x100000, v112, -1
	v_lshrrev_b32_e32 v114, v112, v83
	v_lshlrev_b32_e64 v116, v112, 0x80000
	s_delay_alu instid0(VALU_DEP_4) | instskip(NEXT) | instid1(VALU_DEP_4)
	v_add_nc_u32_e32 v112, v112, v82
	v_and_b32_e32 v83, v113, v83
	s_delay_alu instid0(VALU_DEP_4) | instskip(NEXT) | instid1(VALU_DEP_2)
	v_bfe_u32 v115, v114, 20, 1
	v_cmp_eq_u32_e64 s10, v83, v116
	s_delay_alu instid0(VALU_DEP_2) | instskip(NEXT) | instid1(VALU_DEP_1)
	v_add_nc_u32_e32 v113, -1, v115
	v_cndmask_b32_e64 v83, 0, v113, s10
	v_lshrrev_b32_e32 v113, 23, v114
	s_mov_b32 s10, exec_lo
	s_delay_alu instid0(VALU_DEP_2) | instskip(NEXT) | instid1(VALU_DEP_2)
	v_add_nc_u32_e32 v83, v83, v114
	v_xor_b32_e32 v113, 1, v113
	s_delay_alu instid0(VALU_DEP_2) | instskip(NEXT) | instid1(VALU_DEP_1)
	v_and_b32_e32 v82, 0xfffff, v83
	v_add_nc_u32_e32 v83, v82, v114
                                        ; implicit-def: $vgpr82
	s_delay_alu instid0(VALU_DEP_3)
	v_cmpx_ne_u32_e64 v112, v113
	s_xor_b32 s10, exec_lo, s10
; %bb.12104:                            ;   in Loop: Header=BB6_11991 Depth=2
	s_delay_alu instid0(VALU_DEP_2) | instskip(SKIP_2) | instid1(VALU_DEP_2)
	v_cmp_lt_u32_e32 vcc_lo, 0xffffff, v83
	v_sub_nc_u32_e32 v82, v112, v113
	v_cndmask_b32_e64 v112, 0, 1, vcc_lo
	v_add_co_ci_u32_e32 v82, vcc_lo, 0, v82, vcc_lo
	s_delay_alu instid0(VALU_DEP_2)
	v_lshrrev_b32_e32 v83, v112, v83
; %bb.12105:                            ;   in Loop: Header=BB6_11991 Depth=2
	s_and_not1_saveexec_b32 s10, s10
; %bb.12106:                            ;   in Loop: Header=BB6_11991 Depth=2
	s_delay_alu instid0(VALU_DEP_1)
	v_bfe_u32 v82, v83, 23, 1
; %bb.12107:                            ;   in Loop: Header=BB6_11991 Depth=2
	s_or_b32 exec_lo, exec_lo, s10
	v_lshrrev_b32_e32 v83, 20, v83
	s_delay_alu instid0(VALU_DEP_2) | instskip(SKIP_2) | instid1(VALU_DEP_2)
	v_cmp_gt_i32_e32 vcc_lo, 16, v82
	v_lshrrev_b32_e32 v66, 24, v66
	v_min_i32_e32 v112, 15, v82
	v_dual_cndmask_b32 v83, 7, v83 :: v_dual_and_b32 v66, 0x80, v66
	s_delay_alu instid0(VALU_DEP_2) | instskip(NEXT) | instid1(VALU_DEP_2)
	v_lshlrev_b32_e32 v112, 3, v112
	v_or_b32_e32 v82, v82, v83
	s_delay_alu instid0(VALU_DEP_1) | instskip(SKIP_1) | instid1(VALU_DEP_1)
	v_cmp_ne_u32_e32 vcc_lo, 0, v82
	v_and_b32_e32 v113, 7, v83
	v_or3_b32 v66, v112, v66, v113
	s_delay_alu instid0(VALU_DEP_1)
	v_cndmask_b32_e32 v112, 0, v66, vcc_lo
.LBB6_12108:                            ;   in Loop: Header=BB6_11991 Depth=2
	s_or_b32 exec_lo, exec_lo, s23
.LBB6_12109:                            ;   in Loop: Header=BB6_11991 Depth=2
	s_delay_alu instid0(SALU_CYCLE_1)
	s_or_b32 exec_lo, exec_lo, s22
	flat_load_u8 v66, v[19:20] offset:288 slc dlc
	s_mov_b32 s10, 0
	s_mov_b32 s23, exec_lo
                                        ; implicit-def: $sgpr22
	s_waitcnt vmcnt(0) lgkmcnt(0)
	v_cmpx_lt_i16_e32 0x7f, v66
	s_xor_b32 s23, exec_lo, s23
	s_cbranch_execnz .LBB6_12422
; %bb.12110:                            ;   in Loop: Header=BB6_11991 Depth=2
	s_or_saveexec_b32 s23, s23
	v_mov_b32_e32 v82, s22
	s_xor_b32 exec_lo, exec_lo, s23
	s_cbranch_execnz .LBB6_12425
.LBB6_12111:                            ;   in Loop: Header=BB6_11991 Depth=2
	s_or_b32 exec_lo, exec_lo, s23
	s_and_saveexec_b32 s22, s10
	s_cbranch_execz .LBB6_12113
.LBB6_12112:                            ;   in Loop: Header=BB6_11991 Depth=2
	v_and_b32_e32 v82, 0xffff, v66
	v_lshlrev_b32_e32 v66, 24, v66
	s_delay_alu instid0(VALU_DEP_2) | instskip(NEXT) | instid1(VALU_DEP_2)
	v_and_b32_e32 v83, 7, v82
	v_and_b32_e32 v66, 0x80000000, v66
	s_delay_alu instid0(VALU_DEP_2) | instskip(NEXT) | instid1(VALU_DEP_1)
	v_clz_i32_u32_e32 v113, v83
	v_min_u32_e32 v113, 32, v113
	s_delay_alu instid0(VALU_DEP_1) | instskip(SKIP_1) | instid1(VALU_DEP_2)
	v_subrev_nc_u32_e32 v114, 28, v113
	v_sub_nc_u32_e32 v113, 29, v113
	v_lshlrev_b32_e32 v114, v114, v82
	v_bfe_u32 v82, v82, 3, 4
	s_delay_alu instid0(VALU_DEP_2) | instskip(NEXT) | instid1(VALU_DEP_2)
	v_and_b32_e32 v114, 7, v114
	v_cmp_eq_u32_e32 vcc_lo, 0, v82
	s_delay_alu instid0(VALU_DEP_2) | instskip(NEXT) | instid1(VALU_DEP_1)
	v_dual_cndmask_b32 v82, v82, v113 :: v_dual_cndmask_b32 v83, v83, v114
	v_lshl_add_u32 v82, v82, 23, 0x3b800000
	s_delay_alu instid0(VALU_DEP_2) | instskip(NEXT) | instid1(VALU_DEP_1)
	v_lshlrev_b32_e32 v83, 20, v83
	v_or3_b32 v82, v66, v82, v83
.LBB6_12113:                            ;   in Loop: Header=BB6_11991 Depth=2
	s_or_b32 exec_lo, exec_lo, s22
	s_delay_alu instid0(VALU_DEP_1) | instskip(SKIP_1) | instid1(VALU_DEP_1)
	v_dual_mul_f32 v66, v87, v82 :: v_dual_mov_b32 v113, 0x80
	s_mov_b32 s22, exec_lo
	v_and_b32_e32 v82, 0x7f800000, v66
	s_delay_alu instid0(VALU_DEP_1)
	v_cmpx_ne_u32_e32 0x7f800000, v82
	s_cbranch_execz .LBB6_12121
; %bb.12114:                            ;   in Loop: Header=BB6_11991 Depth=2
	v_mov_b32_e32 v113, 0
	s_mov_b32 s23, exec_lo
	v_cmpx_ne_u32_e32 0, v66
	s_cbranch_execz .LBB6_12120
; %bb.12115:                            ;   in Loop: Header=BB6_11991 Depth=2
	v_bfe_u32 v82, v66, 23, 8
	v_and_b32_e32 v83, 0x7fffff, v66
	s_delay_alu instid0(VALU_DEP_2) | instskip(SKIP_1) | instid1(VALU_DEP_3)
	v_sub_nc_u32_e32 v113, 0x78, v82
	v_cmp_gt_u32_e32 vcc_lo, 0x79, v82
	v_or_b32_e32 v114, 0x800000, v83
	s_delay_alu instid0(VALU_DEP_3) | instskip(SKIP_2) | instid1(VALU_DEP_3)
	v_cndmask_b32_e32 v113, 0, v113, vcc_lo
	v_cmp_eq_u32_e32 vcc_lo, 0, v82
	v_add_nc_u32_e32 v82, 0xffffff89, v82
	v_cndmask_b32_e64 v113, v113, 0x77, vcc_lo
	v_cndmask_b32_e32 v83, v114, v83, vcc_lo
	s_delay_alu instid0(VALU_DEP_3) | instskip(NEXT) | instid1(VALU_DEP_3)
	v_cndmask_b32_e64 v82, v82, 0xffffff8a, vcc_lo
	v_lshl_add_u32 v114, 0x100000, v113, -1
	s_delay_alu instid0(VALU_DEP_3) | instskip(SKIP_1) | instid1(VALU_DEP_4)
	v_lshrrev_b32_e32 v115, v113, v83
	v_lshlrev_b32_e64 v117, v113, 0x80000
	v_add_nc_u32_e32 v113, v113, v82
	s_delay_alu instid0(VALU_DEP_4) | instskip(NEXT) | instid1(VALU_DEP_4)
	v_and_b32_e32 v83, v114, v83
	v_bfe_u32 v116, v115, 20, 1
	s_delay_alu instid0(VALU_DEP_2) | instskip(NEXT) | instid1(VALU_DEP_2)
	v_cmp_eq_u32_e64 s10, v83, v117
	v_add_nc_u32_e32 v114, -1, v116
	s_delay_alu instid0(VALU_DEP_1) | instskip(SKIP_2) | instid1(VALU_DEP_2)
	v_cndmask_b32_e64 v83, 0, v114, s10
	v_lshrrev_b32_e32 v114, 23, v115
	s_mov_b32 s10, exec_lo
	v_add_nc_u32_e32 v83, v83, v115
	s_delay_alu instid0(VALU_DEP_2) | instskip(NEXT) | instid1(VALU_DEP_2)
	v_xor_b32_e32 v114, 1, v114
	v_and_b32_e32 v82, 0xfffff, v83
	s_delay_alu instid0(VALU_DEP_1) | instskip(NEXT) | instid1(VALU_DEP_3)
	v_add_nc_u32_e32 v83, v82, v115
                                        ; implicit-def: $vgpr82
	v_cmpx_ne_u32_e64 v113, v114
	s_xor_b32 s10, exec_lo, s10
; %bb.12116:                            ;   in Loop: Header=BB6_11991 Depth=2
	s_delay_alu instid0(VALU_DEP_2) | instskip(SKIP_2) | instid1(VALU_DEP_2)
	v_cmp_lt_u32_e32 vcc_lo, 0xffffff, v83
	v_sub_nc_u32_e32 v82, v113, v114
	v_cndmask_b32_e64 v113, 0, 1, vcc_lo
	v_add_co_ci_u32_e32 v82, vcc_lo, 0, v82, vcc_lo
	s_delay_alu instid0(VALU_DEP_2)
	v_lshrrev_b32_e32 v83, v113, v83
; %bb.12117:                            ;   in Loop: Header=BB6_11991 Depth=2
	s_and_not1_saveexec_b32 s10, s10
; %bb.12118:                            ;   in Loop: Header=BB6_11991 Depth=2
	s_delay_alu instid0(VALU_DEP_1)
	v_bfe_u32 v82, v83, 23, 1
; %bb.12119:                            ;   in Loop: Header=BB6_11991 Depth=2
	s_or_b32 exec_lo, exec_lo, s10
	v_lshrrev_b32_e32 v83, 20, v83
	s_delay_alu instid0(VALU_DEP_2) | instskip(SKIP_2) | instid1(VALU_DEP_2)
	v_cmp_gt_i32_e32 vcc_lo, 16, v82
	v_lshrrev_b32_e32 v66, 24, v66
	v_min_i32_e32 v113, 15, v82
	v_dual_cndmask_b32 v83, 7, v83 :: v_dual_and_b32 v66, 0x80, v66
	s_delay_alu instid0(VALU_DEP_2) | instskip(NEXT) | instid1(VALU_DEP_2)
	v_lshlrev_b32_e32 v113, 3, v113
	v_or_b32_e32 v82, v82, v83
	s_delay_alu instid0(VALU_DEP_1) | instskip(SKIP_1) | instid1(VALU_DEP_1)
	v_cmp_ne_u32_e32 vcc_lo, 0, v82
	v_and_b32_e32 v114, 7, v83
	v_or3_b32 v66, v113, v66, v114
	s_delay_alu instid0(VALU_DEP_1)
	v_cndmask_b32_e32 v113, 0, v66, vcc_lo
.LBB6_12120:                            ;   in Loop: Header=BB6_11991 Depth=2
	s_or_b32 exec_lo, exec_lo, s23
.LBB6_12121:                            ;   in Loop: Header=BB6_11991 Depth=2
	s_delay_alu instid0(SALU_CYCLE_1)
	s_or_b32 exec_lo, exec_lo, s22
	flat_load_u8 v66, v[19:20] offset:320 slc dlc
	s_mov_b32 s10, 0
	s_mov_b32 s23, exec_lo
                                        ; implicit-def: $sgpr22
	s_waitcnt vmcnt(0) lgkmcnt(0)
	v_cmpx_lt_i16_e32 0x7f, v66
	s_xor_b32 s23, exec_lo, s23
	s_cbranch_execnz .LBB6_12426
; %bb.12122:                            ;   in Loop: Header=BB6_11991 Depth=2
	s_or_saveexec_b32 s23, s23
	v_mov_b32_e32 v82, s22
	s_xor_b32 exec_lo, exec_lo, s23
	s_cbranch_execnz .LBB6_12429
.LBB6_12123:                            ;   in Loop: Header=BB6_11991 Depth=2
	s_or_b32 exec_lo, exec_lo, s23
	s_and_saveexec_b32 s22, s10
	s_cbranch_execz .LBB6_12125
.LBB6_12124:                            ;   in Loop: Header=BB6_11991 Depth=2
	v_and_b32_e32 v82, 0xffff, v66
	v_lshlrev_b32_e32 v66, 24, v66
	s_delay_alu instid0(VALU_DEP_2) | instskip(NEXT) | instid1(VALU_DEP_2)
	v_and_b32_e32 v83, 7, v82
	v_and_b32_e32 v66, 0x80000000, v66
	s_delay_alu instid0(VALU_DEP_2) | instskip(NEXT) | instid1(VALU_DEP_1)
	v_clz_i32_u32_e32 v114, v83
	v_min_u32_e32 v114, 32, v114
	s_delay_alu instid0(VALU_DEP_1) | instskip(SKIP_1) | instid1(VALU_DEP_2)
	v_subrev_nc_u32_e32 v115, 28, v114
	v_sub_nc_u32_e32 v114, 29, v114
	v_lshlrev_b32_e32 v115, v115, v82
	v_bfe_u32 v82, v82, 3, 4
	s_delay_alu instid0(VALU_DEP_1) | instskip(NEXT) | instid1(VALU_DEP_3)
	v_cmp_eq_u32_e32 vcc_lo, 0, v82
	v_dual_cndmask_b32 v82, v82, v114 :: v_dual_and_b32 v115, 7, v115
	s_delay_alu instid0(VALU_DEP_1) | instskip(NEXT) | instid1(VALU_DEP_2)
	v_cndmask_b32_e32 v83, v83, v115, vcc_lo
	v_lshl_add_u32 v82, v82, 23, 0x3b800000
	s_delay_alu instid0(VALU_DEP_2) | instskip(NEXT) | instid1(VALU_DEP_1)
	v_lshlrev_b32_e32 v83, 20, v83
	v_or3_b32 v82, v66, v82, v83
.LBB6_12125:                            ;   in Loop: Header=BB6_11991 Depth=2
	s_or_b32 exec_lo, exec_lo, s22
	s_delay_alu instid0(VALU_DEP_1) | instskip(SKIP_2) | instid1(VALU_DEP_2)
	v_mul_f32_e32 v66, v87, v82
	v_mov_b32_e32 v114, 0x80
	s_mov_b32 s22, exec_lo
	v_and_b32_e32 v82, 0x7f800000, v66
	s_delay_alu instid0(VALU_DEP_1)
	v_cmpx_ne_u32_e32 0x7f800000, v82
	s_cbranch_execz .LBB6_12133
; %bb.12126:                            ;   in Loop: Header=BB6_11991 Depth=2
	v_mov_b32_e32 v114, 0
	s_mov_b32 s23, exec_lo
	v_cmpx_ne_u32_e32 0, v66
	s_cbranch_execz .LBB6_12132
; %bb.12127:                            ;   in Loop: Header=BB6_11991 Depth=2
	v_bfe_u32 v82, v66, 23, 8
	v_and_b32_e32 v83, 0x7fffff, v66
	s_delay_alu instid0(VALU_DEP_2) | instskip(SKIP_1) | instid1(VALU_DEP_3)
	v_sub_nc_u32_e32 v114, 0x78, v82
	v_cmp_gt_u32_e32 vcc_lo, 0x79, v82
	v_or_b32_e32 v115, 0x800000, v83
	s_delay_alu instid0(VALU_DEP_3) | instskip(SKIP_1) | instid1(VALU_DEP_3)
	v_cndmask_b32_e32 v114, 0, v114, vcc_lo
	v_cmp_eq_u32_e32 vcc_lo, 0, v82
	v_dual_cndmask_b32 v83, v115, v83 :: v_dual_add_nc_u32 v82, 0xffffff89, v82
	s_delay_alu instid0(VALU_DEP_3) | instskip(NEXT) | instid1(VALU_DEP_2)
	v_cndmask_b32_e64 v114, v114, 0x77, vcc_lo
	v_cndmask_b32_e64 v82, v82, 0xffffff8a, vcc_lo
	s_delay_alu instid0(VALU_DEP_2) | instskip(SKIP_2) | instid1(VALU_DEP_4)
	v_lshrrev_b32_e32 v116, v114, v83
	v_lshl_add_u32 v115, 0x100000, v114, -1
	v_lshlrev_b32_e64 v118, v114, 0x80000
	v_add_nc_u32_e32 v114, v114, v82
	s_delay_alu instid0(VALU_DEP_4) | instskip(NEXT) | instid1(VALU_DEP_4)
	v_bfe_u32 v117, v116, 20, 1
	v_and_b32_e32 v83, v115, v83
	s_delay_alu instid0(VALU_DEP_2) | instskip(NEXT) | instid1(VALU_DEP_2)
	v_add_nc_u32_e32 v115, -1, v117
	v_cmp_eq_u32_e64 s10, v83, v118
	s_delay_alu instid0(VALU_DEP_1) | instskip(SKIP_2) | instid1(VALU_DEP_2)
	v_cndmask_b32_e64 v83, 0, v115, s10
	v_lshrrev_b32_e32 v115, 23, v116
	s_mov_b32 s10, exec_lo
	v_add_nc_u32_e32 v83, v83, v116
	s_delay_alu instid0(VALU_DEP_2) | instskip(NEXT) | instid1(VALU_DEP_2)
	v_xor_b32_e32 v115, 1, v115
	v_and_b32_e32 v82, 0xfffff, v83
	s_delay_alu instid0(VALU_DEP_1) | instskip(NEXT) | instid1(VALU_DEP_3)
	v_add_nc_u32_e32 v83, v82, v116
                                        ; implicit-def: $vgpr82
	v_cmpx_ne_u32_e64 v114, v115
	s_xor_b32 s10, exec_lo, s10
; %bb.12128:                            ;   in Loop: Header=BB6_11991 Depth=2
	s_delay_alu instid0(VALU_DEP_2) | instskip(SKIP_2) | instid1(VALU_DEP_2)
	v_cmp_lt_u32_e32 vcc_lo, 0xffffff, v83
	v_sub_nc_u32_e32 v82, v114, v115
	v_cndmask_b32_e64 v114, 0, 1, vcc_lo
	v_add_co_ci_u32_e32 v82, vcc_lo, 0, v82, vcc_lo
	s_delay_alu instid0(VALU_DEP_2)
	v_lshrrev_b32_e32 v83, v114, v83
; %bb.12129:                            ;   in Loop: Header=BB6_11991 Depth=2
	s_and_not1_saveexec_b32 s10, s10
; %bb.12130:                            ;   in Loop: Header=BB6_11991 Depth=2
	s_delay_alu instid0(VALU_DEP_1)
	v_bfe_u32 v82, v83, 23, 1
; %bb.12131:                            ;   in Loop: Header=BB6_11991 Depth=2
	s_or_b32 exec_lo, exec_lo, s10
	v_lshrrev_b32_e32 v83, 20, v83
	s_delay_alu instid0(VALU_DEP_2) | instskip(SKIP_2) | instid1(VALU_DEP_2)
	v_cmp_gt_i32_e32 vcc_lo, 16, v82
	v_lshrrev_b32_e32 v66, 24, v66
	v_min_i32_e32 v114, 15, v82
	v_dual_cndmask_b32 v83, 7, v83 :: v_dual_and_b32 v66, 0x80, v66
	s_delay_alu instid0(VALU_DEP_2) | instskip(NEXT) | instid1(VALU_DEP_2)
	v_lshlrev_b32_e32 v114, 3, v114
	v_or_b32_e32 v82, v82, v83
	s_delay_alu instid0(VALU_DEP_1) | instskip(SKIP_1) | instid1(VALU_DEP_1)
	v_cmp_ne_u32_e32 vcc_lo, 0, v82
	v_and_b32_e32 v115, 7, v83
	v_or3_b32 v66, v114, v66, v115
	s_delay_alu instid0(VALU_DEP_1)
	v_cndmask_b32_e32 v114, 0, v66, vcc_lo
.LBB6_12132:                            ;   in Loop: Header=BB6_11991 Depth=2
	s_or_b32 exec_lo, exec_lo, s23
.LBB6_12133:                            ;   in Loop: Header=BB6_11991 Depth=2
	s_delay_alu instid0(SALU_CYCLE_1)
	s_or_b32 exec_lo, exec_lo, s22
	flat_load_u8 v66, v[19:20] offset:352 slc dlc
	s_mov_b32 s10, 0
	s_mov_b32 s23, exec_lo
                                        ; implicit-def: $sgpr22
	s_waitcnt vmcnt(0) lgkmcnt(0)
	v_cmpx_lt_i16_e32 0x7f, v66
	s_xor_b32 s23, exec_lo, s23
	s_cbranch_execnz .LBB6_12430
; %bb.12134:                            ;   in Loop: Header=BB6_11991 Depth=2
	s_or_saveexec_b32 s23, s23
	v_mov_b32_e32 v82, s22
	s_xor_b32 exec_lo, exec_lo, s23
	s_cbranch_execnz .LBB6_12433
.LBB6_12135:                            ;   in Loop: Header=BB6_11991 Depth=2
	s_or_b32 exec_lo, exec_lo, s23
	s_and_saveexec_b32 s22, s10
	s_cbranch_execz .LBB6_12137
.LBB6_12136:                            ;   in Loop: Header=BB6_11991 Depth=2
	v_and_b32_e32 v82, 0xffff, v66
	v_lshlrev_b32_e32 v66, 24, v66
	s_delay_alu instid0(VALU_DEP_2) | instskip(NEXT) | instid1(VALU_DEP_2)
	v_and_b32_e32 v83, 7, v82
	v_and_b32_e32 v66, 0x80000000, v66
	s_delay_alu instid0(VALU_DEP_2) | instskip(NEXT) | instid1(VALU_DEP_1)
	v_clz_i32_u32_e32 v115, v83
	v_min_u32_e32 v115, 32, v115
	s_delay_alu instid0(VALU_DEP_1) | instskip(SKIP_1) | instid1(VALU_DEP_2)
	v_subrev_nc_u32_e32 v116, 28, v115
	v_sub_nc_u32_e32 v115, 29, v115
	v_lshlrev_b32_e32 v116, v116, v82
	v_bfe_u32 v82, v82, 3, 4
	s_delay_alu instid0(VALU_DEP_2) | instskip(NEXT) | instid1(VALU_DEP_2)
	v_and_b32_e32 v116, 7, v116
	v_cmp_eq_u32_e32 vcc_lo, 0, v82
	s_delay_alu instid0(VALU_DEP_2) | instskip(NEXT) | instid1(VALU_DEP_1)
	v_dual_cndmask_b32 v82, v82, v115 :: v_dual_cndmask_b32 v83, v83, v116
	v_lshl_add_u32 v82, v82, 23, 0x3b800000
	s_delay_alu instid0(VALU_DEP_2) | instskip(NEXT) | instid1(VALU_DEP_1)
	v_lshlrev_b32_e32 v83, 20, v83
	v_or3_b32 v82, v66, v82, v83
.LBB6_12137:                            ;   in Loop: Header=BB6_11991 Depth=2
	s_or_b32 exec_lo, exec_lo, s22
	s_delay_alu instid0(VALU_DEP_1) | instskip(SKIP_1) | instid1(VALU_DEP_1)
	v_dual_mul_f32 v66, v87, v82 :: v_dual_mov_b32 v115, 0x80
	s_mov_b32 s22, exec_lo
	v_and_b32_e32 v82, 0x7f800000, v66
	s_delay_alu instid0(VALU_DEP_1)
	v_cmpx_ne_u32_e32 0x7f800000, v82
	s_cbranch_execz .LBB6_12145
; %bb.12138:                            ;   in Loop: Header=BB6_11991 Depth=2
	v_mov_b32_e32 v115, 0
	s_mov_b32 s23, exec_lo
	v_cmpx_ne_u32_e32 0, v66
	s_cbranch_execz .LBB6_12144
; %bb.12139:                            ;   in Loop: Header=BB6_11991 Depth=2
	v_bfe_u32 v82, v66, 23, 8
	v_and_b32_e32 v83, 0x7fffff, v66
	s_delay_alu instid0(VALU_DEP_2) | instskip(SKIP_1) | instid1(VALU_DEP_3)
	v_sub_nc_u32_e32 v115, 0x78, v82
	v_cmp_gt_u32_e32 vcc_lo, 0x79, v82
	v_or_b32_e32 v116, 0x800000, v83
	s_delay_alu instid0(VALU_DEP_3) | instskip(SKIP_2) | instid1(VALU_DEP_3)
	v_cndmask_b32_e32 v115, 0, v115, vcc_lo
	v_cmp_eq_u32_e32 vcc_lo, 0, v82
	v_add_nc_u32_e32 v82, 0xffffff89, v82
	v_cndmask_b32_e64 v115, v115, 0x77, vcc_lo
	v_cndmask_b32_e32 v83, v116, v83, vcc_lo
	s_delay_alu instid0(VALU_DEP_3) | instskip(NEXT) | instid1(VALU_DEP_3)
	v_cndmask_b32_e64 v82, v82, 0xffffff8a, vcc_lo
	v_lshl_add_u32 v116, 0x100000, v115, -1
	s_delay_alu instid0(VALU_DEP_3) | instskip(SKIP_1) | instid1(VALU_DEP_4)
	v_lshrrev_b32_e32 v117, v115, v83
	v_lshlrev_b32_e64 v119, v115, 0x80000
	v_add_nc_u32_e32 v115, v115, v82
	s_delay_alu instid0(VALU_DEP_4) | instskip(NEXT) | instid1(VALU_DEP_4)
	v_and_b32_e32 v83, v116, v83
	v_bfe_u32 v118, v117, 20, 1
	s_delay_alu instid0(VALU_DEP_2) | instskip(NEXT) | instid1(VALU_DEP_2)
	v_cmp_eq_u32_e64 s10, v83, v119
	v_add_nc_u32_e32 v116, -1, v118
	s_delay_alu instid0(VALU_DEP_1) | instskip(SKIP_2) | instid1(VALU_DEP_2)
	v_cndmask_b32_e64 v83, 0, v116, s10
	v_lshrrev_b32_e32 v116, 23, v117
	s_mov_b32 s10, exec_lo
	v_add_nc_u32_e32 v83, v83, v117
	s_delay_alu instid0(VALU_DEP_2) | instskip(NEXT) | instid1(VALU_DEP_2)
	v_xor_b32_e32 v116, 1, v116
	v_and_b32_e32 v82, 0xfffff, v83
	s_delay_alu instid0(VALU_DEP_1) | instskip(NEXT) | instid1(VALU_DEP_3)
	v_add_nc_u32_e32 v83, v82, v117
                                        ; implicit-def: $vgpr82
	v_cmpx_ne_u32_e64 v115, v116
	s_xor_b32 s10, exec_lo, s10
; %bb.12140:                            ;   in Loop: Header=BB6_11991 Depth=2
	s_delay_alu instid0(VALU_DEP_2) | instskip(SKIP_2) | instid1(VALU_DEP_2)
	v_cmp_lt_u32_e32 vcc_lo, 0xffffff, v83
	v_sub_nc_u32_e32 v82, v115, v116
	v_cndmask_b32_e64 v115, 0, 1, vcc_lo
	v_add_co_ci_u32_e32 v82, vcc_lo, 0, v82, vcc_lo
	s_delay_alu instid0(VALU_DEP_2)
	v_lshrrev_b32_e32 v83, v115, v83
; %bb.12141:                            ;   in Loop: Header=BB6_11991 Depth=2
	s_and_not1_saveexec_b32 s10, s10
; %bb.12142:                            ;   in Loop: Header=BB6_11991 Depth=2
	s_delay_alu instid0(VALU_DEP_1)
	v_bfe_u32 v82, v83, 23, 1
; %bb.12143:                            ;   in Loop: Header=BB6_11991 Depth=2
	s_or_b32 exec_lo, exec_lo, s10
	v_lshrrev_b32_e32 v83, 20, v83
	s_delay_alu instid0(VALU_DEP_2) | instskip(SKIP_2) | instid1(VALU_DEP_2)
	v_cmp_gt_i32_e32 vcc_lo, 16, v82
	v_lshrrev_b32_e32 v66, 24, v66
	v_min_i32_e32 v115, 15, v82
	v_dual_cndmask_b32 v83, 7, v83 :: v_dual_and_b32 v66, 0x80, v66
	s_delay_alu instid0(VALU_DEP_2) | instskip(NEXT) | instid1(VALU_DEP_2)
	v_lshlrev_b32_e32 v115, 3, v115
	v_or_b32_e32 v82, v82, v83
	s_delay_alu instid0(VALU_DEP_1) | instskip(SKIP_1) | instid1(VALU_DEP_1)
	v_cmp_ne_u32_e32 vcc_lo, 0, v82
	v_and_b32_e32 v116, 7, v83
	v_or3_b32 v66, v115, v66, v116
	s_delay_alu instid0(VALU_DEP_1)
	v_cndmask_b32_e32 v115, 0, v66, vcc_lo
.LBB6_12144:                            ;   in Loop: Header=BB6_11991 Depth=2
	s_or_b32 exec_lo, exec_lo, s23
.LBB6_12145:                            ;   in Loop: Header=BB6_11991 Depth=2
	s_delay_alu instid0(SALU_CYCLE_1)
	s_or_b32 exec_lo, exec_lo, s22
	flat_load_u8 v66, v[19:20] offset:384 slc dlc
	s_mov_b32 s10, 0
	s_mov_b32 s23, exec_lo
                                        ; implicit-def: $sgpr22
	s_waitcnt vmcnt(0) lgkmcnt(0)
	v_cmpx_lt_i16_e32 0x7f, v66
	s_xor_b32 s23, exec_lo, s23
	s_cbranch_execnz .LBB6_12434
; %bb.12146:                            ;   in Loop: Header=BB6_11991 Depth=2
	s_or_saveexec_b32 s23, s23
	v_mov_b32_e32 v82, s22
	s_xor_b32 exec_lo, exec_lo, s23
	s_cbranch_execnz .LBB6_12437
.LBB6_12147:                            ;   in Loop: Header=BB6_11991 Depth=2
	s_or_b32 exec_lo, exec_lo, s23
	s_and_saveexec_b32 s22, s10
	s_cbranch_execz .LBB6_12149
.LBB6_12148:                            ;   in Loop: Header=BB6_11991 Depth=2
	v_and_b32_e32 v82, 0xffff, v66
	v_lshlrev_b32_e32 v66, 24, v66
	s_delay_alu instid0(VALU_DEP_2) | instskip(NEXT) | instid1(VALU_DEP_2)
	v_and_b32_e32 v83, 7, v82
	v_and_b32_e32 v66, 0x80000000, v66
	s_delay_alu instid0(VALU_DEP_2) | instskip(NEXT) | instid1(VALU_DEP_1)
	v_clz_i32_u32_e32 v116, v83
	v_min_u32_e32 v116, 32, v116
	s_delay_alu instid0(VALU_DEP_1) | instskip(SKIP_1) | instid1(VALU_DEP_2)
	v_subrev_nc_u32_e32 v117, 28, v116
	v_sub_nc_u32_e32 v116, 29, v116
	v_lshlrev_b32_e32 v117, v117, v82
	v_bfe_u32 v82, v82, 3, 4
	s_delay_alu instid0(VALU_DEP_2) | instskip(NEXT) | instid1(VALU_DEP_2)
	v_and_b32_e32 v117, 7, v117
	v_cmp_eq_u32_e32 vcc_lo, 0, v82
	s_delay_alu instid0(VALU_DEP_2) | instskip(NEXT) | instid1(VALU_DEP_1)
	v_dual_cndmask_b32 v82, v82, v116 :: v_dual_cndmask_b32 v83, v83, v117
	v_lshl_add_u32 v82, v82, 23, 0x3b800000
	s_delay_alu instid0(VALU_DEP_2) | instskip(NEXT) | instid1(VALU_DEP_1)
	v_lshlrev_b32_e32 v83, 20, v83
	v_or3_b32 v82, v66, v82, v83
.LBB6_12149:                            ;   in Loop: Header=BB6_11991 Depth=2
	s_or_b32 exec_lo, exec_lo, s22
	s_delay_alu instid0(VALU_DEP_1) | instskip(SKIP_2) | instid1(VALU_DEP_2)
	v_mul_f32_e32 v66, v87, v82
	v_mov_b32_e32 v116, 0x80
	s_mov_b32 s22, exec_lo
	v_and_b32_e32 v82, 0x7f800000, v66
	s_delay_alu instid0(VALU_DEP_1)
	v_cmpx_ne_u32_e32 0x7f800000, v82
	s_cbranch_execz .LBB6_12157
; %bb.12150:                            ;   in Loop: Header=BB6_11991 Depth=2
	v_mov_b32_e32 v116, 0
	s_mov_b32 s23, exec_lo
	v_cmpx_ne_u32_e32 0, v66
	s_cbranch_execz .LBB6_12156
; %bb.12151:                            ;   in Loop: Header=BB6_11991 Depth=2
	v_bfe_u32 v82, v66, 23, 8
	s_delay_alu instid0(VALU_DEP_1) | instskip(SKIP_1) | instid1(VALU_DEP_2)
	v_sub_nc_u32_e32 v116, 0x78, v82
	v_cmp_gt_u32_e32 vcc_lo, 0x79, v82
	v_dual_cndmask_b32 v116, 0, v116 :: v_dual_and_b32 v83, 0x7fffff, v66
	s_delay_alu instid0(VALU_DEP_1) | instskip(SKIP_2) | instid1(VALU_DEP_4)
	v_or_b32_e32 v117, 0x800000, v83
	v_cmp_eq_u32_e32 vcc_lo, 0, v82
	v_add_nc_u32_e32 v82, 0xffffff89, v82
	v_cndmask_b32_e64 v116, v116, 0x77, vcc_lo
	s_delay_alu instid0(VALU_DEP_4) | instskip(NEXT) | instid1(VALU_DEP_3)
	v_cndmask_b32_e32 v83, v117, v83, vcc_lo
	v_cndmask_b32_e64 v82, v82, 0xffffff8a, vcc_lo
	s_delay_alu instid0(VALU_DEP_3) | instskip(NEXT) | instid1(VALU_DEP_3)
	v_lshl_add_u32 v117, 0x100000, v116, -1
	v_lshrrev_b32_e32 v118, v116, v83
	v_lshlrev_b32_e64 v128, v116, 0x80000
	s_delay_alu instid0(VALU_DEP_4) | instskip(NEXT) | instid1(VALU_DEP_4)
	v_add_nc_u32_e32 v116, v116, v82
	v_and_b32_e32 v83, v117, v83
	s_delay_alu instid0(VALU_DEP_4) | instskip(NEXT) | instid1(VALU_DEP_2)
	v_bfe_u32 v119, v118, 20, 1
	v_cmp_eq_u32_e64 s10, v83, v128
	s_delay_alu instid0(VALU_DEP_2) | instskip(NEXT) | instid1(VALU_DEP_1)
	v_add_nc_u32_e32 v117, -1, v119
	v_cndmask_b32_e64 v83, 0, v117, s10
	v_lshrrev_b32_e32 v117, 23, v118
	s_mov_b32 s10, exec_lo
	s_delay_alu instid0(VALU_DEP_2) | instskip(NEXT) | instid1(VALU_DEP_2)
	v_add_nc_u32_e32 v83, v83, v118
	v_xor_b32_e32 v117, 1, v117
	s_delay_alu instid0(VALU_DEP_2) | instskip(NEXT) | instid1(VALU_DEP_1)
	v_and_b32_e32 v82, 0xfffff, v83
	v_add_nc_u32_e32 v83, v82, v118
                                        ; implicit-def: $vgpr82
	s_delay_alu instid0(VALU_DEP_3)
	v_cmpx_ne_u32_e64 v116, v117
	s_xor_b32 s10, exec_lo, s10
; %bb.12152:                            ;   in Loop: Header=BB6_11991 Depth=2
	s_delay_alu instid0(VALU_DEP_2) | instskip(SKIP_2) | instid1(VALU_DEP_2)
	v_cmp_lt_u32_e32 vcc_lo, 0xffffff, v83
	v_sub_nc_u32_e32 v82, v116, v117
	v_cndmask_b32_e64 v116, 0, 1, vcc_lo
	v_add_co_ci_u32_e32 v82, vcc_lo, 0, v82, vcc_lo
	s_delay_alu instid0(VALU_DEP_2)
	v_lshrrev_b32_e32 v83, v116, v83
; %bb.12153:                            ;   in Loop: Header=BB6_11991 Depth=2
	s_and_not1_saveexec_b32 s10, s10
; %bb.12154:                            ;   in Loop: Header=BB6_11991 Depth=2
	s_delay_alu instid0(VALU_DEP_1)
	v_bfe_u32 v82, v83, 23, 1
; %bb.12155:                            ;   in Loop: Header=BB6_11991 Depth=2
	s_or_b32 exec_lo, exec_lo, s10
	v_lshrrev_b32_e32 v83, 20, v83
	s_delay_alu instid0(VALU_DEP_2) | instskip(SKIP_2) | instid1(VALU_DEP_2)
	v_cmp_gt_i32_e32 vcc_lo, 16, v82
	v_lshrrev_b32_e32 v66, 24, v66
	v_min_i32_e32 v116, 15, v82
	v_dual_cndmask_b32 v83, 7, v83 :: v_dual_and_b32 v66, 0x80, v66
	s_delay_alu instid0(VALU_DEP_2) | instskip(NEXT) | instid1(VALU_DEP_2)
	v_lshlrev_b32_e32 v116, 3, v116
	v_or_b32_e32 v82, v82, v83
	s_delay_alu instid0(VALU_DEP_1) | instskip(SKIP_1) | instid1(VALU_DEP_1)
	v_cmp_ne_u32_e32 vcc_lo, 0, v82
	v_and_b32_e32 v117, 7, v83
	v_or3_b32 v66, v116, v66, v117
	s_delay_alu instid0(VALU_DEP_1)
	v_cndmask_b32_e32 v116, 0, v66, vcc_lo
.LBB6_12156:                            ;   in Loop: Header=BB6_11991 Depth=2
	s_or_b32 exec_lo, exec_lo, s23
.LBB6_12157:                            ;   in Loop: Header=BB6_11991 Depth=2
	s_delay_alu instid0(SALU_CYCLE_1)
	s_or_b32 exec_lo, exec_lo, s22
	flat_load_u8 v66, v[19:20] offset:416 slc dlc
	s_mov_b32 s10, 0
	s_mov_b32 s23, exec_lo
                                        ; implicit-def: $sgpr22
	s_waitcnt vmcnt(0) lgkmcnt(0)
	v_cmpx_lt_i16_e32 0x7f, v66
	s_xor_b32 s23, exec_lo, s23
	s_cbranch_execnz .LBB6_12438
; %bb.12158:                            ;   in Loop: Header=BB6_11991 Depth=2
	s_or_saveexec_b32 s23, s23
	v_mov_b32_e32 v82, s22
	s_xor_b32 exec_lo, exec_lo, s23
	s_cbranch_execnz .LBB6_12441
.LBB6_12159:                            ;   in Loop: Header=BB6_11991 Depth=2
	s_or_b32 exec_lo, exec_lo, s23
	s_and_saveexec_b32 s22, s10
	s_cbranch_execz .LBB6_12161
.LBB6_12160:                            ;   in Loop: Header=BB6_11991 Depth=2
	v_and_b32_e32 v82, 0xffff, v66
	v_lshlrev_b32_e32 v66, 24, v66
	s_delay_alu instid0(VALU_DEP_2) | instskip(NEXT) | instid1(VALU_DEP_2)
	v_and_b32_e32 v83, 7, v82
	v_and_b32_e32 v66, 0x80000000, v66
	s_delay_alu instid0(VALU_DEP_2) | instskip(NEXT) | instid1(VALU_DEP_1)
	v_clz_i32_u32_e32 v117, v83
	v_min_u32_e32 v117, 32, v117
	s_delay_alu instid0(VALU_DEP_1) | instskip(SKIP_1) | instid1(VALU_DEP_2)
	v_subrev_nc_u32_e32 v118, 28, v117
	v_sub_nc_u32_e32 v117, 29, v117
	v_lshlrev_b32_e32 v118, v118, v82
	v_bfe_u32 v82, v82, 3, 4
	s_delay_alu instid0(VALU_DEP_2) | instskip(NEXT) | instid1(VALU_DEP_2)
	v_and_b32_e32 v118, 7, v118
	v_cmp_eq_u32_e32 vcc_lo, 0, v82
	s_delay_alu instid0(VALU_DEP_2) | instskip(NEXT) | instid1(VALU_DEP_1)
	v_dual_cndmask_b32 v82, v82, v117 :: v_dual_cndmask_b32 v83, v83, v118
	v_lshl_add_u32 v82, v82, 23, 0x3b800000
	s_delay_alu instid0(VALU_DEP_2) | instskip(NEXT) | instid1(VALU_DEP_1)
	v_lshlrev_b32_e32 v83, 20, v83
	v_or3_b32 v82, v66, v82, v83
.LBB6_12161:                            ;   in Loop: Header=BB6_11991 Depth=2
	s_or_b32 exec_lo, exec_lo, s22
	s_delay_alu instid0(VALU_DEP_1) | instskip(SKIP_1) | instid1(VALU_DEP_1)
	v_dual_mul_f32 v66, v87, v82 :: v_dual_mov_b32 v117, 0x80
	s_mov_b32 s22, exec_lo
	v_and_b32_e32 v82, 0x7f800000, v66
	s_delay_alu instid0(VALU_DEP_1)
	v_cmpx_ne_u32_e32 0x7f800000, v82
	s_cbranch_execz .LBB6_12169
; %bb.12162:                            ;   in Loop: Header=BB6_11991 Depth=2
	v_mov_b32_e32 v117, 0
	s_mov_b32 s23, exec_lo
	v_cmpx_ne_u32_e32 0, v66
	s_cbranch_execz .LBB6_12168
; %bb.12163:                            ;   in Loop: Header=BB6_11991 Depth=2
	v_bfe_u32 v82, v66, 23, 8
	v_and_b32_e32 v83, 0x7fffff, v66
	s_delay_alu instid0(VALU_DEP_2) | instskip(SKIP_1) | instid1(VALU_DEP_3)
	v_sub_nc_u32_e32 v117, 0x78, v82
	v_cmp_gt_u32_e32 vcc_lo, 0x79, v82
	v_or_b32_e32 v118, 0x800000, v83
	s_delay_alu instid0(VALU_DEP_3) | instskip(SKIP_2) | instid1(VALU_DEP_3)
	v_cndmask_b32_e32 v117, 0, v117, vcc_lo
	v_cmp_eq_u32_e32 vcc_lo, 0, v82
	v_add_nc_u32_e32 v82, 0xffffff89, v82
	v_cndmask_b32_e64 v117, v117, 0x77, vcc_lo
	v_cndmask_b32_e32 v83, v118, v83, vcc_lo
	s_delay_alu instid0(VALU_DEP_3) | instskip(NEXT) | instid1(VALU_DEP_3)
	v_cndmask_b32_e64 v82, v82, 0xffffff8a, vcc_lo
	v_lshl_add_u32 v118, 0x100000, v117, -1
	s_delay_alu instid0(VALU_DEP_3) | instskip(SKIP_1) | instid1(VALU_DEP_4)
	v_lshrrev_b32_e32 v119, v117, v83
	v_lshlrev_b32_e64 v129, v117, 0x80000
	v_add_nc_u32_e32 v117, v117, v82
	s_delay_alu instid0(VALU_DEP_4) | instskip(NEXT) | instid1(VALU_DEP_4)
	v_and_b32_e32 v83, v118, v83
	v_bfe_u32 v128, v119, 20, 1
	s_delay_alu instid0(VALU_DEP_2) | instskip(NEXT) | instid1(VALU_DEP_2)
	v_cmp_eq_u32_e64 s10, v83, v129
	v_add_nc_u32_e32 v118, -1, v128
	s_delay_alu instid0(VALU_DEP_1) | instskip(SKIP_2) | instid1(VALU_DEP_2)
	v_cndmask_b32_e64 v83, 0, v118, s10
	v_lshrrev_b32_e32 v118, 23, v119
	s_mov_b32 s10, exec_lo
	v_add_nc_u32_e32 v83, v83, v119
	s_delay_alu instid0(VALU_DEP_2) | instskip(NEXT) | instid1(VALU_DEP_2)
	v_xor_b32_e32 v118, 1, v118
	v_and_b32_e32 v82, 0xfffff, v83
	s_delay_alu instid0(VALU_DEP_1) | instskip(NEXT) | instid1(VALU_DEP_3)
	v_add_nc_u32_e32 v83, v82, v119
                                        ; implicit-def: $vgpr82
	v_cmpx_ne_u32_e64 v117, v118
	s_xor_b32 s10, exec_lo, s10
; %bb.12164:                            ;   in Loop: Header=BB6_11991 Depth=2
	s_delay_alu instid0(VALU_DEP_2) | instskip(SKIP_2) | instid1(VALU_DEP_2)
	v_cmp_lt_u32_e32 vcc_lo, 0xffffff, v83
	v_sub_nc_u32_e32 v82, v117, v118
	v_cndmask_b32_e64 v117, 0, 1, vcc_lo
	v_add_co_ci_u32_e32 v82, vcc_lo, 0, v82, vcc_lo
	s_delay_alu instid0(VALU_DEP_2)
	v_lshrrev_b32_e32 v83, v117, v83
; %bb.12165:                            ;   in Loop: Header=BB6_11991 Depth=2
	s_and_not1_saveexec_b32 s10, s10
; %bb.12166:                            ;   in Loop: Header=BB6_11991 Depth=2
	s_delay_alu instid0(VALU_DEP_1)
	v_bfe_u32 v82, v83, 23, 1
; %bb.12167:                            ;   in Loop: Header=BB6_11991 Depth=2
	s_or_b32 exec_lo, exec_lo, s10
	v_lshrrev_b32_e32 v83, 20, v83
	s_delay_alu instid0(VALU_DEP_2) | instskip(SKIP_2) | instid1(VALU_DEP_2)
	v_cmp_gt_i32_e32 vcc_lo, 16, v82
	v_lshrrev_b32_e32 v66, 24, v66
	v_min_i32_e32 v117, 15, v82
	v_dual_cndmask_b32 v83, 7, v83 :: v_dual_and_b32 v66, 0x80, v66
	s_delay_alu instid0(VALU_DEP_2) | instskip(NEXT) | instid1(VALU_DEP_2)
	v_lshlrev_b32_e32 v117, 3, v117
	v_or_b32_e32 v82, v82, v83
	s_delay_alu instid0(VALU_DEP_1) | instskip(SKIP_1) | instid1(VALU_DEP_1)
	v_cmp_ne_u32_e32 vcc_lo, 0, v82
	v_and_b32_e32 v118, 7, v83
	v_or3_b32 v66, v117, v66, v118
	s_delay_alu instid0(VALU_DEP_1)
	v_cndmask_b32_e32 v117, 0, v66, vcc_lo
.LBB6_12168:                            ;   in Loop: Header=BB6_11991 Depth=2
	s_or_b32 exec_lo, exec_lo, s23
.LBB6_12169:                            ;   in Loop: Header=BB6_11991 Depth=2
	s_delay_alu instid0(SALU_CYCLE_1)
	s_or_b32 exec_lo, exec_lo, s22
	flat_load_u8 v66, v[19:20] offset:448 slc dlc
	s_mov_b32 s10, 0
	s_mov_b32 s23, exec_lo
                                        ; implicit-def: $sgpr22
	s_waitcnt vmcnt(0) lgkmcnt(0)
	v_cmpx_lt_i16_e32 0x7f, v66
	s_xor_b32 s23, exec_lo, s23
	s_cbranch_execnz .LBB6_12442
; %bb.12170:                            ;   in Loop: Header=BB6_11991 Depth=2
	s_or_saveexec_b32 s23, s23
	v_mov_b32_e32 v82, s22
	s_xor_b32 exec_lo, exec_lo, s23
	s_cbranch_execnz .LBB6_12445
.LBB6_12171:                            ;   in Loop: Header=BB6_11991 Depth=2
	s_or_b32 exec_lo, exec_lo, s23
	s_and_saveexec_b32 s22, s10
	s_cbranch_execz .LBB6_12173
.LBB6_12172:                            ;   in Loop: Header=BB6_11991 Depth=2
	v_and_b32_e32 v82, 0xffff, v66
	v_lshlrev_b32_e32 v66, 24, v66
	s_delay_alu instid0(VALU_DEP_2) | instskip(NEXT) | instid1(VALU_DEP_2)
	v_and_b32_e32 v83, 7, v82
	v_and_b32_e32 v66, 0x80000000, v66
	s_delay_alu instid0(VALU_DEP_2) | instskip(NEXT) | instid1(VALU_DEP_1)
	v_clz_i32_u32_e32 v118, v83
	v_min_u32_e32 v118, 32, v118
	s_delay_alu instid0(VALU_DEP_1) | instskip(SKIP_1) | instid1(VALU_DEP_2)
	v_subrev_nc_u32_e32 v119, 28, v118
	v_sub_nc_u32_e32 v118, 29, v118
	v_lshlrev_b32_e32 v119, v119, v82
	v_bfe_u32 v82, v82, 3, 4
	s_delay_alu instid0(VALU_DEP_1) | instskip(NEXT) | instid1(VALU_DEP_3)
	v_cmp_eq_u32_e32 vcc_lo, 0, v82
	v_dual_cndmask_b32 v82, v82, v118 :: v_dual_and_b32 v119, 7, v119
	s_delay_alu instid0(VALU_DEP_1) | instskip(NEXT) | instid1(VALU_DEP_2)
	v_cndmask_b32_e32 v83, v83, v119, vcc_lo
	v_lshl_add_u32 v82, v82, 23, 0x3b800000
	s_delay_alu instid0(VALU_DEP_2) | instskip(NEXT) | instid1(VALU_DEP_1)
	v_lshlrev_b32_e32 v83, 20, v83
	v_or3_b32 v82, v66, v82, v83
.LBB6_12173:                            ;   in Loop: Header=BB6_11991 Depth=2
	s_or_b32 exec_lo, exec_lo, s22
	s_delay_alu instid0(VALU_DEP_1) | instskip(SKIP_2) | instid1(VALU_DEP_2)
	v_mul_f32_e32 v66, v87, v82
	v_mov_b32_e32 v118, 0x80
	s_mov_b32 s22, exec_lo
	v_and_b32_e32 v82, 0x7f800000, v66
	s_delay_alu instid0(VALU_DEP_1)
	v_cmpx_ne_u32_e32 0x7f800000, v82
	s_cbranch_execz .LBB6_12181
; %bb.12174:                            ;   in Loop: Header=BB6_11991 Depth=2
	v_mov_b32_e32 v118, 0
	s_mov_b32 s23, exec_lo
	v_cmpx_ne_u32_e32 0, v66
	s_cbranch_execz .LBB6_12180
; %bb.12175:                            ;   in Loop: Header=BB6_11991 Depth=2
	v_bfe_u32 v82, v66, 23, 8
	v_and_b32_e32 v83, 0x7fffff, v66
	s_delay_alu instid0(VALU_DEP_2) | instskip(SKIP_1) | instid1(VALU_DEP_3)
	v_sub_nc_u32_e32 v118, 0x78, v82
	v_cmp_gt_u32_e32 vcc_lo, 0x79, v82
	v_or_b32_e32 v119, 0x800000, v83
	s_delay_alu instid0(VALU_DEP_3) | instskip(SKIP_1) | instid1(VALU_DEP_3)
	v_cndmask_b32_e32 v118, 0, v118, vcc_lo
	v_cmp_eq_u32_e32 vcc_lo, 0, v82
	v_dual_cndmask_b32 v83, v119, v83 :: v_dual_add_nc_u32 v82, 0xffffff89, v82
	s_delay_alu instid0(VALU_DEP_3) | instskip(NEXT) | instid1(VALU_DEP_2)
	v_cndmask_b32_e64 v118, v118, 0x77, vcc_lo
	v_cndmask_b32_e64 v82, v82, 0xffffff8a, vcc_lo
	s_delay_alu instid0(VALU_DEP_2) | instskip(SKIP_2) | instid1(VALU_DEP_4)
	v_lshrrev_b32_e32 v128, v118, v83
	v_lshl_add_u32 v119, 0x100000, v118, -1
	v_lshlrev_b32_e64 v130, v118, 0x80000
	v_add_nc_u32_e32 v118, v118, v82
	s_delay_alu instid0(VALU_DEP_4) | instskip(NEXT) | instid1(VALU_DEP_4)
	v_bfe_u32 v129, v128, 20, 1
	v_and_b32_e32 v83, v119, v83
	s_delay_alu instid0(VALU_DEP_2) | instskip(NEXT) | instid1(VALU_DEP_2)
	v_add_nc_u32_e32 v119, -1, v129
	v_cmp_eq_u32_e64 s10, v83, v130
	s_delay_alu instid0(VALU_DEP_1) | instskip(SKIP_2) | instid1(VALU_DEP_2)
	v_cndmask_b32_e64 v83, 0, v119, s10
	v_lshrrev_b32_e32 v119, 23, v128
	s_mov_b32 s10, exec_lo
	v_add_nc_u32_e32 v83, v83, v128
	s_delay_alu instid0(VALU_DEP_2) | instskip(NEXT) | instid1(VALU_DEP_2)
	v_xor_b32_e32 v119, 1, v119
	v_and_b32_e32 v82, 0xfffff, v83
	s_delay_alu instid0(VALU_DEP_1) | instskip(NEXT) | instid1(VALU_DEP_3)
	v_add_nc_u32_e32 v83, v82, v128
                                        ; implicit-def: $vgpr82
	v_cmpx_ne_u32_e64 v118, v119
	s_xor_b32 s10, exec_lo, s10
; %bb.12176:                            ;   in Loop: Header=BB6_11991 Depth=2
	s_delay_alu instid0(VALU_DEP_2) | instskip(SKIP_2) | instid1(VALU_DEP_2)
	v_cmp_lt_u32_e32 vcc_lo, 0xffffff, v83
	v_sub_nc_u32_e32 v82, v118, v119
	v_cndmask_b32_e64 v118, 0, 1, vcc_lo
	v_add_co_ci_u32_e32 v82, vcc_lo, 0, v82, vcc_lo
	s_delay_alu instid0(VALU_DEP_2)
	v_lshrrev_b32_e32 v83, v118, v83
; %bb.12177:                            ;   in Loop: Header=BB6_11991 Depth=2
	s_and_not1_saveexec_b32 s10, s10
; %bb.12178:                            ;   in Loop: Header=BB6_11991 Depth=2
	s_delay_alu instid0(VALU_DEP_1)
	v_bfe_u32 v82, v83, 23, 1
; %bb.12179:                            ;   in Loop: Header=BB6_11991 Depth=2
	s_or_b32 exec_lo, exec_lo, s10
	v_lshrrev_b32_e32 v83, 20, v83
	s_delay_alu instid0(VALU_DEP_2) | instskip(SKIP_2) | instid1(VALU_DEP_2)
	v_cmp_gt_i32_e32 vcc_lo, 16, v82
	v_lshrrev_b32_e32 v66, 24, v66
	v_min_i32_e32 v118, 15, v82
	v_dual_cndmask_b32 v83, 7, v83 :: v_dual_and_b32 v66, 0x80, v66
	s_delay_alu instid0(VALU_DEP_2) | instskip(NEXT) | instid1(VALU_DEP_2)
	v_lshlrev_b32_e32 v118, 3, v118
	v_or_b32_e32 v82, v82, v83
	s_delay_alu instid0(VALU_DEP_1) | instskip(SKIP_1) | instid1(VALU_DEP_1)
	v_cmp_ne_u32_e32 vcc_lo, 0, v82
	v_and_b32_e32 v119, 7, v83
	v_or3_b32 v66, v118, v66, v119
	s_delay_alu instid0(VALU_DEP_1)
	v_cndmask_b32_e32 v118, 0, v66, vcc_lo
.LBB6_12180:                            ;   in Loop: Header=BB6_11991 Depth=2
	s_or_b32 exec_lo, exec_lo, s23
.LBB6_12181:                            ;   in Loop: Header=BB6_11991 Depth=2
	s_delay_alu instid0(SALU_CYCLE_1)
	s_or_b32 exec_lo, exec_lo, s22
	flat_load_u8 v66, v[19:20] offset:480 slc dlc
	s_mov_b32 s10, 0
	s_mov_b32 s23, exec_lo
                                        ; implicit-def: $sgpr22
	s_waitcnt vmcnt(0) lgkmcnt(0)
	v_cmpx_lt_i16_e32 0x7f, v66
	s_xor_b32 s23, exec_lo, s23
	s_cbranch_execnz .LBB6_12446
; %bb.12182:                            ;   in Loop: Header=BB6_11991 Depth=2
	s_or_saveexec_b32 s23, s23
	v_mov_b32_e32 v82, s22
	s_xor_b32 exec_lo, exec_lo, s23
	s_cbranch_execnz .LBB6_12449
.LBB6_12183:                            ;   in Loop: Header=BB6_11991 Depth=2
	s_or_b32 exec_lo, exec_lo, s23
	s_and_saveexec_b32 s22, s10
	s_cbranch_execz .LBB6_12185
.LBB6_12184:                            ;   in Loop: Header=BB6_11991 Depth=2
	v_and_b32_e32 v82, 0xffff, v66
	v_lshlrev_b32_e32 v66, 24, v66
	s_delay_alu instid0(VALU_DEP_2) | instskip(NEXT) | instid1(VALU_DEP_2)
	v_and_b32_e32 v83, 7, v82
	v_and_b32_e32 v66, 0x80000000, v66
	s_delay_alu instid0(VALU_DEP_2) | instskip(NEXT) | instid1(VALU_DEP_1)
	v_clz_i32_u32_e32 v119, v83
	v_min_u32_e32 v119, 32, v119
	s_delay_alu instid0(VALU_DEP_1) | instskip(SKIP_1) | instid1(VALU_DEP_2)
	v_subrev_nc_u32_e32 v128, 28, v119
	v_sub_nc_u32_e32 v119, 29, v119
	v_lshlrev_b32_e32 v128, v128, v82
	v_bfe_u32 v82, v82, 3, 4
	s_delay_alu instid0(VALU_DEP_2) | instskip(NEXT) | instid1(VALU_DEP_2)
	v_and_b32_e32 v128, 7, v128
	v_cmp_eq_u32_e32 vcc_lo, 0, v82
	s_delay_alu instid0(VALU_DEP_2) | instskip(NEXT) | instid1(VALU_DEP_1)
	v_dual_cndmask_b32 v82, v82, v119 :: v_dual_cndmask_b32 v83, v83, v128
	v_lshl_add_u32 v82, v82, 23, 0x3b800000
	s_delay_alu instid0(VALU_DEP_2) | instskip(NEXT) | instid1(VALU_DEP_1)
	v_lshlrev_b32_e32 v83, 20, v83
	v_or3_b32 v82, v66, v82, v83
.LBB6_12185:                            ;   in Loop: Header=BB6_11991 Depth=2
	s_or_b32 exec_lo, exec_lo, s22
	s_delay_alu instid0(VALU_DEP_1) | instskip(SKIP_1) | instid1(VALU_DEP_1)
	v_dual_mul_f32 v66, v87, v82 :: v_dual_mov_b32 v119, 0x80
	s_mov_b32 s22, exec_lo
	v_and_b32_e32 v82, 0x7f800000, v66
	s_delay_alu instid0(VALU_DEP_1)
	v_cmpx_ne_u32_e32 0x7f800000, v82
	s_cbranch_execz .LBB6_12193
; %bb.12186:                            ;   in Loop: Header=BB6_11991 Depth=2
	v_mov_b32_e32 v119, 0
	s_mov_b32 s23, exec_lo
	v_cmpx_ne_u32_e32 0, v66
	s_cbranch_execz .LBB6_12192
; %bb.12187:                            ;   in Loop: Header=BB6_11991 Depth=2
	v_bfe_u32 v82, v66, 23, 8
	v_and_b32_e32 v83, 0x7fffff, v66
	s_delay_alu instid0(VALU_DEP_2) | instskip(SKIP_1) | instid1(VALU_DEP_3)
	v_sub_nc_u32_e32 v119, 0x78, v82
	v_cmp_gt_u32_e32 vcc_lo, 0x79, v82
	v_or_b32_e32 v128, 0x800000, v83
	s_delay_alu instid0(VALU_DEP_3) | instskip(SKIP_2) | instid1(VALU_DEP_3)
	v_cndmask_b32_e32 v119, 0, v119, vcc_lo
	v_cmp_eq_u32_e32 vcc_lo, 0, v82
	v_add_nc_u32_e32 v82, 0xffffff89, v82
	v_cndmask_b32_e64 v119, v119, 0x77, vcc_lo
	v_cndmask_b32_e32 v83, v128, v83, vcc_lo
	s_delay_alu instid0(VALU_DEP_3) | instskip(NEXT) | instid1(VALU_DEP_3)
	v_cndmask_b32_e64 v82, v82, 0xffffff8a, vcc_lo
	v_lshl_add_u32 v128, 0x100000, v119, -1
	s_delay_alu instid0(VALU_DEP_3) | instskip(SKIP_1) | instid1(VALU_DEP_4)
	v_lshrrev_b32_e32 v129, v119, v83
	v_lshlrev_b32_e64 v131, v119, 0x80000
	v_add_nc_u32_e32 v119, v119, v82
	s_delay_alu instid0(VALU_DEP_4) | instskip(NEXT) | instid1(VALU_DEP_4)
	v_and_b32_e32 v83, v128, v83
	v_bfe_u32 v130, v129, 20, 1
	s_delay_alu instid0(VALU_DEP_2) | instskip(NEXT) | instid1(VALU_DEP_2)
	v_cmp_eq_u32_e64 s10, v83, v131
	v_add_nc_u32_e32 v128, -1, v130
	s_delay_alu instid0(VALU_DEP_1) | instskip(SKIP_2) | instid1(VALU_DEP_2)
	v_cndmask_b32_e64 v83, 0, v128, s10
	v_lshrrev_b32_e32 v128, 23, v129
	s_mov_b32 s10, exec_lo
	v_add_nc_u32_e32 v83, v83, v129
	s_delay_alu instid0(VALU_DEP_2) | instskip(NEXT) | instid1(VALU_DEP_2)
	v_xor_b32_e32 v128, 1, v128
	v_and_b32_e32 v82, 0xfffff, v83
	s_delay_alu instid0(VALU_DEP_1) | instskip(NEXT) | instid1(VALU_DEP_3)
	v_add_nc_u32_e32 v83, v82, v129
                                        ; implicit-def: $vgpr82
	v_cmpx_ne_u32_e64 v119, v128
	s_xor_b32 s10, exec_lo, s10
; %bb.12188:                            ;   in Loop: Header=BB6_11991 Depth=2
	s_delay_alu instid0(VALU_DEP_2) | instskip(SKIP_2) | instid1(VALU_DEP_2)
	v_cmp_lt_u32_e32 vcc_lo, 0xffffff, v83
	v_sub_nc_u32_e32 v82, v119, v128
	v_cndmask_b32_e64 v119, 0, 1, vcc_lo
	v_add_co_ci_u32_e32 v82, vcc_lo, 0, v82, vcc_lo
	s_delay_alu instid0(VALU_DEP_2)
	v_lshrrev_b32_e32 v83, v119, v83
; %bb.12189:                            ;   in Loop: Header=BB6_11991 Depth=2
	s_and_not1_saveexec_b32 s10, s10
; %bb.12190:                            ;   in Loop: Header=BB6_11991 Depth=2
	s_delay_alu instid0(VALU_DEP_1)
	v_bfe_u32 v82, v83, 23, 1
; %bb.12191:                            ;   in Loop: Header=BB6_11991 Depth=2
	s_or_b32 exec_lo, exec_lo, s10
	v_lshrrev_b32_e32 v83, 20, v83
	s_delay_alu instid0(VALU_DEP_2) | instskip(SKIP_2) | instid1(VALU_DEP_2)
	v_cmp_gt_i32_e32 vcc_lo, 16, v82
	v_lshrrev_b32_e32 v66, 24, v66
	v_min_i32_e32 v119, 15, v82
	v_dual_cndmask_b32 v83, 7, v83 :: v_dual_and_b32 v66, 0x80, v66
	s_delay_alu instid0(VALU_DEP_2) | instskip(NEXT) | instid1(VALU_DEP_2)
	v_lshlrev_b32_e32 v119, 3, v119
	v_or_b32_e32 v82, v82, v83
	s_delay_alu instid0(VALU_DEP_1) | instskip(SKIP_1) | instid1(VALU_DEP_1)
	v_cmp_ne_u32_e32 vcc_lo, 0, v82
	v_and_b32_e32 v128, 7, v83
	v_or3_b32 v66, v119, v66, v128
	s_delay_alu instid0(VALU_DEP_1)
	v_cndmask_b32_e32 v119, 0, v66, vcc_lo
.LBB6_12192:                            ;   in Loop: Header=BB6_11991 Depth=2
	s_or_b32 exec_lo, exec_lo, s23
.LBB6_12193:                            ;   in Loop: Header=BB6_11991 Depth=2
	s_delay_alu instid0(SALU_CYCLE_1)
	s_or_b32 exec_lo, exec_lo, s22
	flat_load_u8 v66, v[19:20] offset:512 slc dlc
	s_mov_b32 s10, 0
	s_mov_b32 s23, exec_lo
                                        ; implicit-def: $sgpr22
	s_waitcnt vmcnt(0) lgkmcnt(0)
	v_cmpx_lt_i16_e32 0x7f, v66
	s_xor_b32 s23, exec_lo, s23
	s_cbranch_execnz .LBB6_12450
; %bb.12194:                            ;   in Loop: Header=BB6_11991 Depth=2
	s_or_saveexec_b32 s23, s23
	v_mov_b32_e32 v82, s22
	s_xor_b32 exec_lo, exec_lo, s23
	s_cbranch_execnz .LBB6_12453
.LBB6_12195:                            ;   in Loop: Header=BB6_11991 Depth=2
	s_or_b32 exec_lo, exec_lo, s23
	s_and_saveexec_b32 s22, s10
	s_cbranch_execz .LBB6_12197
.LBB6_12196:                            ;   in Loop: Header=BB6_11991 Depth=2
	v_and_b32_e32 v82, 0xffff, v66
	v_lshlrev_b32_e32 v66, 24, v66
	s_delay_alu instid0(VALU_DEP_2) | instskip(NEXT) | instid1(VALU_DEP_2)
	v_and_b32_e32 v83, 7, v82
	v_and_b32_e32 v66, 0x80000000, v66
	s_delay_alu instid0(VALU_DEP_2) | instskip(NEXT) | instid1(VALU_DEP_1)
	v_clz_i32_u32_e32 v128, v83
	v_min_u32_e32 v128, 32, v128
	s_delay_alu instid0(VALU_DEP_1) | instskip(SKIP_1) | instid1(VALU_DEP_2)
	v_subrev_nc_u32_e32 v129, 28, v128
	v_sub_nc_u32_e32 v128, 29, v128
	v_lshlrev_b32_e32 v129, v129, v82
	v_bfe_u32 v82, v82, 3, 4
	s_delay_alu instid0(VALU_DEP_2) | instskip(NEXT) | instid1(VALU_DEP_2)
	v_and_b32_e32 v129, 7, v129
	v_cmp_eq_u32_e32 vcc_lo, 0, v82
	s_delay_alu instid0(VALU_DEP_2) | instskip(NEXT) | instid1(VALU_DEP_1)
	v_dual_cndmask_b32 v82, v82, v128 :: v_dual_cndmask_b32 v83, v83, v129
	v_lshl_add_u32 v82, v82, 23, 0x3b800000
	s_delay_alu instid0(VALU_DEP_2) | instskip(NEXT) | instid1(VALU_DEP_1)
	v_lshlrev_b32_e32 v83, 20, v83
	v_or3_b32 v82, v66, v82, v83
.LBB6_12197:                            ;   in Loop: Header=BB6_11991 Depth=2
	s_or_b32 exec_lo, exec_lo, s22
	s_delay_alu instid0(VALU_DEP_1) | instskip(SKIP_2) | instid1(VALU_DEP_2)
	v_mul_f32_e32 v66, v87, v82
	v_mov_b32_e32 v128, 0x80
	s_mov_b32 s22, exec_lo
	v_and_b32_e32 v82, 0x7f800000, v66
	s_delay_alu instid0(VALU_DEP_1)
	v_cmpx_ne_u32_e32 0x7f800000, v82
	s_cbranch_execz .LBB6_12205
; %bb.12198:                            ;   in Loop: Header=BB6_11991 Depth=2
	v_mov_b32_e32 v128, 0
	s_mov_b32 s23, exec_lo
	v_cmpx_ne_u32_e32 0, v66
	s_cbranch_execz .LBB6_12204
; %bb.12199:                            ;   in Loop: Header=BB6_11991 Depth=2
	v_bfe_u32 v82, v66, 23, 8
	s_delay_alu instid0(VALU_DEP_1) | instskip(SKIP_1) | instid1(VALU_DEP_2)
	v_sub_nc_u32_e32 v128, 0x78, v82
	v_cmp_gt_u32_e32 vcc_lo, 0x79, v82
	v_dual_cndmask_b32 v128, 0, v128 :: v_dual_and_b32 v83, 0x7fffff, v66
	s_delay_alu instid0(VALU_DEP_1) | instskip(SKIP_2) | instid1(VALU_DEP_4)
	v_or_b32_e32 v129, 0x800000, v83
	v_cmp_eq_u32_e32 vcc_lo, 0, v82
	v_add_nc_u32_e32 v82, 0xffffff89, v82
	v_cndmask_b32_e64 v128, v128, 0x77, vcc_lo
	s_delay_alu instid0(VALU_DEP_4) | instskip(NEXT) | instid1(VALU_DEP_3)
	v_cndmask_b32_e32 v83, v129, v83, vcc_lo
	v_cndmask_b32_e64 v82, v82, 0xffffff8a, vcc_lo
	s_delay_alu instid0(VALU_DEP_3) | instskip(NEXT) | instid1(VALU_DEP_3)
	v_lshl_add_u32 v129, 0x100000, v128, -1
	v_lshrrev_b32_e32 v130, v128, v83
	v_lshlrev_b32_e64 v132, v128, 0x80000
	s_delay_alu instid0(VALU_DEP_4) | instskip(NEXT) | instid1(VALU_DEP_4)
	v_add_nc_u32_e32 v128, v128, v82
	v_and_b32_e32 v83, v129, v83
	s_delay_alu instid0(VALU_DEP_4) | instskip(NEXT) | instid1(VALU_DEP_2)
	v_bfe_u32 v131, v130, 20, 1
	v_cmp_eq_u32_e64 s10, v83, v132
	s_delay_alu instid0(VALU_DEP_2) | instskip(NEXT) | instid1(VALU_DEP_1)
	v_add_nc_u32_e32 v129, -1, v131
	v_cndmask_b32_e64 v83, 0, v129, s10
	v_lshrrev_b32_e32 v129, 23, v130
	s_mov_b32 s10, exec_lo
	s_delay_alu instid0(VALU_DEP_2) | instskip(NEXT) | instid1(VALU_DEP_2)
	v_add_nc_u32_e32 v83, v83, v130
	v_xor_b32_e32 v129, 1, v129
	s_delay_alu instid0(VALU_DEP_2) | instskip(NEXT) | instid1(VALU_DEP_1)
	v_and_b32_e32 v82, 0xfffff, v83
	v_add_nc_u32_e32 v83, v82, v130
                                        ; implicit-def: $vgpr82
	s_delay_alu instid0(VALU_DEP_3)
	v_cmpx_ne_u32_e64 v128, v129
	s_xor_b32 s10, exec_lo, s10
; %bb.12200:                            ;   in Loop: Header=BB6_11991 Depth=2
	s_delay_alu instid0(VALU_DEP_2) | instskip(SKIP_2) | instid1(VALU_DEP_2)
	v_cmp_lt_u32_e32 vcc_lo, 0xffffff, v83
	v_sub_nc_u32_e32 v82, v128, v129
	v_cndmask_b32_e64 v128, 0, 1, vcc_lo
	v_add_co_ci_u32_e32 v82, vcc_lo, 0, v82, vcc_lo
	s_delay_alu instid0(VALU_DEP_2)
	v_lshrrev_b32_e32 v83, v128, v83
; %bb.12201:                            ;   in Loop: Header=BB6_11991 Depth=2
	s_and_not1_saveexec_b32 s10, s10
; %bb.12202:                            ;   in Loop: Header=BB6_11991 Depth=2
	s_delay_alu instid0(VALU_DEP_1)
	v_bfe_u32 v82, v83, 23, 1
; %bb.12203:                            ;   in Loop: Header=BB6_11991 Depth=2
	s_or_b32 exec_lo, exec_lo, s10
	v_lshrrev_b32_e32 v83, 20, v83
	s_delay_alu instid0(VALU_DEP_2) | instskip(SKIP_2) | instid1(VALU_DEP_2)
	v_cmp_gt_i32_e32 vcc_lo, 16, v82
	v_lshrrev_b32_e32 v66, 24, v66
	v_min_i32_e32 v128, 15, v82
	v_dual_cndmask_b32 v83, 7, v83 :: v_dual_and_b32 v66, 0x80, v66
	s_delay_alu instid0(VALU_DEP_2) | instskip(NEXT) | instid1(VALU_DEP_2)
	v_lshlrev_b32_e32 v128, 3, v128
	v_or_b32_e32 v82, v82, v83
	s_delay_alu instid0(VALU_DEP_1) | instskip(SKIP_1) | instid1(VALU_DEP_1)
	v_cmp_ne_u32_e32 vcc_lo, 0, v82
	v_and_b32_e32 v129, 7, v83
	v_or3_b32 v66, v128, v66, v129
	s_delay_alu instid0(VALU_DEP_1)
	v_cndmask_b32_e32 v128, 0, v66, vcc_lo
.LBB6_12204:                            ;   in Loop: Header=BB6_11991 Depth=2
	s_or_b32 exec_lo, exec_lo, s23
.LBB6_12205:                            ;   in Loop: Header=BB6_11991 Depth=2
	s_delay_alu instid0(SALU_CYCLE_1)
	s_or_b32 exec_lo, exec_lo, s22
	flat_load_u8 v66, v[19:20] offset:544 slc dlc
	s_mov_b32 s10, 0
	s_mov_b32 s23, exec_lo
                                        ; implicit-def: $sgpr22
	s_waitcnt vmcnt(0) lgkmcnt(0)
	v_cmpx_lt_i16_e32 0x7f, v66
	s_xor_b32 s23, exec_lo, s23
	s_cbranch_execnz .LBB6_12454
; %bb.12206:                            ;   in Loop: Header=BB6_11991 Depth=2
	s_or_saveexec_b32 s23, s23
	v_mov_b32_e32 v82, s22
	s_xor_b32 exec_lo, exec_lo, s23
	s_cbranch_execnz .LBB6_12457
.LBB6_12207:                            ;   in Loop: Header=BB6_11991 Depth=2
	s_or_b32 exec_lo, exec_lo, s23
	s_and_saveexec_b32 s22, s10
	s_cbranch_execz .LBB6_12209
.LBB6_12208:                            ;   in Loop: Header=BB6_11991 Depth=2
	v_and_b32_e32 v82, 0xffff, v66
	v_lshlrev_b32_e32 v66, 24, v66
	s_delay_alu instid0(VALU_DEP_2) | instskip(NEXT) | instid1(VALU_DEP_2)
	v_and_b32_e32 v83, 7, v82
	v_and_b32_e32 v66, 0x80000000, v66
	s_delay_alu instid0(VALU_DEP_2) | instskip(NEXT) | instid1(VALU_DEP_1)
	v_clz_i32_u32_e32 v129, v83
	v_min_u32_e32 v129, 32, v129
	s_delay_alu instid0(VALU_DEP_1) | instskip(SKIP_1) | instid1(VALU_DEP_2)
	v_subrev_nc_u32_e32 v130, 28, v129
	v_sub_nc_u32_e32 v129, 29, v129
	v_lshlrev_b32_e32 v130, v130, v82
	v_bfe_u32 v82, v82, 3, 4
	s_delay_alu instid0(VALU_DEP_2) | instskip(NEXT) | instid1(VALU_DEP_2)
	v_and_b32_e32 v130, 7, v130
	v_cmp_eq_u32_e32 vcc_lo, 0, v82
	s_delay_alu instid0(VALU_DEP_2) | instskip(NEXT) | instid1(VALU_DEP_1)
	v_dual_cndmask_b32 v82, v82, v129 :: v_dual_cndmask_b32 v83, v83, v130
	v_lshl_add_u32 v82, v82, 23, 0x3b800000
	s_delay_alu instid0(VALU_DEP_2) | instskip(NEXT) | instid1(VALU_DEP_1)
	v_lshlrev_b32_e32 v83, 20, v83
	v_or3_b32 v82, v66, v82, v83
.LBB6_12209:                            ;   in Loop: Header=BB6_11991 Depth=2
	s_or_b32 exec_lo, exec_lo, s22
	s_delay_alu instid0(VALU_DEP_1) | instskip(SKIP_1) | instid1(VALU_DEP_1)
	v_dual_mul_f32 v66, v87, v82 :: v_dual_mov_b32 v129, 0x80
	s_mov_b32 s22, exec_lo
	v_and_b32_e32 v82, 0x7f800000, v66
	s_delay_alu instid0(VALU_DEP_1)
	v_cmpx_ne_u32_e32 0x7f800000, v82
	s_cbranch_execz .LBB6_12217
; %bb.12210:                            ;   in Loop: Header=BB6_11991 Depth=2
	v_mov_b32_e32 v129, 0
	s_mov_b32 s23, exec_lo
	v_cmpx_ne_u32_e32 0, v66
	s_cbranch_execz .LBB6_12216
; %bb.12211:                            ;   in Loop: Header=BB6_11991 Depth=2
	v_bfe_u32 v82, v66, 23, 8
	v_and_b32_e32 v83, 0x7fffff, v66
	s_delay_alu instid0(VALU_DEP_2) | instskip(SKIP_1) | instid1(VALU_DEP_3)
	v_sub_nc_u32_e32 v129, 0x78, v82
	v_cmp_gt_u32_e32 vcc_lo, 0x79, v82
	v_or_b32_e32 v130, 0x800000, v83
	s_delay_alu instid0(VALU_DEP_3) | instskip(SKIP_2) | instid1(VALU_DEP_3)
	v_cndmask_b32_e32 v129, 0, v129, vcc_lo
	v_cmp_eq_u32_e32 vcc_lo, 0, v82
	v_add_nc_u32_e32 v82, 0xffffff89, v82
	v_cndmask_b32_e64 v129, v129, 0x77, vcc_lo
	v_cndmask_b32_e32 v83, v130, v83, vcc_lo
	s_delay_alu instid0(VALU_DEP_3) | instskip(NEXT) | instid1(VALU_DEP_3)
	v_cndmask_b32_e64 v82, v82, 0xffffff8a, vcc_lo
	v_lshl_add_u32 v130, 0x100000, v129, -1
	s_delay_alu instid0(VALU_DEP_3) | instskip(SKIP_1) | instid1(VALU_DEP_4)
	v_lshrrev_b32_e32 v131, v129, v83
	v_lshlrev_b32_e64 v133, v129, 0x80000
	v_add_nc_u32_e32 v129, v129, v82
	s_delay_alu instid0(VALU_DEP_4) | instskip(NEXT) | instid1(VALU_DEP_4)
	v_and_b32_e32 v83, v130, v83
	v_bfe_u32 v132, v131, 20, 1
	s_delay_alu instid0(VALU_DEP_2) | instskip(NEXT) | instid1(VALU_DEP_2)
	v_cmp_eq_u32_e64 s10, v83, v133
	v_add_nc_u32_e32 v130, -1, v132
	s_delay_alu instid0(VALU_DEP_1) | instskip(SKIP_2) | instid1(VALU_DEP_2)
	v_cndmask_b32_e64 v83, 0, v130, s10
	v_lshrrev_b32_e32 v130, 23, v131
	s_mov_b32 s10, exec_lo
	v_add_nc_u32_e32 v83, v83, v131
	s_delay_alu instid0(VALU_DEP_2) | instskip(NEXT) | instid1(VALU_DEP_2)
	v_xor_b32_e32 v130, 1, v130
	v_and_b32_e32 v82, 0xfffff, v83
	s_delay_alu instid0(VALU_DEP_1) | instskip(NEXT) | instid1(VALU_DEP_3)
	v_add_nc_u32_e32 v83, v82, v131
                                        ; implicit-def: $vgpr82
	v_cmpx_ne_u32_e64 v129, v130
	s_xor_b32 s10, exec_lo, s10
; %bb.12212:                            ;   in Loop: Header=BB6_11991 Depth=2
	s_delay_alu instid0(VALU_DEP_2) | instskip(SKIP_2) | instid1(VALU_DEP_2)
	v_cmp_lt_u32_e32 vcc_lo, 0xffffff, v83
	v_sub_nc_u32_e32 v82, v129, v130
	v_cndmask_b32_e64 v129, 0, 1, vcc_lo
	v_add_co_ci_u32_e32 v82, vcc_lo, 0, v82, vcc_lo
	s_delay_alu instid0(VALU_DEP_2)
	v_lshrrev_b32_e32 v83, v129, v83
; %bb.12213:                            ;   in Loop: Header=BB6_11991 Depth=2
	s_and_not1_saveexec_b32 s10, s10
; %bb.12214:                            ;   in Loop: Header=BB6_11991 Depth=2
	s_delay_alu instid0(VALU_DEP_1)
	v_bfe_u32 v82, v83, 23, 1
; %bb.12215:                            ;   in Loop: Header=BB6_11991 Depth=2
	s_or_b32 exec_lo, exec_lo, s10
	v_lshrrev_b32_e32 v83, 20, v83
	s_delay_alu instid0(VALU_DEP_2) | instskip(SKIP_2) | instid1(VALU_DEP_2)
	v_cmp_gt_i32_e32 vcc_lo, 16, v82
	v_lshrrev_b32_e32 v66, 24, v66
	v_min_i32_e32 v129, 15, v82
	v_dual_cndmask_b32 v83, 7, v83 :: v_dual_and_b32 v66, 0x80, v66
	s_delay_alu instid0(VALU_DEP_2) | instskip(NEXT) | instid1(VALU_DEP_2)
	v_lshlrev_b32_e32 v129, 3, v129
	v_or_b32_e32 v82, v82, v83
	s_delay_alu instid0(VALU_DEP_1) | instskip(SKIP_1) | instid1(VALU_DEP_1)
	v_cmp_ne_u32_e32 vcc_lo, 0, v82
	v_and_b32_e32 v130, 7, v83
	v_or3_b32 v66, v129, v66, v130
	s_delay_alu instid0(VALU_DEP_1)
	v_cndmask_b32_e32 v129, 0, v66, vcc_lo
.LBB6_12216:                            ;   in Loop: Header=BB6_11991 Depth=2
	s_or_b32 exec_lo, exec_lo, s23
.LBB6_12217:                            ;   in Loop: Header=BB6_11991 Depth=2
	s_delay_alu instid0(SALU_CYCLE_1)
	s_or_b32 exec_lo, exec_lo, s22
	flat_load_u8 v66, v[19:20] offset:576 slc dlc
	s_mov_b32 s10, 0
	s_mov_b32 s23, exec_lo
                                        ; implicit-def: $sgpr22
	s_waitcnt vmcnt(0) lgkmcnt(0)
	v_cmpx_lt_i16_e32 0x7f, v66
	s_xor_b32 s23, exec_lo, s23
	s_cbranch_execnz .LBB6_12458
; %bb.12218:                            ;   in Loop: Header=BB6_11991 Depth=2
	s_or_saveexec_b32 s23, s23
	v_mov_b32_e32 v82, s22
	s_xor_b32 exec_lo, exec_lo, s23
	s_cbranch_execnz .LBB6_12461
.LBB6_12219:                            ;   in Loop: Header=BB6_11991 Depth=2
	s_or_b32 exec_lo, exec_lo, s23
	s_and_saveexec_b32 s22, s10
	s_cbranch_execz .LBB6_12221
.LBB6_12220:                            ;   in Loop: Header=BB6_11991 Depth=2
	v_and_b32_e32 v82, 0xffff, v66
	v_lshlrev_b32_e32 v66, 24, v66
	s_delay_alu instid0(VALU_DEP_2) | instskip(NEXT) | instid1(VALU_DEP_2)
	v_and_b32_e32 v83, 7, v82
	v_and_b32_e32 v66, 0x80000000, v66
	s_delay_alu instid0(VALU_DEP_2) | instskip(NEXT) | instid1(VALU_DEP_1)
	v_clz_i32_u32_e32 v130, v83
	v_min_u32_e32 v130, 32, v130
	s_delay_alu instid0(VALU_DEP_1) | instskip(SKIP_1) | instid1(VALU_DEP_2)
	v_subrev_nc_u32_e32 v131, 28, v130
	v_sub_nc_u32_e32 v130, 29, v130
	v_lshlrev_b32_e32 v131, v131, v82
	v_bfe_u32 v82, v82, 3, 4
	s_delay_alu instid0(VALU_DEP_1) | instskip(NEXT) | instid1(VALU_DEP_3)
	v_cmp_eq_u32_e32 vcc_lo, 0, v82
	v_dual_cndmask_b32 v82, v82, v130 :: v_dual_and_b32 v131, 7, v131
	s_delay_alu instid0(VALU_DEP_1) | instskip(NEXT) | instid1(VALU_DEP_2)
	v_cndmask_b32_e32 v83, v83, v131, vcc_lo
	v_lshl_add_u32 v82, v82, 23, 0x3b800000
	s_delay_alu instid0(VALU_DEP_2) | instskip(NEXT) | instid1(VALU_DEP_1)
	v_lshlrev_b32_e32 v83, 20, v83
	v_or3_b32 v82, v66, v82, v83
.LBB6_12221:                            ;   in Loop: Header=BB6_11991 Depth=2
	s_or_b32 exec_lo, exec_lo, s22
	s_delay_alu instid0(VALU_DEP_1) | instskip(SKIP_2) | instid1(VALU_DEP_2)
	v_mul_f32_e32 v66, v87, v82
	v_mov_b32_e32 v130, 0x80
	s_mov_b32 s22, exec_lo
	v_and_b32_e32 v82, 0x7f800000, v66
	s_delay_alu instid0(VALU_DEP_1)
	v_cmpx_ne_u32_e32 0x7f800000, v82
	s_cbranch_execz .LBB6_12229
; %bb.12222:                            ;   in Loop: Header=BB6_11991 Depth=2
	v_mov_b32_e32 v130, 0
	s_mov_b32 s23, exec_lo
	v_cmpx_ne_u32_e32 0, v66
	s_cbranch_execz .LBB6_12228
; %bb.12223:                            ;   in Loop: Header=BB6_11991 Depth=2
	v_bfe_u32 v82, v66, 23, 8
	v_and_b32_e32 v83, 0x7fffff, v66
	s_delay_alu instid0(VALU_DEP_2) | instskip(SKIP_1) | instid1(VALU_DEP_3)
	v_sub_nc_u32_e32 v130, 0x78, v82
	v_cmp_gt_u32_e32 vcc_lo, 0x79, v82
	v_or_b32_e32 v131, 0x800000, v83
	s_delay_alu instid0(VALU_DEP_3) | instskip(SKIP_1) | instid1(VALU_DEP_3)
	v_cndmask_b32_e32 v130, 0, v130, vcc_lo
	v_cmp_eq_u32_e32 vcc_lo, 0, v82
	v_dual_cndmask_b32 v83, v131, v83 :: v_dual_add_nc_u32 v82, 0xffffff89, v82
	s_delay_alu instid0(VALU_DEP_3) | instskip(NEXT) | instid1(VALU_DEP_2)
	v_cndmask_b32_e64 v130, v130, 0x77, vcc_lo
	v_cndmask_b32_e64 v82, v82, 0xffffff8a, vcc_lo
	s_delay_alu instid0(VALU_DEP_2) | instskip(SKIP_2) | instid1(VALU_DEP_4)
	v_lshrrev_b32_e32 v132, v130, v83
	v_lshl_add_u32 v131, 0x100000, v130, -1
	v_lshlrev_b32_e64 v134, v130, 0x80000
	v_add_nc_u32_e32 v130, v130, v82
	s_delay_alu instid0(VALU_DEP_4) | instskip(NEXT) | instid1(VALU_DEP_4)
	v_bfe_u32 v133, v132, 20, 1
	v_and_b32_e32 v83, v131, v83
	s_delay_alu instid0(VALU_DEP_2) | instskip(NEXT) | instid1(VALU_DEP_2)
	v_add_nc_u32_e32 v131, -1, v133
	v_cmp_eq_u32_e64 s10, v83, v134
	s_delay_alu instid0(VALU_DEP_1) | instskip(SKIP_2) | instid1(VALU_DEP_2)
	v_cndmask_b32_e64 v83, 0, v131, s10
	v_lshrrev_b32_e32 v131, 23, v132
	s_mov_b32 s10, exec_lo
	v_add_nc_u32_e32 v83, v83, v132
	s_delay_alu instid0(VALU_DEP_2) | instskip(NEXT) | instid1(VALU_DEP_2)
	v_xor_b32_e32 v131, 1, v131
	v_and_b32_e32 v82, 0xfffff, v83
	s_delay_alu instid0(VALU_DEP_1) | instskip(NEXT) | instid1(VALU_DEP_3)
	v_add_nc_u32_e32 v83, v82, v132
                                        ; implicit-def: $vgpr82
	v_cmpx_ne_u32_e64 v130, v131
	s_xor_b32 s10, exec_lo, s10
; %bb.12224:                            ;   in Loop: Header=BB6_11991 Depth=2
	s_delay_alu instid0(VALU_DEP_2) | instskip(SKIP_2) | instid1(VALU_DEP_2)
	v_cmp_lt_u32_e32 vcc_lo, 0xffffff, v83
	v_sub_nc_u32_e32 v82, v130, v131
	v_cndmask_b32_e64 v130, 0, 1, vcc_lo
	v_add_co_ci_u32_e32 v82, vcc_lo, 0, v82, vcc_lo
	s_delay_alu instid0(VALU_DEP_2)
	v_lshrrev_b32_e32 v83, v130, v83
; %bb.12225:                            ;   in Loop: Header=BB6_11991 Depth=2
	s_and_not1_saveexec_b32 s10, s10
; %bb.12226:                            ;   in Loop: Header=BB6_11991 Depth=2
	s_delay_alu instid0(VALU_DEP_1)
	v_bfe_u32 v82, v83, 23, 1
; %bb.12227:                            ;   in Loop: Header=BB6_11991 Depth=2
	s_or_b32 exec_lo, exec_lo, s10
	v_lshrrev_b32_e32 v83, 20, v83
	s_delay_alu instid0(VALU_DEP_2) | instskip(SKIP_2) | instid1(VALU_DEP_2)
	v_cmp_gt_i32_e32 vcc_lo, 16, v82
	v_lshrrev_b32_e32 v66, 24, v66
	v_min_i32_e32 v130, 15, v82
	v_dual_cndmask_b32 v83, 7, v83 :: v_dual_and_b32 v66, 0x80, v66
	s_delay_alu instid0(VALU_DEP_2) | instskip(NEXT) | instid1(VALU_DEP_2)
	v_lshlrev_b32_e32 v130, 3, v130
	v_or_b32_e32 v82, v82, v83
	s_delay_alu instid0(VALU_DEP_1) | instskip(SKIP_1) | instid1(VALU_DEP_1)
	v_cmp_ne_u32_e32 vcc_lo, 0, v82
	v_and_b32_e32 v131, 7, v83
	v_or3_b32 v66, v130, v66, v131
	s_delay_alu instid0(VALU_DEP_1)
	v_cndmask_b32_e32 v130, 0, v66, vcc_lo
.LBB6_12228:                            ;   in Loop: Header=BB6_11991 Depth=2
	s_or_b32 exec_lo, exec_lo, s23
.LBB6_12229:                            ;   in Loop: Header=BB6_11991 Depth=2
	s_delay_alu instid0(SALU_CYCLE_1)
	s_or_b32 exec_lo, exec_lo, s22
	flat_load_u8 v66, v[19:20] offset:608 slc dlc
	s_mov_b32 s10, 0
	s_mov_b32 s23, exec_lo
                                        ; implicit-def: $sgpr22
	s_waitcnt vmcnt(0) lgkmcnt(0)
	v_cmpx_lt_i16_e32 0x7f, v66
	s_xor_b32 s23, exec_lo, s23
	s_cbranch_execnz .LBB6_12462
; %bb.12230:                            ;   in Loop: Header=BB6_11991 Depth=2
	s_or_saveexec_b32 s23, s23
	v_mov_b32_e32 v82, s22
	s_xor_b32 exec_lo, exec_lo, s23
	s_cbranch_execnz .LBB6_12465
.LBB6_12231:                            ;   in Loop: Header=BB6_11991 Depth=2
	s_or_b32 exec_lo, exec_lo, s23
	s_and_saveexec_b32 s22, s10
	s_cbranch_execz .LBB6_12233
.LBB6_12232:                            ;   in Loop: Header=BB6_11991 Depth=2
	v_and_b32_e32 v82, 0xffff, v66
	v_lshlrev_b32_e32 v66, 24, v66
	s_delay_alu instid0(VALU_DEP_2) | instskip(NEXT) | instid1(VALU_DEP_2)
	v_and_b32_e32 v83, 7, v82
	v_and_b32_e32 v66, 0x80000000, v66
	s_delay_alu instid0(VALU_DEP_2) | instskip(NEXT) | instid1(VALU_DEP_1)
	v_clz_i32_u32_e32 v131, v83
	v_min_u32_e32 v131, 32, v131
	s_delay_alu instid0(VALU_DEP_1) | instskip(SKIP_1) | instid1(VALU_DEP_2)
	v_subrev_nc_u32_e32 v132, 28, v131
	v_sub_nc_u32_e32 v131, 29, v131
	v_lshlrev_b32_e32 v132, v132, v82
	v_bfe_u32 v82, v82, 3, 4
	s_delay_alu instid0(VALU_DEP_2) | instskip(NEXT) | instid1(VALU_DEP_2)
	v_and_b32_e32 v132, 7, v132
	v_cmp_eq_u32_e32 vcc_lo, 0, v82
	s_delay_alu instid0(VALU_DEP_2) | instskip(NEXT) | instid1(VALU_DEP_1)
	v_dual_cndmask_b32 v82, v82, v131 :: v_dual_cndmask_b32 v83, v83, v132
	v_lshl_add_u32 v82, v82, 23, 0x3b800000
	s_delay_alu instid0(VALU_DEP_2) | instskip(NEXT) | instid1(VALU_DEP_1)
	v_lshlrev_b32_e32 v83, 20, v83
	v_or3_b32 v82, v66, v82, v83
.LBB6_12233:                            ;   in Loop: Header=BB6_11991 Depth=2
	s_or_b32 exec_lo, exec_lo, s22
	s_delay_alu instid0(VALU_DEP_1) | instskip(SKIP_1) | instid1(VALU_DEP_1)
	v_dual_mul_f32 v66, v87, v82 :: v_dual_mov_b32 v131, 0x80
	s_mov_b32 s22, exec_lo
	v_and_b32_e32 v82, 0x7f800000, v66
	s_delay_alu instid0(VALU_DEP_1)
	v_cmpx_ne_u32_e32 0x7f800000, v82
	s_cbranch_execz .LBB6_12241
; %bb.12234:                            ;   in Loop: Header=BB6_11991 Depth=2
	v_mov_b32_e32 v131, 0
	s_mov_b32 s23, exec_lo
	v_cmpx_ne_u32_e32 0, v66
	s_cbranch_execz .LBB6_12240
; %bb.12235:                            ;   in Loop: Header=BB6_11991 Depth=2
	v_bfe_u32 v82, v66, 23, 8
	v_and_b32_e32 v83, 0x7fffff, v66
	s_delay_alu instid0(VALU_DEP_2) | instskip(SKIP_1) | instid1(VALU_DEP_3)
	v_sub_nc_u32_e32 v131, 0x78, v82
	v_cmp_gt_u32_e32 vcc_lo, 0x79, v82
	v_or_b32_e32 v132, 0x800000, v83
	s_delay_alu instid0(VALU_DEP_3) | instskip(SKIP_2) | instid1(VALU_DEP_3)
	v_cndmask_b32_e32 v131, 0, v131, vcc_lo
	v_cmp_eq_u32_e32 vcc_lo, 0, v82
	v_add_nc_u32_e32 v82, 0xffffff89, v82
	v_cndmask_b32_e64 v131, v131, 0x77, vcc_lo
	v_cndmask_b32_e32 v83, v132, v83, vcc_lo
	s_delay_alu instid0(VALU_DEP_3) | instskip(NEXT) | instid1(VALU_DEP_3)
	v_cndmask_b32_e64 v82, v82, 0xffffff8a, vcc_lo
	v_lshl_add_u32 v132, 0x100000, v131, -1
	s_delay_alu instid0(VALU_DEP_3) | instskip(SKIP_1) | instid1(VALU_DEP_4)
	v_lshrrev_b32_e32 v133, v131, v83
	v_lshlrev_b32_e64 v135, v131, 0x80000
	v_add_nc_u32_e32 v131, v131, v82
	s_delay_alu instid0(VALU_DEP_4) | instskip(NEXT) | instid1(VALU_DEP_4)
	v_and_b32_e32 v83, v132, v83
	v_bfe_u32 v134, v133, 20, 1
	s_delay_alu instid0(VALU_DEP_2) | instskip(NEXT) | instid1(VALU_DEP_2)
	v_cmp_eq_u32_e64 s10, v83, v135
	v_add_nc_u32_e32 v132, -1, v134
	s_delay_alu instid0(VALU_DEP_1) | instskip(SKIP_2) | instid1(VALU_DEP_2)
	v_cndmask_b32_e64 v83, 0, v132, s10
	v_lshrrev_b32_e32 v132, 23, v133
	s_mov_b32 s10, exec_lo
	v_add_nc_u32_e32 v83, v83, v133
	s_delay_alu instid0(VALU_DEP_2) | instskip(NEXT) | instid1(VALU_DEP_2)
	v_xor_b32_e32 v132, 1, v132
	v_and_b32_e32 v82, 0xfffff, v83
	s_delay_alu instid0(VALU_DEP_1) | instskip(NEXT) | instid1(VALU_DEP_3)
	v_add_nc_u32_e32 v83, v82, v133
                                        ; implicit-def: $vgpr82
	v_cmpx_ne_u32_e64 v131, v132
	s_xor_b32 s10, exec_lo, s10
; %bb.12236:                            ;   in Loop: Header=BB6_11991 Depth=2
	s_delay_alu instid0(VALU_DEP_2) | instskip(SKIP_2) | instid1(VALU_DEP_2)
	v_cmp_lt_u32_e32 vcc_lo, 0xffffff, v83
	v_sub_nc_u32_e32 v82, v131, v132
	v_cndmask_b32_e64 v131, 0, 1, vcc_lo
	v_add_co_ci_u32_e32 v82, vcc_lo, 0, v82, vcc_lo
	s_delay_alu instid0(VALU_DEP_2)
	v_lshrrev_b32_e32 v83, v131, v83
; %bb.12237:                            ;   in Loop: Header=BB6_11991 Depth=2
	s_and_not1_saveexec_b32 s10, s10
; %bb.12238:                            ;   in Loop: Header=BB6_11991 Depth=2
	s_delay_alu instid0(VALU_DEP_1)
	v_bfe_u32 v82, v83, 23, 1
; %bb.12239:                            ;   in Loop: Header=BB6_11991 Depth=2
	s_or_b32 exec_lo, exec_lo, s10
	v_lshrrev_b32_e32 v83, 20, v83
	s_delay_alu instid0(VALU_DEP_2) | instskip(SKIP_2) | instid1(VALU_DEP_2)
	v_cmp_gt_i32_e32 vcc_lo, 16, v82
	v_lshrrev_b32_e32 v66, 24, v66
	v_min_i32_e32 v131, 15, v82
	v_dual_cndmask_b32 v83, 7, v83 :: v_dual_and_b32 v66, 0x80, v66
	s_delay_alu instid0(VALU_DEP_2) | instskip(NEXT) | instid1(VALU_DEP_2)
	v_lshlrev_b32_e32 v131, 3, v131
	v_or_b32_e32 v82, v82, v83
	s_delay_alu instid0(VALU_DEP_1) | instskip(SKIP_1) | instid1(VALU_DEP_1)
	v_cmp_ne_u32_e32 vcc_lo, 0, v82
	v_and_b32_e32 v132, 7, v83
	v_or3_b32 v66, v131, v66, v132
	s_delay_alu instid0(VALU_DEP_1)
	v_cndmask_b32_e32 v131, 0, v66, vcc_lo
.LBB6_12240:                            ;   in Loop: Header=BB6_11991 Depth=2
	s_or_b32 exec_lo, exec_lo, s23
.LBB6_12241:                            ;   in Loop: Header=BB6_11991 Depth=2
	s_delay_alu instid0(SALU_CYCLE_1)
	s_or_b32 exec_lo, exec_lo, s22
	flat_load_u8 v66, v[19:20] offset:640 slc dlc
	s_mov_b32 s10, 0
	s_mov_b32 s23, exec_lo
                                        ; implicit-def: $sgpr22
	s_waitcnt vmcnt(0) lgkmcnt(0)
	v_cmpx_lt_i16_e32 0x7f, v66
	s_xor_b32 s23, exec_lo, s23
	s_cbranch_execnz .LBB6_12466
; %bb.12242:                            ;   in Loop: Header=BB6_11991 Depth=2
	s_or_saveexec_b32 s23, s23
	v_mov_b32_e32 v82, s22
	s_xor_b32 exec_lo, exec_lo, s23
	s_cbranch_execnz .LBB6_12469
.LBB6_12243:                            ;   in Loop: Header=BB6_11991 Depth=2
	s_or_b32 exec_lo, exec_lo, s23
	s_and_saveexec_b32 s22, s10
	s_cbranch_execz .LBB6_12245
.LBB6_12244:                            ;   in Loop: Header=BB6_11991 Depth=2
	v_and_b32_e32 v82, 0xffff, v66
	v_lshlrev_b32_e32 v66, 24, v66
	s_delay_alu instid0(VALU_DEP_2) | instskip(NEXT) | instid1(VALU_DEP_2)
	v_and_b32_e32 v83, 7, v82
	v_and_b32_e32 v66, 0x80000000, v66
	s_delay_alu instid0(VALU_DEP_2) | instskip(NEXT) | instid1(VALU_DEP_1)
	v_clz_i32_u32_e32 v132, v83
	v_min_u32_e32 v132, 32, v132
	s_delay_alu instid0(VALU_DEP_1) | instskip(SKIP_1) | instid1(VALU_DEP_2)
	v_subrev_nc_u32_e32 v133, 28, v132
	v_sub_nc_u32_e32 v132, 29, v132
	v_lshlrev_b32_e32 v133, v133, v82
	v_bfe_u32 v82, v82, 3, 4
	s_delay_alu instid0(VALU_DEP_2) | instskip(NEXT) | instid1(VALU_DEP_2)
	v_and_b32_e32 v133, 7, v133
	v_cmp_eq_u32_e32 vcc_lo, 0, v82
	s_delay_alu instid0(VALU_DEP_2) | instskip(NEXT) | instid1(VALU_DEP_1)
	v_dual_cndmask_b32 v82, v82, v132 :: v_dual_cndmask_b32 v83, v83, v133
	v_lshl_add_u32 v82, v82, 23, 0x3b800000
	s_delay_alu instid0(VALU_DEP_2) | instskip(NEXT) | instid1(VALU_DEP_1)
	v_lshlrev_b32_e32 v83, 20, v83
	v_or3_b32 v82, v66, v82, v83
.LBB6_12245:                            ;   in Loop: Header=BB6_11991 Depth=2
	s_or_b32 exec_lo, exec_lo, s22
	s_delay_alu instid0(VALU_DEP_1) | instskip(SKIP_2) | instid1(VALU_DEP_2)
	v_mul_f32_e32 v66, v87, v82
	v_mov_b32_e32 v132, 0x80
	s_mov_b32 s22, exec_lo
	v_and_b32_e32 v82, 0x7f800000, v66
	s_delay_alu instid0(VALU_DEP_1)
	v_cmpx_ne_u32_e32 0x7f800000, v82
	s_cbranch_execz .LBB6_12253
; %bb.12246:                            ;   in Loop: Header=BB6_11991 Depth=2
	v_mov_b32_e32 v132, 0
	s_mov_b32 s23, exec_lo
	v_cmpx_ne_u32_e32 0, v66
	s_cbranch_execz .LBB6_12252
; %bb.12247:                            ;   in Loop: Header=BB6_11991 Depth=2
	v_bfe_u32 v82, v66, 23, 8
	s_delay_alu instid0(VALU_DEP_1) | instskip(SKIP_1) | instid1(VALU_DEP_2)
	v_sub_nc_u32_e32 v132, 0x78, v82
	v_cmp_gt_u32_e32 vcc_lo, 0x79, v82
	v_dual_cndmask_b32 v132, 0, v132 :: v_dual_and_b32 v83, 0x7fffff, v66
	s_delay_alu instid0(VALU_DEP_1) | instskip(SKIP_2) | instid1(VALU_DEP_4)
	v_or_b32_e32 v133, 0x800000, v83
	v_cmp_eq_u32_e32 vcc_lo, 0, v82
	v_add_nc_u32_e32 v82, 0xffffff89, v82
	v_cndmask_b32_e64 v132, v132, 0x77, vcc_lo
	s_delay_alu instid0(VALU_DEP_4) | instskip(NEXT) | instid1(VALU_DEP_3)
	v_cndmask_b32_e32 v83, v133, v83, vcc_lo
	v_cndmask_b32_e64 v82, v82, 0xffffff8a, vcc_lo
	s_delay_alu instid0(VALU_DEP_3) | instskip(NEXT) | instid1(VALU_DEP_3)
	v_lshl_add_u32 v133, 0x100000, v132, -1
	v_lshrrev_b32_e32 v134, v132, v83
	v_lshlrev_b32_e64 v144, v132, 0x80000
	s_delay_alu instid0(VALU_DEP_4) | instskip(NEXT) | instid1(VALU_DEP_4)
	v_add_nc_u32_e32 v132, v132, v82
	v_and_b32_e32 v83, v133, v83
	s_delay_alu instid0(VALU_DEP_4) | instskip(NEXT) | instid1(VALU_DEP_2)
	v_bfe_u32 v135, v134, 20, 1
	v_cmp_eq_u32_e64 s10, v83, v144
	s_delay_alu instid0(VALU_DEP_2) | instskip(NEXT) | instid1(VALU_DEP_1)
	v_add_nc_u32_e32 v133, -1, v135
	v_cndmask_b32_e64 v83, 0, v133, s10
	v_lshrrev_b32_e32 v133, 23, v134
	s_mov_b32 s10, exec_lo
	s_delay_alu instid0(VALU_DEP_2) | instskip(NEXT) | instid1(VALU_DEP_2)
	v_add_nc_u32_e32 v83, v83, v134
	v_xor_b32_e32 v133, 1, v133
	s_delay_alu instid0(VALU_DEP_2) | instskip(NEXT) | instid1(VALU_DEP_1)
	v_and_b32_e32 v82, 0xfffff, v83
	v_add_nc_u32_e32 v83, v82, v134
                                        ; implicit-def: $vgpr82
	s_delay_alu instid0(VALU_DEP_3)
	v_cmpx_ne_u32_e64 v132, v133
	s_xor_b32 s10, exec_lo, s10
; %bb.12248:                            ;   in Loop: Header=BB6_11991 Depth=2
	s_delay_alu instid0(VALU_DEP_2) | instskip(SKIP_2) | instid1(VALU_DEP_2)
	v_cmp_lt_u32_e32 vcc_lo, 0xffffff, v83
	v_sub_nc_u32_e32 v82, v132, v133
	v_cndmask_b32_e64 v132, 0, 1, vcc_lo
	v_add_co_ci_u32_e32 v82, vcc_lo, 0, v82, vcc_lo
	s_delay_alu instid0(VALU_DEP_2)
	v_lshrrev_b32_e32 v83, v132, v83
; %bb.12249:                            ;   in Loop: Header=BB6_11991 Depth=2
	s_and_not1_saveexec_b32 s10, s10
; %bb.12250:                            ;   in Loop: Header=BB6_11991 Depth=2
	s_delay_alu instid0(VALU_DEP_1)
	v_bfe_u32 v82, v83, 23, 1
; %bb.12251:                            ;   in Loop: Header=BB6_11991 Depth=2
	s_or_b32 exec_lo, exec_lo, s10
	v_lshrrev_b32_e32 v83, 20, v83
	s_delay_alu instid0(VALU_DEP_2) | instskip(SKIP_2) | instid1(VALU_DEP_2)
	v_cmp_gt_i32_e32 vcc_lo, 16, v82
	v_lshrrev_b32_e32 v66, 24, v66
	v_min_i32_e32 v132, 15, v82
	v_dual_cndmask_b32 v83, 7, v83 :: v_dual_and_b32 v66, 0x80, v66
	s_delay_alu instid0(VALU_DEP_2) | instskip(NEXT) | instid1(VALU_DEP_2)
	v_lshlrev_b32_e32 v132, 3, v132
	v_or_b32_e32 v82, v82, v83
	s_delay_alu instid0(VALU_DEP_1) | instskip(SKIP_1) | instid1(VALU_DEP_1)
	v_cmp_ne_u32_e32 vcc_lo, 0, v82
	v_and_b32_e32 v133, 7, v83
	v_or3_b32 v66, v132, v66, v133
	s_delay_alu instid0(VALU_DEP_1)
	v_cndmask_b32_e32 v132, 0, v66, vcc_lo
.LBB6_12252:                            ;   in Loop: Header=BB6_11991 Depth=2
	s_or_b32 exec_lo, exec_lo, s23
.LBB6_12253:                            ;   in Loop: Header=BB6_11991 Depth=2
	s_delay_alu instid0(SALU_CYCLE_1)
	s_or_b32 exec_lo, exec_lo, s22
	flat_load_u8 v66, v[19:20] offset:672 slc dlc
	s_mov_b32 s10, 0
	s_mov_b32 s23, exec_lo
                                        ; implicit-def: $sgpr22
	s_waitcnt vmcnt(0) lgkmcnt(0)
	v_cmpx_lt_i16_e32 0x7f, v66
	s_xor_b32 s23, exec_lo, s23
	s_cbranch_execnz .LBB6_12470
; %bb.12254:                            ;   in Loop: Header=BB6_11991 Depth=2
	s_or_saveexec_b32 s23, s23
	v_mov_b32_e32 v82, s22
	s_xor_b32 exec_lo, exec_lo, s23
	s_cbranch_execnz .LBB6_12473
.LBB6_12255:                            ;   in Loop: Header=BB6_11991 Depth=2
	s_or_b32 exec_lo, exec_lo, s23
	s_and_saveexec_b32 s22, s10
	s_cbranch_execz .LBB6_12257
.LBB6_12256:                            ;   in Loop: Header=BB6_11991 Depth=2
	v_and_b32_e32 v82, 0xffff, v66
	v_lshlrev_b32_e32 v66, 24, v66
	s_delay_alu instid0(VALU_DEP_2) | instskip(NEXT) | instid1(VALU_DEP_2)
	v_and_b32_e32 v83, 7, v82
	v_and_b32_e32 v66, 0x80000000, v66
	s_delay_alu instid0(VALU_DEP_2) | instskip(NEXT) | instid1(VALU_DEP_1)
	v_clz_i32_u32_e32 v133, v83
	v_min_u32_e32 v133, 32, v133
	s_delay_alu instid0(VALU_DEP_1) | instskip(SKIP_1) | instid1(VALU_DEP_2)
	v_subrev_nc_u32_e32 v134, 28, v133
	v_sub_nc_u32_e32 v133, 29, v133
	v_lshlrev_b32_e32 v134, v134, v82
	v_bfe_u32 v82, v82, 3, 4
	s_delay_alu instid0(VALU_DEP_2) | instskip(NEXT) | instid1(VALU_DEP_2)
	v_and_b32_e32 v134, 7, v134
	v_cmp_eq_u32_e32 vcc_lo, 0, v82
	s_delay_alu instid0(VALU_DEP_2) | instskip(NEXT) | instid1(VALU_DEP_1)
	v_dual_cndmask_b32 v82, v82, v133 :: v_dual_cndmask_b32 v83, v83, v134
	v_lshl_add_u32 v82, v82, 23, 0x3b800000
	s_delay_alu instid0(VALU_DEP_2) | instskip(NEXT) | instid1(VALU_DEP_1)
	v_lshlrev_b32_e32 v83, 20, v83
	v_or3_b32 v82, v66, v82, v83
.LBB6_12257:                            ;   in Loop: Header=BB6_11991 Depth=2
	s_or_b32 exec_lo, exec_lo, s22
	s_delay_alu instid0(VALU_DEP_1) | instskip(SKIP_1) | instid1(VALU_DEP_1)
	v_dual_mul_f32 v66, v87, v82 :: v_dual_mov_b32 v133, 0x80
	s_mov_b32 s22, exec_lo
	v_and_b32_e32 v82, 0x7f800000, v66
	s_delay_alu instid0(VALU_DEP_1)
	v_cmpx_ne_u32_e32 0x7f800000, v82
	s_cbranch_execz .LBB6_12265
; %bb.12258:                            ;   in Loop: Header=BB6_11991 Depth=2
	v_mov_b32_e32 v133, 0
	s_mov_b32 s23, exec_lo
	v_cmpx_ne_u32_e32 0, v66
	s_cbranch_execz .LBB6_12264
; %bb.12259:                            ;   in Loop: Header=BB6_11991 Depth=2
	v_bfe_u32 v82, v66, 23, 8
	v_and_b32_e32 v83, 0x7fffff, v66
	s_delay_alu instid0(VALU_DEP_2) | instskip(SKIP_1) | instid1(VALU_DEP_3)
	v_sub_nc_u32_e32 v133, 0x78, v82
	v_cmp_gt_u32_e32 vcc_lo, 0x79, v82
	v_or_b32_e32 v134, 0x800000, v83
	s_delay_alu instid0(VALU_DEP_3) | instskip(SKIP_2) | instid1(VALU_DEP_3)
	v_cndmask_b32_e32 v133, 0, v133, vcc_lo
	v_cmp_eq_u32_e32 vcc_lo, 0, v82
	v_add_nc_u32_e32 v82, 0xffffff89, v82
	v_cndmask_b32_e64 v133, v133, 0x77, vcc_lo
	v_cndmask_b32_e32 v83, v134, v83, vcc_lo
	s_delay_alu instid0(VALU_DEP_3) | instskip(NEXT) | instid1(VALU_DEP_3)
	v_cndmask_b32_e64 v82, v82, 0xffffff8a, vcc_lo
	v_lshl_add_u32 v134, 0x100000, v133, -1
	s_delay_alu instid0(VALU_DEP_3) | instskip(SKIP_1) | instid1(VALU_DEP_4)
	v_lshrrev_b32_e32 v135, v133, v83
	v_lshlrev_b32_e64 v145, v133, 0x80000
	v_add_nc_u32_e32 v133, v133, v82
	s_delay_alu instid0(VALU_DEP_4) | instskip(NEXT) | instid1(VALU_DEP_4)
	v_and_b32_e32 v83, v134, v83
	v_bfe_u32 v144, v135, 20, 1
	s_delay_alu instid0(VALU_DEP_2) | instskip(NEXT) | instid1(VALU_DEP_2)
	v_cmp_eq_u32_e64 s10, v83, v145
	v_add_nc_u32_e32 v134, -1, v144
	s_delay_alu instid0(VALU_DEP_1) | instskip(SKIP_2) | instid1(VALU_DEP_2)
	v_cndmask_b32_e64 v83, 0, v134, s10
	v_lshrrev_b32_e32 v134, 23, v135
	s_mov_b32 s10, exec_lo
	v_add_nc_u32_e32 v83, v83, v135
	s_delay_alu instid0(VALU_DEP_2) | instskip(NEXT) | instid1(VALU_DEP_2)
	v_xor_b32_e32 v134, 1, v134
	v_and_b32_e32 v82, 0xfffff, v83
	s_delay_alu instid0(VALU_DEP_1) | instskip(NEXT) | instid1(VALU_DEP_3)
	v_add_nc_u32_e32 v83, v82, v135
                                        ; implicit-def: $vgpr82
	v_cmpx_ne_u32_e64 v133, v134
	s_xor_b32 s10, exec_lo, s10
; %bb.12260:                            ;   in Loop: Header=BB6_11991 Depth=2
	s_delay_alu instid0(VALU_DEP_2) | instskip(SKIP_2) | instid1(VALU_DEP_2)
	v_cmp_lt_u32_e32 vcc_lo, 0xffffff, v83
	v_sub_nc_u32_e32 v82, v133, v134
	v_cndmask_b32_e64 v133, 0, 1, vcc_lo
	v_add_co_ci_u32_e32 v82, vcc_lo, 0, v82, vcc_lo
	s_delay_alu instid0(VALU_DEP_2)
	v_lshrrev_b32_e32 v83, v133, v83
; %bb.12261:                            ;   in Loop: Header=BB6_11991 Depth=2
	s_and_not1_saveexec_b32 s10, s10
; %bb.12262:                            ;   in Loop: Header=BB6_11991 Depth=2
	s_delay_alu instid0(VALU_DEP_1)
	v_bfe_u32 v82, v83, 23, 1
; %bb.12263:                            ;   in Loop: Header=BB6_11991 Depth=2
	s_or_b32 exec_lo, exec_lo, s10
	v_lshrrev_b32_e32 v83, 20, v83
	s_delay_alu instid0(VALU_DEP_2) | instskip(SKIP_2) | instid1(VALU_DEP_2)
	v_cmp_gt_i32_e32 vcc_lo, 16, v82
	v_lshrrev_b32_e32 v66, 24, v66
	v_min_i32_e32 v133, 15, v82
	v_dual_cndmask_b32 v83, 7, v83 :: v_dual_and_b32 v66, 0x80, v66
	s_delay_alu instid0(VALU_DEP_2) | instskip(NEXT) | instid1(VALU_DEP_2)
	v_lshlrev_b32_e32 v133, 3, v133
	v_or_b32_e32 v82, v82, v83
	s_delay_alu instid0(VALU_DEP_1) | instskip(SKIP_1) | instid1(VALU_DEP_1)
	v_cmp_ne_u32_e32 vcc_lo, 0, v82
	v_and_b32_e32 v134, 7, v83
	v_or3_b32 v66, v133, v66, v134
	s_delay_alu instid0(VALU_DEP_1)
	v_cndmask_b32_e32 v133, 0, v66, vcc_lo
.LBB6_12264:                            ;   in Loop: Header=BB6_11991 Depth=2
	s_or_b32 exec_lo, exec_lo, s23
.LBB6_12265:                            ;   in Loop: Header=BB6_11991 Depth=2
	s_delay_alu instid0(SALU_CYCLE_1)
	s_or_b32 exec_lo, exec_lo, s22
	flat_load_u8 v66, v[19:20] offset:704 slc dlc
	s_mov_b32 s10, 0
	s_mov_b32 s23, exec_lo
                                        ; implicit-def: $sgpr22
	s_waitcnt vmcnt(0) lgkmcnt(0)
	v_cmpx_lt_i16_e32 0x7f, v66
	s_xor_b32 s23, exec_lo, s23
	s_cbranch_execnz .LBB6_12474
; %bb.12266:                            ;   in Loop: Header=BB6_11991 Depth=2
	s_or_saveexec_b32 s23, s23
	v_mov_b32_e32 v82, s22
	s_xor_b32 exec_lo, exec_lo, s23
	s_cbranch_execnz .LBB6_12477
.LBB6_12267:                            ;   in Loop: Header=BB6_11991 Depth=2
	s_or_b32 exec_lo, exec_lo, s23
	s_and_saveexec_b32 s22, s10
	s_cbranch_execz .LBB6_12269
.LBB6_12268:                            ;   in Loop: Header=BB6_11991 Depth=2
	v_and_b32_e32 v82, 0xffff, v66
	v_lshlrev_b32_e32 v66, 24, v66
	s_delay_alu instid0(VALU_DEP_2) | instskip(NEXT) | instid1(VALU_DEP_2)
	v_and_b32_e32 v83, 7, v82
	v_and_b32_e32 v66, 0x80000000, v66
	s_delay_alu instid0(VALU_DEP_2) | instskip(NEXT) | instid1(VALU_DEP_1)
	v_clz_i32_u32_e32 v134, v83
	v_min_u32_e32 v134, 32, v134
	s_delay_alu instid0(VALU_DEP_1) | instskip(SKIP_1) | instid1(VALU_DEP_2)
	v_subrev_nc_u32_e32 v135, 28, v134
	v_sub_nc_u32_e32 v134, 29, v134
	v_lshlrev_b32_e32 v135, v135, v82
	v_bfe_u32 v82, v82, 3, 4
	s_delay_alu instid0(VALU_DEP_1) | instskip(NEXT) | instid1(VALU_DEP_3)
	v_cmp_eq_u32_e32 vcc_lo, 0, v82
	v_dual_cndmask_b32 v82, v82, v134 :: v_dual_and_b32 v135, 7, v135
	s_delay_alu instid0(VALU_DEP_1) | instskip(NEXT) | instid1(VALU_DEP_2)
	v_cndmask_b32_e32 v83, v83, v135, vcc_lo
	v_lshl_add_u32 v82, v82, 23, 0x3b800000
	s_delay_alu instid0(VALU_DEP_2) | instskip(NEXT) | instid1(VALU_DEP_1)
	v_lshlrev_b32_e32 v83, 20, v83
	v_or3_b32 v82, v66, v82, v83
.LBB6_12269:                            ;   in Loop: Header=BB6_11991 Depth=2
	s_or_b32 exec_lo, exec_lo, s22
	s_delay_alu instid0(VALU_DEP_1) | instskip(SKIP_2) | instid1(VALU_DEP_2)
	v_mul_f32_e32 v66, v87, v82
	v_mov_b32_e32 v134, 0x80
	s_mov_b32 s22, exec_lo
	v_and_b32_e32 v82, 0x7f800000, v66
	s_delay_alu instid0(VALU_DEP_1)
	v_cmpx_ne_u32_e32 0x7f800000, v82
	s_cbranch_execz .LBB6_12277
; %bb.12270:                            ;   in Loop: Header=BB6_11991 Depth=2
	v_mov_b32_e32 v134, 0
	s_mov_b32 s23, exec_lo
	v_cmpx_ne_u32_e32 0, v66
	s_cbranch_execz .LBB6_12276
; %bb.12271:                            ;   in Loop: Header=BB6_11991 Depth=2
	v_bfe_u32 v82, v66, 23, 8
	v_and_b32_e32 v83, 0x7fffff, v66
	s_delay_alu instid0(VALU_DEP_2) | instskip(SKIP_1) | instid1(VALU_DEP_3)
	v_sub_nc_u32_e32 v134, 0x78, v82
	v_cmp_gt_u32_e32 vcc_lo, 0x79, v82
	v_or_b32_e32 v135, 0x800000, v83
	s_delay_alu instid0(VALU_DEP_3) | instskip(SKIP_1) | instid1(VALU_DEP_3)
	v_cndmask_b32_e32 v134, 0, v134, vcc_lo
	v_cmp_eq_u32_e32 vcc_lo, 0, v82
	v_dual_cndmask_b32 v83, v135, v83 :: v_dual_add_nc_u32 v82, 0xffffff89, v82
	s_delay_alu instid0(VALU_DEP_3) | instskip(NEXT) | instid1(VALU_DEP_2)
	v_cndmask_b32_e64 v134, v134, 0x77, vcc_lo
	v_cndmask_b32_e64 v82, v82, 0xffffff8a, vcc_lo
	s_delay_alu instid0(VALU_DEP_2) | instskip(SKIP_2) | instid1(VALU_DEP_4)
	v_lshrrev_b32_e32 v144, v134, v83
	v_lshl_add_u32 v135, 0x100000, v134, -1
	v_lshlrev_b32_e64 v146, v134, 0x80000
	v_add_nc_u32_e32 v134, v134, v82
	s_delay_alu instid0(VALU_DEP_4) | instskip(NEXT) | instid1(VALU_DEP_4)
	v_bfe_u32 v145, v144, 20, 1
	v_and_b32_e32 v83, v135, v83
	s_delay_alu instid0(VALU_DEP_2) | instskip(NEXT) | instid1(VALU_DEP_2)
	v_add_nc_u32_e32 v135, -1, v145
	v_cmp_eq_u32_e64 s10, v83, v146
	s_delay_alu instid0(VALU_DEP_1) | instskip(SKIP_2) | instid1(VALU_DEP_2)
	v_cndmask_b32_e64 v83, 0, v135, s10
	v_lshrrev_b32_e32 v135, 23, v144
	s_mov_b32 s10, exec_lo
	v_add_nc_u32_e32 v83, v83, v144
	s_delay_alu instid0(VALU_DEP_2) | instskip(NEXT) | instid1(VALU_DEP_2)
	v_xor_b32_e32 v135, 1, v135
	v_and_b32_e32 v82, 0xfffff, v83
	s_delay_alu instid0(VALU_DEP_1) | instskip(NEXT) | instid1(VALU_DEP_3)
	v_add_nc_u32_e32 v83, v82, v144
                                        ; implicit-def: $vgpr82
	v_cmpx_ne_u32_e64 v134, v135
	s_xor_b32 s10, exec_lo, s10
; %bb.12272:                            ;   in Loop: Header=BB6_11991 Depth=2
	s_delay_alu instid0(VALU_DEP_2) | instskip(SKIP_2) | instid1(VALU_DEP_2)
	v_cmp_lt_u32_e32 vcc_lo, 0xffffff, v83
	v_sub_nc_u32_e32 v82, v134, v135
	v_cndmask_b32_e64 v134, 0, 1, vcc_lo
	v_add_co_ci_u32_e32 v82, vcc_lo, 0, v82, vcc_lo
	s_delay_alu instid0(VALU_DEP_2)
	v_lshrrev_b32_e32 v83, v134, v83
; %bb.12273:                            ;   in Loop: Header=BB6_11991 Depth=2
	s_and_not1_saveexec_b32 s10, s10
; %bb.12274:                            ;   in Loop: Header=BB6_11991 Depth=2
	s_delay_alu instid0(VALU_DEP_1)
	v_bfe_u32 v82, v83, 23, 1
; %bb.12275:                            ;   in Loop: Header=BB6_11991 Depth=2
	s_or_b32 exec_lo, exec_lo, s10
	v_lshrrev_b32_e32 v83, 20, v83
	s_delay_alu instid0(VALU_DEP_2) | instskip(SKIP_2) | instid1(VALU_DEP_2)
	v_cmp_gt_i32_e32 vcc_lo, 16, v82
	v_lshrrev_b32_e32 v66, 24, v66
	v_min_i32_e32 v134, 15, v82
	v_dual_cndmask_b32 v83, 7, v83 :: v_dual_and_b32 v66, 0x80, v66
	s_delay_alu instid0(VALU_DEP_2) | instskip(NEXT) | instid1(VALU_DEP_2)
	v_lshlrev_b32_e32 v134, 3, v134
	v_or_b32_e32 v82, v82, v83
	s_delay_alu instid0(VALU_DEP_1) | instskip(SKIP_1) | instid1(VALU_DEP_1)
	v_cmp_ne_u32_e32 vcc_lo, 0, v82
	v_and_b32_e32 v135, 7, v83
	v_or3_b32 v66, v134, v66, v135
	s_delay_alu instid0(VALU_DEP_1)
	v_cndmask_b32_e32 v134, 0, v66, vcc_lo
.LBB6_12276:                            ;   in Loop: Header=BB6_11991 Depth=2
	s_or_b32 exec_lo, exec_lo, s23
.LBB6_12277:                            ;   in Loop: Header=BB6_11991 Depth=2
	s_delay_alu instid0(SALU_CYCLE_1)
	s_or_b32 exec_lo, exec_lo, s22
	flat_load_u8 v66, v[19:20] offset:736 slc dlc
	s_mov_b32 s10, 0
	s_mov_b32 s23, exec_lo
                                        ; implicit-def: $sgpr22
	s_waitcnt vmcnt(0) lgkmcnt(0)
	v_cmpx_lt_i16_e32 0x7f, v66
	s_xor_b32 s23, exec_lo, s23
	s_cbranch_execnz .LBB6_12478
; %bb.12278:                            ;   in Loop: Header=BB6_11991 Depth=2
	s_or_saveexec_b32 s23, s23
	v_mov_b32_e32 v82, s22
	s_xor_b32 exec_lo, exec_lo, s23
	s_cbranch_execnz .LBB6_12481
.LBB6_12279:                            ;   in Loop: Header=BB6_11991 Depth=2
	s_or_b32 exec_lo, exec_lo, s23
	s_and_saveexec_b32 s22, s10
	s_cbranch_execz .LBB6_12281
.LBB6_12280:                            ;   in Loop: Header=BB6_11991 Depth=2
	v_and_b32_e32 v82, 0xffff, v66
	v_lshlrev_b32_e32 v66, 24, v66
	s_delay_alu instid0(VALU_DEP_2) | instskip(NEXT) | instid1(VALU_DEP_2)
	v_and_b32_e32 v83, 7, v82
	v_and_b32_e32 v66, 0x80000000, v66
	s_delay_alu instid0(VALU_DEP_2) | instskip(NEXT) | instid1(VALU_DEP_1)
	v_clz_i32_u32_e32 v135, v83
	v_min_u32_e32 v135, 32, v135
	s_delay_alu instid0(VALU_DEP_1) | instskip(SKIP_1) | instid1(VALU_DEP_2)
	v_subrev_nc_u32_e32 v144, 28, v135
	v_sub_nc_u32_e32 v135, 29, v135
	v_lshlrev_b32_e32 v144, v144, v82
	v_bfe_u32 v82, v82, 3, 4
	s_delay_alu instid0(VALU_DEP_2) | instskip(NEXT) | instid1(VALU_DEP_2)
	v_and_b32_e32 v144, 7, v144
	v_cmp_eq_u32_e32 vcc_lo, 0, v82
	s_delay_alu instid0(VALU_DEP_2) | instskip(NEXT) | instid1(VALU_DEP_1)
	v_dual_cndmask_b32 v82, v82, v135 :: v_dual_cndmask_b32 v83, v83, v144
	v_lshl_add_u32 v82, v82, 23, 0x3b800000
	s_delay_alu instid0(VALU_DEP_2) | instskip(NEXT) | instid1(VALU_DEP_1)
	v_lshlrev_b32_e32 v83, 20, v83
	v_or3_b32 v82, v66, v82, v83
.LBB6_12281:                            ;   in Loop: Header=BB6_11991 Depth=2
	s_or_b32 exec_lo, exec_lo, s22
	s_delay_alu instid0(VALU_DEP_1) | instskip(NEXT) | instid1(VALU_DEP_1)
	v_mul_f32_e32 v66, v87, v82
	v_and_b32_e32 v82, 0x7f800000, v66
	s_delay_alu instid0(VALU_DEP_1)
	v_cmp_ne_u32_e32 vcc_lo, 0x7f800000, v82
	v_mov_b32_e32 v82, 0x80
	s_and_saveexec_b32 s22, vcc_lo
	s_cbranch_execz .LBB6_12289
; %bb.12282:                            ;   in Loop: Header=BB6_11991 Depth=2
	v_mov_b32_e32 v82, 0
	s_mov_b32 s23, exec_lo
	v_cmpx_ne_u32_e32 0, v66
	s_cbranch_execz .LBB6_12288
; %bb.12283:                            ;   in Loop: Header=BB6_11991 Depth=2
	v_bfe_u32 v82, v66, 23, 8
	v_and_b32_e32 v83, 0x7fffff, v66
	s_delay_alu instid0(VALU_DEP_2) | instskip(SKIP_1) | instid1(VALU_DEP_3)
	v_sub_nc_u32_e32 v135, 0x78, v82
	v_cmp_gt_u32_e32 vcc_lo, 0x79, v82
	v_or_b32_e32 v144, 0x800000, v83
	s_delay_alu instid0(VALU_DEP_3) | instskip(SKIP_2) | instid1(VALU_DEP_3)
	v_cndmask_b32_e32 v135, 0, v135, vcc_lo
	v_cmp_eq_u32_e32 vcc_lo, 0, v82
	v_add_nc_u32_e32 v82, 0xffffff89, v82
	v_cndmask_b32_e64 v135, v135, 0x77, vcc_lo
	v_cndmask_b32_e32 v83, v144, v83, vcc_lo
	s_delay_alu instid0(VALU_DEP_3) | instskip(NEXT) | instid1(VALU_DEP_3)
	v_cndmask_b32_e64 v82, v82, 0xffffff8a, vcc_lo
	v_lshl_add_u32 v144, 0x100000, v135, -1
	s_delay_alu instid0(VALU_DEP_3) | instskip(SKIP_1) | instid1(VALU_DEP_4)
	v_lshrrev_b32_e32 v145, v135, v83
	v_lshlrev_b32_e64 v147, v135, 0x80000
	v_add_nc_u32_e32 v135, v135, v82
	s_delay_alu instid0(VALU_DEP_4) | instskip(NEXT) | instid1(VALU_DEP_4)
	v_and_b32_e32 v83, v144, v83
	v_bfe_u32 v146, v145, 20, 1
	s_delay_alu instid0(VALU_DEP_2) | instskip(NEXT) | instid1(VALU_DEP_2)
	v_cmp_eq_u32_e64 s10, v83, v147
	v_add_nc_u32_e32 v144, -1, v146
	s_delay_alu instid0(VALU_DEP_1) | instskip(SKIP_2) | instid1(VALU_DEP_2)
	v_cndmask_b32_e64 v83, 0, v144, s10
	v_lshrrev_b32_e32 v144, 23, v145
	s_mov_b32 s10, exec_lo
	v_add_nc_u32_e32 v83, v83, v145
	s_delay_alu instid0(VALU_DEP_2) | instskip(NEXT) | instid1(VALU_DEP_2)
	v_xor_b32_e32 v144, 1, v144
	v_and_b32_e32 v82, 0xfffff, v83
	s_delay_alu instid0(VALU_DEP_1) | instskip(NEXT) | instid1(VALU_DEP_3)
	v_add_nc_u32_e32 v83, v82, v145
                                        ; implicit-def: $vgpr82
	v_cmpx_ne_u32_e64 v135, v144
	s_xor_b32 s10, exec_lo, s10
; %bb.12284:                            ;   in Loop: Header=BB6_11991 Depth=2
	s_delay_alu instid0(VALU_DEP_2) | instskip(SKIP_2) | instid1(VALU_DEP_2)
	v_cmp_lt_u32_e32 vcc_lo, 0xffffff, v83
	v_sub_nc_u32_e32 v82, v135, v144
	v_cndmask_b32_e64 v135, 0, 1, vcc_lo
	v_add_co_ci_u32_e32 v82, vcc_lo, 0, v82, vcc_lo
	s_delay_alu instid0(VALU_DEP_2)
	v_lshrrev_b32_e32 v83, v135, v83
; %bb.12285:                            ;   in Loop: Header=BB6_11991 Depth=2
	s_and_not1_saveexec_b32 s10, s10
; %bb.12286:                            ;   in Loop: Header=BB6_11991 Depth=2
	s_delay_alu instid0(VALU_DEP_1)
	v_bfe_u32 v82, v83, 23, 1
; %bb.12287:                            ;   in Loop: Header=BB6_11991 Depth=2
	s_or_b32 exec_lo, exec_lo, s10
	v_lshrrev_b32_e32 v83, 20, v83
	s_delay_alu instid0(VALU_DEP_2) | instskip(SKIP_2) | instid1(VALU_DEP_2)
	v_cmp_gt_i32_e32 vcc_lo, 16, v82
	v_lshrrev_b32_e32 v66, 24, v66
	v_min_i32_e32 v135, 15, v82
	v_dual_cndmask_b32 v83, 7, v83 :: v_dual_and_b32 v66, 0x80, v66
	s_delay_alu instid0(VALU_DEP_1) | instskip(SKIP_1) | instid1(VALU_DEP_2)
	v_or_b32_e32 v82, v82, v83
	v_and_b32_e32 v144, 7, v83
	v_cmp_ne_u32_e32 vcc_lo, 0, v82
	v_lshlrev_b32_e32 v135, 3, v135
	s_delay_alu instid0(VALU_DEP_1) | instskip(NEXT) | instid1(VALU_DEP_1)
	v_or3_b32 v66, v135, v66, v144
	v_cndmask_b32_e32 v82, 0, v66, vcc_lo
.LBB6_12288:                            ;   in Loop: Header=BB6_11991 Depth=2
	s_or_b32 exec_lo, exec_lo, s23
.LBB6_12289:                            ;   in Loop: Header=BB6_11991 Depth=2
	s_delay_alu instid0(SALU_CYCLE_1)
	s_or_b32 exec_lo, exec_lo, s22
	flat_load_u8 v66, v[19:20] offset:768 slc dlc
	s_mov_b32 s10, 0
	s_mov_b32 s23, exec_lo
                                        ; implicit-def: $sgpr22
	s_waitcnt vmcnt(0) lgkmcnt(0)
	v_cmpx_lt_i16_e32 0x7f, v66
	s_xor_b32 s23, exec_lo, s23
	s_cbranch_execnz .LBB6_12482
; %bb.12290:                            ;   in Loop: Header=BB6_11991 Depth=2
	s_or_saveexec_b32 s23, s23
	v_mov_b32_e32 v83, s22
	s_xor_b32 exec_lo, exec_lo, s23
	s_cbranch_execnz .LBB6_12485
.LBB6_12291:                            ;   in Loop: Header=BB6_11991 Depth=2
	s_or_b32 exec_lo, exec_lo, s23
	s_and_saveexec_b32 s22, s10
	s_cbranch_execz .LBB6_12293
.LBB6_12292:                            ;   in Loop: Header=BB6_11991 Depth=2
	v_and_b32_e32 v83, 0xffff, v66
	s_delay_alu instid0(VALU_DEP_1) | instskip(NEXT) | instid1(VALU_DEP_1)
	v_and_b32_e32 v135, 7, v83
	v_clz_i32_u32_e32 v144, v135
	s_delay_alu instid0(VALU_DEP_1) | instskip(NEXT) | instid1(VALU_DEP_1)
	v_min_u32_e32 v144, 32, v144
	v_subrev_nc_u32_e32 v145, 28, v144
	v_sub_nc_u32_e32 v144, 29, v144
	s_delay_alu instid0(VALU_DEP_2) | instskip(SKIP_1) | instid1(VALU_DEP_2)
	v_lshlrev_b32_e32 v145, v145, v83
	v_bfe_u32 v83, v83, 3, 4
	v_and_b32_e32 v145, 7, v145
	s_delay_alu instid0(VALU_DEP_2) | instskip(SKIP_1) | instid1(VALU_DEP_1)
	v_cmp_eq_u32_e32 vcc_lo, 0, v83
	v_dual_cndmask_b32 v83, v83, v144 :: v_dual_lshlrev_b32 v66, 24, v66
	v_dual_cndmask_b32 v135, v135, v145 :: v_dual_and_b32 v66, 0x80000000, v66
	s_delay_alu instid0(VALU_DEP_2) | instskip(NEXT) | instid1(VALU_DEP_2)
	v_lshl_add_u32 v83, v83, 23, 0x3b800000
	v_lshlrev_b32_e32 v135, 20, v135
	s_delay_alu instid0(VALU_DEP_1)
	v_or3_b32 v83, v66, v83, v135
.LBB6_12293:                            ;   in Loop: Header=BB6_11991 Depth=2
	s_or_b32 exec_lo, exec_lo, s22
	s_delay_alu instid0(VALU_DEP_1) | instskip(NEXT) | instid1(VALU_DEP_1)
	v_mul_f32_e32 v83, v87, v83
	v_and_b32_e32 v66, 0x7f800000, v83
	s_delay_alu instid0(VALU_DEP_1)
	v_cmp_ne_u32_e32 vcc_lo, 0x7f800000, v66
	v_mov_b32_e32 v66, 0x80
	s_and_saveexec_b32 s22, vcc_lo
	s_cbranch_execz .LBB6_12301
; %bb.12294:                            ;   in Loop: Header=BB6_11991 Depth=2
	v_mov_b32_e32 v66, 0
	s_mov_b32 s23, exec_lo
	v_cmpx_ne_u32_e32 0, v83
	s_cbranch_execz .LBB6_12300
; %bb.12295:                            ;   in Loop: Header=BB6_11991 Depth=2
	v_bfe_u32 v66, v83, 23, 8
	s_delay_alu instid0(VALU_DEP_1) | instskip(SKIP_1) | instid1(VALU_DEP_2)
	v_sub_nc_u32_e32 v144, 0x78, v66
	v_cmp_gt_u32_e32 vcc_lo, 0x79, v66
	v_dual_cndmask_b32 v144, 0, v144 :: v_dual_and_b32 v135, 0x7fffff, v83
	s_delay_alu instid0(VALU_DEP_1) | instskip(SKIP_2) | instid1(VALU_DEP_4)
	v_or_b32_e32 v145, 0x800000, v135
	v_cmp_eq_u32_e32 vcc_lo, 0, v66
	v_add_nc_u32_e32 v66, 0xffffff89, v66
	v_cndmask_b32_e64 v144, v144, 0x77, vcc_lo
	s_delay_alu instid0(VALU_DEP_4) | instskip(NEXT) | instid1(VALU_DEP_3)
	v_cndmask_b32_e32 v135, v145, v135, vcc_lo
	v_cndmask_b32_e64 v66, v66, 0xffffff8a, vcc_lo
	s_delay_alu instid0(VALU_DEP_3) | instskip(NEXT) | instid1(VALU_DEP_3)
	v_lshl_add_u32 v145, 0x100000, v144, -1
	v_lshrrev_b32_e32 v146, v144, v135
	v_lshlrev_b32_e64 v148, v144, 0x80000
	s_delay_alu instid0(VALU_DEP_4) | instskip(NEXT) | instid1(VALU_DEP_4)
	v_add_nc_u32_e32 v144, v144, v66
	v_and_b32_e32 v135, v145, v135
	s_delay_alu instid0(VALU_DEP_4) | instskip(NEXT) | instid1(VALU_DEP_2)
	v_bfe_u32 v147, v146, 20, 1
	v_cmp_eq_u32_e64 s10, v135, v148
	s_delay_alu instid0(VALU_DEP_2) | instskip(NEXT) | instid1(VALU_DEP_1)
	v_add_nc_u32_e32 v145, -1, v147
	v_cndmask_b32_e64 v135, 0, v145, s10
	v_lshrrev_b32_e32 v145, 23, v146
	s_mov_b32 s10, exec_lo
	s_delay_alu instid0(VALU_DEP_2) | instskip(NEXT) | instid1(VALU_DEP_2)
	v_add_nc_u32_e32 v135, v135, v146
	v_xor_b32_e32 v145, 1, v145
	s_delay_alu instid0(VALU_DEP_2) | instskip(NEXT) | instid1(VALU_DEP_1)
	v_and_b32_e32 v66, 0xfffff, v135
	v_add_nc_u32_e32 v135, v66, v146
                                        ; implicit-def: $vgpr66
	s_delay_alu instid0(VALU_DEP_3)
	v_cmpx_ne_u32_e64 v144, v145
	s_xor_b32 s10, exec_lo, s10
; %bb.12296:                            ;   in Loop: Header=BB6_11991 Depth=2
	s_delay_alu instid0(VALU_DEP_2) | instskip(SKIP_2) | instid1(VALU_DEP_2)
	v_cmp_lt_u32_e32 vcc_lo, 0xffffff, v135
	v_sub_nc_u32_e32 v66, v144, v145
	v_cndmask_b32_e64 v144, 0, 1, vcc_lo
	v_add_co_ci_u32_e32 v66, vcc_lo, 0, v66, vcc_lo
	s_delay_alu instid0(VALU_DEP_2)
	v_lshrrev_b32_e32 v135, v144, v135
; %bb.12297:                            ;   in Loop: Header=BB6_11991 Depth=2
	s_and_not1_saveexec_b32 s10, s10
; %bb.12298:                            ;   in Loop: Header=BB6_11991 Depth=2
	s_delay_alu instid0(VALU_DEP_1)
	v_bfe_u32 v66, v135, 23, 1
; %bb.12299:                            ;   in Loop: Header=BB6_11991 Depth=2
	s_or_b32 exec_lo, exec_lo, s10
	v_lshrrev_b32_e32 v135, 20, v135
	s_delay_alu instid0(VALU_DEP_2) | instskip(SKIP_2) | instid1(VALU_DEP_4)
	v_cmp_gt_i32_e32 vcc_lo, 16, v66
	v_lshrrev_b32_e32 v83, 24, v83
	v_min_i32_e32 v144, 15, v66
	v_cndmask_b32_e32 v135, 7, v135, vcc_lo
	s_delay_alu instid0(VALU_DEP_3) | instskip(NEXT) | instid1(VALU_DEP_3)
	v_and_b32_e32 v83, 0x80, v83
	v_lshlrev_b32_e32 v144, 3, v144
	s_delay_alu instid0(VALU_DEP_3) | instskip(SKIP_1) | instid1(VALU_DEP_2)
	v_and_b32_e32 v145, 7, v135
	v_or_b32_e32 v66, v66, v135
	v_or3_b32 v83, v144, v83, v145
	s_delay_alu instid0(VALU_DEP_2) | instskip(NEXT) | instid1(VALU_DEP_2)
	v_cmp_ne_u32_e32 vcc_lo, 0, v66
	v_cndmask_b32_e32 v66, 0, v83, vcc_lo
.LBB6_12300:                            ;   in Loop: Header=BB6_11991 Depth=2
	s_or_b32 exec_lo, exec_lo, s23
.LBB6_12301:                            ;   in Loop: Header=BB6_11991 Depth=2
	s_delay_alu instid0(SALU_CYCLE_1)
	s_or_b32 exec_lo, exec_lo, s22
	flat_load_u8 v83, v[19:20] offset:800 slc dlc
	s_mov_b32 s10, 0
	s_mov_b32 s23, exec_lo
                                        ; implicit-def: $sgpr22
	s_waitcnt vmcnt(0) lgkmcnt(0)
	v_cmpx_lt_i16_e32 0x7f, v83
	s_xor_b32 s23, exec_lo, s23
	s_cbranch_execnz .LBB6_12486
; %bb.12302:                            ;   in Loop: Header=BB6_11991 Depth=2
	s_or_saveexec_b32 s23, s23
	v_mov_b32_e32 v135, s22
	s_xor_b32 exec_lo, exec_lo, s23
	s_cbranch_execnz .LBB6_12489
.LBB6_12303:                            ;   in Loop: Header=BB6_11991 Depth=2
	s_or_b32 exec_lo, exec_lo, s23
	s_and_saveexec_b32 s22, s10
	s_cbranch_execz .LBB6_12305
.LBB6_12304:                            ;   in Loop: Header=BB6_11991 Depth=2
	v_and_b32_e32 v135, 0xffff, v83
	v_lshlrev_b32_e32 v83, 24, v83
	s_delay_alu instid0(VALU_DEP_2) | instskip(NEXT) | instid1(VALU_DEP_2)
	v_and_b32_e32 v144, 7, v135
	v_and_b32_e32 v83, 0x80000000, v83
	s_delay_alu instid0(VALU_DEP_2) | instskip(NEXT) | instid1(VALU_DEP_1)
	v_clz_i32_u32_e32 v145, v144
	v_min_u32_e32 v145, 32, v145
	s_delay_alu instid0(VALU_DEP_1) | instskip(SKIP_1) | instid1(VALU_DEP_2)
	v_subrev_nc_u32_e32 v146, 28, v145
	v_sub_nc_u32_e32 v145, 29, v145
	v_lshlrev_b32_e32 v146, v146, v135
	v_bfe_u32 v135, v135, 3, 4
	s_delay_alu instid0(VALU_DEP_2) | instskip(NEXT) | instid1(VALU_DEP_2)
	v_and_b32_e32 v146, 7, v146
	v_cmp_eq_u32_e32 vcc_lo, 0, v135
	s_delay_alu instid0(VALU_DEP_2) | instskip(NEXT) | instid1(VALU_DEP_1)
	v_dual_cndmask_b32 v135, v135, v145 :: v_dual_cndmask_b32 v144, v144, v146
	v_lshl_add_u32 v135, v135, 23, 0x3b800000
	s_delay_alu instid0(VALU_DEP_2) | instskip(NEXT) | instid1(VALU_DEP_1)
	v_lshlrev_b32_e32 v144, 20, v144
	v_or3_b32 v135, v83, v135, v144
.LBB6_12305:                            ;   in Loop: Header=BB6_11991 Depth=2
	s_or_b32 exec_lo, exec_lo, s22
	s_delay_alu instid0(VALU_DEP_1) | instskip(NEXT) | instid1(VALU_DEP_1)
	v_mul_f32_e32 v135, v87, v135
	v_and_b32_e32 v83, 0x7f800000, v135
	s_delay_alu instid0(VALU_DEP_1)
	v_cmp_ne_u32_e32 vcc_lo, 0x7f800000, v83
	v_mov_b32_e32 v83, 0x80
	s_and_saveexec_b32 s22, vcc_lo
	s_cbranch_execz .LBB6_12313
; %bb.12306:                            ;   in Loop: Header=BB6_11991 Depth=2
	v_mov_b32_e32 v83, 0
	s_mov_b32 s23, exec_lo
	v_cmpx_ne_u32_e32 0, v135
	s_cbranch_execz .LBB6_12312
; %bb.12307:                            ;   in Loop: Header=BB6_11991 Depth=2
	v_bfe_u32 v83, v135, 23, 8
	s_delay_alu instid0(VALU_DEP_1) | instskip(SKIP_1) | instid1(VALU_DEP_2)
	v_sub_nc_u32_e32 v145, 0x78, v83
	v_cmp_gt_u32_e32 vcc_lo, 0x79, v83
	v_dual_cndmask_b32 v145, 0, v145 :: v_dual_and_b32 v144, 0x7fffff, v135
	s_delay_alu instid0(VALU_DEP_1) | instskip(SKIP_2) | instid1(VALU_DEP_4)
	v_or_b32_e32 v146, 0x800000, v144
	v_cmp_eq_u32_e32 vcc_lo, 0, v83
	v_add_nc_u32_e32 v83, 0xffffff89, v83
	v_cndmask_b32_e64 v145, v145, 0x77, vcc_lo
	s_delay_alu instid0(VALU_DEP_4) | instskip(NEXT) | instid1(VALU_DEP_3)
	v_cndmask_b32_e32 v144, v146, v144, vcc_lo
	v_cndmask_b32_e64 v83, v83, 0xffffff8a, vcc_lo
	s_delay_alu instid0(VALU_DEP_3) | instskip(NEXT) | instid1(VALU_DEP_3)
	v_lshl_add_u32 v146, 0x100000, v145, -1
	v_lshrrev_b32_e32 v147, v145, v144
	v_lshlrev_b32_e64 v149, v145, 0x80000
	s_delay_alu instid0(VALU_DEP_4) | instskip(NEXT) | instid1(VALU_DEP_4)
	v_add_nc_u32_e32 v145, v145, v83
	v_and_b32_e32 v144, v146, v144
	s_delay_alu instid0(VALU_DEP_4) | instskip(NEXT) | instid1(VALU_DEP_2)
	v_bfe_u32 v148, v147, 20, 1
	v_cmp_eq_u32_e64 s10, v144, v149
	s_delay_alu instid0(VALU_DEP_2) | instskip(NEXT) | instid1(VALU_DEP_1)
	v_add_nc_u32_e32 v146, -1, v148
	v_cndmask_b32_e64 v144, 0, v146, s10
	v_lshrrev_b32_e32 v146, 23, v147
	s_mov_b32 s10, exec_lo
	s_delay_alu instid0(VALU_DEP_2) | instskip(NEXT) | instid1(VALU_DEP_2)
	v_add_nc_u32_e32 v144, v144, v147
	v_xor_b32_e32 v146, 1, v146
	s_delay_alu instid0(VALU_DEP_2) | instskip(NEXT) | instid1(VALU_DEP_1)
	v_and_b32_e32 v83, 0xfffff, v144
	v_add_nc_u32_e32 v144, v83, v147
                                        ; implicit-def: $vgpr83
	s_delay_alu instid0(VALU_DEP_3)
	v_cmpx_ne_u32_e64 v145, v146
	s_xor_b32 s10, exec_lo, s10
; %bb.12308:                            ;   in Loop: Header=BB6_11991 Depth=2
	s_delay_alu instid0(VALU_DEP_2) | instskip(SKIP_2) | instid1(VALU_DEP_2)
	v_cmp_lt_u32_e32 vcc_lo, 0xffffff, v144
	v_sub_nc_u32_e32 v83, v145, v146
	v_cndmask_b32_e64 v145, 0, 1, vcc_lo
	v_add_co_ci_u32_e32 v83, vcc_lo, 0, v83, vcc_lo
	s_delay_alu instid0(VALU_DEP_2)
	v_lshrrev_b32_e32 v144, v145, v144
; %bb.12309:                            ;   in Loop: Header=BB6_11991 Depth=2
	s_and_not1_saveexec_b32 s10, s10
; %bb.12310:                            ;   in Loop: Header=BB6_11991 Depth=2
	s_delay_alu instid0(VALU_DEP_1)
	v_bfe_u32 v83, v144, 23, 1
; %bb.12311:                            ;   in Loop: Header=BB6_11991 Depth=2
	s_or_b32 exec_lo, exec_lo, s10
	v_lshrrev_b32_e32 v144, 20, v144
	s_delay_alu instid0(VALU_DEP_2) | instskip(SKIP_2) | instid1(VALU_DEP_2)
	v_cmp_gt_i32_e32 vcc_lo, 16, v83
	v_lshrrev_b32_e32 v135, 24, v135
	v_min_i32_e32 v145, 15, v83
	v_dual_cndmask_b32 v144, 7, v144 :: v_dual_and_b32 v135, 0x80, v135
	s_delay_alu instid0(VALU_DEP_2) | instskip(NEXT) | instid1(VALU_DEP_2)
	v_lshlrev_b32_e32 v145, 3, v145
	v_or_b32_e32 v83, v83, v144
	s_delay_alu instid0(VALU_DEP_1) | instskip(SKIP_1) | instid1(VALU_DEP_1)
	v_cmp_ne_u32_e32 vcc_lo, 0, v83
	v_and_b32_e32 v146, 7, v144
	v_or3_b32 v135, v145, v135, v146
	s_delay_alu instid0(VALU_DEP_1)
	v_cndmask_b32_e32 v83, 0, v135, vcc_lo
.LBB6_12312:                            ;   in Loop: Header=BB6_11991 Depth=2
	s_or_b32 exec_lo, exec_lo, s23
.LBB6_12313:                            ;   in Loop: Header=BB6_11991 Depth=2
	s_delay_alu instid0(SALU_CYCLE_1)
	s_or_b32 exec_lo, exec_lo, s22
	flat_load_u8 v135, v[19:20] offset:832 slc dlc
	s_mov_b32 s10, 0
	s_mov_b32 s23, exec_lo
                                        ; implicit-def: $sgpr22
	s_waitcnt vmcnt(0) lgkmcnt(0)
	v_cmpx_lt_i16_e64 0x7f, v135
	s_xor_b32 s23, exec_lo, s23
	s_cbranch_execnz .LBB6_12490
; %bb.12314:                            ;   in Loop: Header=BB6_11991 Depth=2
	s_or_saveexec_b32 s23, s23
	v_mov_b32_e32 v144, s22
	s_xor_b32 exec_lo, exec_lo, s23
	s_cbranch_execnz .LBB6_12493
.LBB6_12315:                            ;   in Loop: Header=BB6_11991 Depth=2
	s_or_b32 exec_lo, exec_lo, s23
	s_and_saveexec_b32 s22, s10
	s_cbranch_execz .LBB6_12317
.LBB6_12316:                            ;   in Loop: Header=BB6_11991 Depth=2
	v_and_b32_e32 v144, 0xffff, v135
	v_lshlrev_b32_e32 v135, 24, v135
	s_delay_alu instid0(VALU_DEP_2) | instskip(NEXT) | instid1(VALU_DEP_2)
	v_and_b32_e32 v145, 7, v144
	v_and_b32_e32 v135, 0x80000000, v135
	s_delay_alu instid0(VALU_DEP_2) | instskip(NEXT) | instid1(VALU_DEP_1)
	v_clz_i32_u32_e32 v146, v145
	v_min_u32_e32 v146, 32, v146
	s_delay_alu instid0(VALU_DEP_1) | instskip(SKIP_1) | instid1(VALU_DEP_2)
	v_subrev_nc_u32_e32 v147, 28, v146
	v_sub_nc_u32_e32 v146, 29, v146
	v_lshlrev_b32_e32 v147, v147, v144
	v_bfe_u32 v144, v144, 3, 4
	s_delay_alu instid0(VALU_DEP_2) | instskip(NEXT) | instid1(VALU_DEP_2)
	v_and_b32_e32 v147, 7, v147
	v_cmp_eq_u32_e32 vcc_lo, 0, v144
	s_delay_alu instid0(VALU_DEP_2) | instskip(NEXT) | instid1(VALU_DEP_1)
	v_dual_cndmask_b32 v144, v144, v146 :: v_dual_cndmask_b32 v145, v145, v147
	v_lshl_add_u32 v144, v144, 23, 0x3b800000
	s_delay_alu instid0(VALU_DEP_2) | instskip(NEXT) | instid1(VALU_DEP_1)
	v_lshlrev_b32_e32 v145, 20, v145
	v_or3_b32 v144, v135, v144, v145
.LBB6_12317:                            ;   in Loop: Header=BB6_11991 Depth=2
	s_or_b32 exec_lo, exec_lo, s22
	s_delay_alu instid0(VALU_DEP_1) | instskip(NEXT) | instid1(VALU_DEP_1)
	v_mul_f32_e32 v144, v87, v144
	v_and_b32_e32 v135, 0x7f800000, v144
	s_delay_alu instid0(VALU_DEP_1)
	v_cmp_ne_u32_e32 vcc_lo, 0x7f800000, v135
	v_mov_b32_e32 v135, 0x80
	s_and_saveexec_b32 s22, vcc_lo
	s_cbranch_execz .LBB6_12325
; %bb.12318:                            ;   in Loop: Header=BB6_11991 Depth=2
	v_mov_b32_e32 v135, 0
	s_mov_b32 s23, exec_lo
	v_cmpx_ne_u32_e32 0, v144
	s_cbranch_execz .LBB6_12324
; %bb.12319:                            ;   in Loop: Header=BB6_11991 Depth=2
	v_bfe_u32 v135, v144, 23, 8
	s_delay_alu instid0(VALU_DEP_1) | instskip(SKIP_1) | instid1(VALU_DEP_2)
	v_sub_nc_u32_e32 v146, 0x78, v135
	v_cmp_gt_u32_e32 vcc_lo, 0x79, v135
	v_dual_cndmask_b32 v146, 0, v146 :: v_dual_and_b32 v145, 0x7fffff, v144
	s_delay_alu instid0(VALU_DEP_1) | instskip(SKIP_2) | instid1(VALU_DEP_4)
	v_or_b32_e32 v147, 0x800000, v145
	v_cmp_eq_u32_e32 vcc_lo, 0, v135
	v_add_nc_u32_e32 v135, 0xffffff89, v135
	v_cndmask_b32_e64 v146, v146, 0x77, vcc_lo
	s_delay_alu instid0(VALU_DEP_2) | instskip(SKIP_1) | instid1(VALU_DEP_3)
	v_cndmask_b32_e64 v135, v135, 0xffffff8a, vcc_lo
	v_cndmask_b32_e32 v145, v147, v145, vcc_lo
	v_lshl_add_u32 v147, 0x100000, v146, -1
	v_lshlrev_b32_e64 v150, v146, 0x80000
	s_delay_alu instid0(VALU_DEP_3) | instskip(SKIP_1) | instid1(VALU_DEP_4)
	v_lshrrev_b32_e32 v148, v146, v145
	v_add_nc_u32_e32 v146, v146, v135
	v_and_b32_e32 v145, v147, v145
	s_delay_alu instid0(VALU_DEP_3) | instskip(NEXT) | instid1(VALU_DEP_2)
	v_bfe_u32 v149, v148, 20, 1
	v_cmp_eq_u32_e64 s10, v145, v150
	s_delay_alu instid0(VALU_DEP_2) | instskip(NEXT) | instid1(VALU_DEP_1)
	v_add_nc_u32_e32 v147, -1, v149
	v_cndmask_b32_e64 v145, 0, v147, s10
	v_lshrrev_b32_e32 v147, 23, v148
	s_mov_b32 s10, exec_lo
	s_delay_alu instid0(VALU_DEP_2) | instskip(NEXT) | instid1(VALU_DEP_2)
	v_add_nc_u32_e32 v145, v145, v148
	v_xor_b32_e32 v147, 1, v147
	s_delay_alu instid0(VALU_DEP_2) | instskip(NEXT) | instid1(VALU_DEP_1)
	v_and_b32_e32 v135, 0xfffff, v145
	v_add_nc_u32_e32 v145, v135, v148
                                        ; implicit-def: $vgpr135
	s_delay_alu instid0(VALU_DEP_3)
	v_cmpx_ne_u32_e64 v146, v147
	s_xor_b32 s10, exec_lo, s10
; %bb.12320:                            ;   in Loop: Header=BB6_11991 Depth=2
	s_delay_alu instid0(VALU_DEP_2) | instskip(SKIP_2) | instid1(VALU_DEP_2)
	v_cmp_lt_u32_e32 vcc_lo, 0xffffff, v145
	v_sub_nc_u32_e32 v135, v146, v147
	v_cndmask_b32_e64 v146, 0, 1, vcc_lo
	v_add_co_ci_u32_e32 v135, vcc_lo, 0, v135, vcc_lo
	s_delay_alu instid0(VALU_DEP_2)
	v_lshrrev_b32_e32 v145, v146, v145
; %bb.12321:                            ;   in Loop: Header=BB6_11991 Depth=2
	s_and_not1_saveexec_b32 s10, s10
; %bb.12322:                            ;   in Loop: Header=BB6_11991 Depth=2
	s_delay_alu instid0(VALU_DEP_1)
	v_bfe_u32 v135, v145, 23, 1
; %bb.12323:                            ;   in Loop: Header=BB6_11991 Depth=2
	s_or_b32 exec_lo, exec_lo, s10
	v_lshrrev_b32_e32 v145, 20, v145
	s_delay_alu instid0(VALU_DEP_2) | instskip(SKIP_2) | instid1(VALU_DEP_2)
	v_cmp_gt_i32_e32 vcc_lo, 16, v135
	v_lshrrev_b32_e32 v144, 24, v144
	v_min_i32_e32 v146, 15, v135
	v_dual_cndmask_b32 v145, 7, v145 :: v_dual_and_b32 v144, 0x80, v144
	s_delay_alu instid0(VALU_DEP_1) | instskip(SKIP_1) | instid1(VALU_DEP_2)
	v_or_b32_e32 v135, v135, v145
	v_and_b32_e32 v147, 7, v145
	v_cmp_ne_u32_e32 vcc_lo, 0, v135
	v_lshlrev_b32_e32 v146, 3, v146
	s_delay_alu instid0(VALU_DEP_1) | instskip(NEXT) | instid1(VALU_DEP_1)
	v_or3_b32 v144, v146, v144, v147
	v_cndmask_b32_e32 v135, 0, v144, vcc_lo
.LBB6_12324:                            ;   in Loop: Header=BB6_11991 Depth=2
	s_or_b32 exec_lo, exec_lo, s23
.LBB6_12325:                            ;   in Loop: Header=BB6_11991 Depth=2
	s_delay_alu instid0(SALU_CYCLE_1)
	s_or_b32 exec_lo, exec_lo, s22
	flat_load_u8 v144, v[19:20] offset:864 slc dlc
	s_mov_b32 s10, 0
	s_mov_b32 s23, exec_lo
                                        ; implicit-def: $sgpr22
	s_waitcnt vmcnt(0) lgkmcnt(0)
	v_cmpx_lt_i16_e64 0x7f, v144
	s_xor_b32 s23, exec_lo, s23
	s_cbranch_execnz .LBB6_12494
; %bb.12326:                            ;   in Loop: Header=BB6_11991 Depth=2
	s_or_saveexec_b32 s23, s23
	v_mov_b32_e32 v145, s22
	s_xor_b32 exec_lo, exec_lo, s23
	s_cbranch_execnz .LBB6_12497
.LBB6_12327:                            ;   in Loop: Header=BB6_11991 Depth=2
	s_or_b32 exec_lo, exec_lo, s23
	s_and_saveexec_b32 s22, s10
	s_cbranch_execz .LBB6_12329
.LBB6_12328:                            ;   in Loop: Header=BB6_11991 Depth=2
	v_and_b32_e32 v145, 0xffff, v144
	v_lshlrev_b32_e32 v144, 24, v144
	s_delay_alu instid0(VALU_DEP_2) | instskip(NEXT) | instid1(VALU_DEP_2)
	v_and_b32_e32 v146, 7, v145
	v_and_b32_e32 v144, 0x80000000, v144
	s_delay_alu instid0(VALU_DEP_2) | instskip(NEXT) | instid1(VALU_DEP_1)
	v_clz_i32_u32_e32 v147, v146
	v_min_u32_e32 v147, 32, v147
	s_delay_alu instid0(VALU_DEP_1) | instskip(SKIP_1) | instid1(VALU_DEP_2)
	v_subrev_nc_u32_e32 v148, 28, v147
	v_sub_nc_u32_e32 v147, 29, v147
	v_lshlrev_b32_e32 v148, v148, v145
	v_bfe_u32 v145, v145, 3, 4
	s_delay_alu instid0(VALU_DEP_2) | instskip(NEXT) | instid1(VALU_DEP_2)
	v_and_b32_e32 v148, 7, v148
	v_cmp_eq_u32_e32 vcc_lo, 0, v145
	s_delay_alu instid0(VALU_DEP_2) | instskip(NEXT) | instid1(VALU_DEP_1)
	v_dual_cndmask_b32 v145, v145, v147 :: v_dual_cndmask_b32 v146, v146, v148
	v_lshl_add_u32 v145, v145, 23, 0x3b800000
	s_delay_alu instid0(VALU_DEP_2) | instskip(NEXT) | instid1(VALU_DEP_1)
	v_lshlrev_b32_e32 v146, 20, v146
	v_or3_b32 v145, v144, v145, v146
.LBB6_12329:                            ;   in Loop: Header=BB6_11991 Depth=2
	s_or_b32 exec_lo, exec_lo, s22
	s_delay_alu instid0(VALU_DEP_1) | instskip(NEXT) | instid1(VALU_DEP_1)
	v_mul_f32_e32 v145, v87, v145
	v_and_b32_e32 v144, 0x7f800000, v145
	s_delay_alu instid0(VALU_DEP_1)
	v_cmp_ne_u32_e32 vcc_lo, 0x7f800000, v144
	v_mov_b32_e32 v144, 0x80
	s_and_saveexec_b32 s22, vcc_lo
	s_cbranch_execz .LBB6_12337
; %bb.12330:                            ;   in Loop: Header=BB6_11991 Depth=2
	v_mov_b32_e32 v144, 0
	s_mov_b32 s23, exec_lo
	v_cmpx_ne_u32_e32 0, v145
	s_cbranch_execz .LBB6_12336
; %bb.12331:                            ;   in Loop: Header=BB6_11991 Depth=2
	v_bfe_u32 v144, v145, 23, 8
	s_delay_alu instid0(VALU_DEP_1) | instskip(SKIP_1) | instid1(VALU_DEP_2)
	v_sub_nc_u32_e32 v147, 0x78, v144
	v_cmp_gt_u32_e32 vcc_lo, 0x79, v144
	v_dual_cndmask_b32 v147, 0, v147 :: v_dual_and_b32 v146, 0x7fffff, v145
	s_delay_alu instid0(VALU_DEP_1) | instskip(SKIP_2) | instid1(VALU_DEP_4)
	v_or_b32_e32 v148, 0x800000, v146
	v_cmp_eq_u32_e32 vcc_lo, 0, v144
	v_add_nc_u32_e32 v144, 0xffffff89, v144
	v_cndmask_b32_e64 v147, v147, 0x77, vcc_lo
	s_delay_alu instid0(VALU_DEP_2) | instskip(SKIP_1) | instid1(VALU_DEP_3)
	v_cndmask_b32_e64 v144, v144, 0xffffff8a, vcc_lo
	v_cndmask_b32_e32 v146, v148, v146, vcc_lo
	v_lshl_add_u32 v148, 0x100000, v147, -1
	v_lshlrev_b32_e64 v151, v147, 0x80000
	s_delay_alu instid0(VALU_DEP_3) | instskip(SKIP_1) | instid1(VALU_DEP_4)
	v_lshrrev_b32_e32 v149, v147, v146
	v_add_nc_u32_e32 v147, v147, v144
	v_and_b32_e32 v146, v148, v146
	s_delay_alu instid0(VALU_DEP_3) | instskip(NEXT) | instid1(VALU_DEP_2)
	v_bfe_u32 v150, v149, 20, 1
	v_cmp_eq_u32_e64 s10, v146, v151
	s_delay_alu instid0(VALU_DEP_2) | instskip(NEXT) | instid1(VALU_DEP_1)
	v_add_nc_u32_e32 v148, -1, v150
	v_cndmask_b32_e64 v146, 0, v148, s10
	v_lshrrev_b32_e32 v148, 23, v149
	s_mov_b32 s10, exec_lo
	s_delay_alu instid0(VALU_DEP_2) | instskip(NEXT) | instid1(VALU_DEP_2)
	v_add_nc_u32_e32 v146, v146, v149
	v_xor_b32_e32 v148, 1, v148
	s_delay_alu instid0(VALU_DEP_2) | instskip(NEXT) | instid1(VALU_DEP_1)
	v_and_b32_e32 v144, 0xfffff, v146
	v_add_nc_u32_e32 v146, v144, v149
                                        ; implicit-def: $vgpr144
	s_delay_alu instid0(VALU_DEP_3)
	v_cmpx_ne_u32_e64 v147, v148
	s_xor_b32 s10, exec_lo, s10
; %bb.12332:                            ;   in Loop: Header=BB6_11991 Depth=2
	s_delay_alu instid0(VALU_DEP_2) | instskip(SKIP_2) | instid1(VALU_DEP_2)
	v_cmp_lt_u32_e32 vcc_lo, 0xffffff, v146
	v_sub_nc_u32_e32 v144, v147, v148
	v_cndmask_b32_e64 v147, 0, 1, vcc_lo
	v_add_co_ci_u32_e32 v144, vcc_lo, 0, v144, vcc_lo
	s_delay_alu instid0(VALU_DEP_2)
	v_lshrrev_b32_e32 v146, v147, v146
; %bb.12333:                            ;   in Loop: Header=BB6_11991 Depth=2
	s_and_not1_saveexec_b32 s10, s10
; %bb.12334:                            ;   in Loop: Header=BB6_11991 Depth=2
	s_delay_alu instid0(VALU_DEP_1)
	v_bfe_u32 v144, v146, 23, 1
; %bb.12335:                            ;   in Loop: Header=BB6_11991 Depth=2
	s_or_b32 exec_lo, exec_lo, s10
	v_lshrrev_b32_e32 v146, 20, v146
	s_delay_alu instid0(VALU_DEP_2) | instskip(SKIP_2) | instid1(VALU_DEP_2)
	v_cmp_gt_i32_e32 vcc_lo, 16, v144
	v_lshrrev_b32_e32 v145, 24, v145
	v_min_i32_e32 v147, 15, v144
	v_dual_cndmask_b32 v146, 7, v146 :: v_dual_and_b32 v145, 0x80, v145
	s_delay_alu instid0(VALU_DEP_1) | instskip(SKIP_1) | instid1(VALU_DEP_2)
	v_or_b32_e32 v144, v144, v146
	v_and_b32_e32 v148, 7, v146
	v_cmp_ne_u32_e32 vcc_lo, 0, v144
	v_lshlrev_b32_e32 v147, 3, v147
	s_delay_alu instid0(VALU_DEP_1) | instskip(NEXT) | instid1(VALU_DEP_1)
	v_or3_b32 v145, v147, v145, v148
	v_cndmask_b32_e32 v144, 0, v145, vcc_lo
.LBB6_12336:                            ;   in Loop: Header=BB6_11991 Depth=2
	s_or_b32 exec_lo, exec_lo, s23
.LBB6_12337:                            ;   in Loop: Header=BB6_11991 Depth=2
	s_delay_alu instid0(SALU_CYCLE_1)
	s_or_b32 exec_lo, exec_lo, s22
	flat_load_u8 v145, v[19:20] offset:896 slc dlc
	s_mov_b32 s10, 0
	s_mov_b32 s23, exec_lo
                                        ; implicit-def: $sgpr22
	s_waitcnt vmcnt(0) lgkmcnt(0)
	v_cmpx_lt_i16_e64 0x7f, v145
	s_xor_b32 s23, exec_lo, s23
	s_cbranch_execnz .LBB6_12498
; %bb.12338:                            ;   in Loop: Header=BB6_11991 Depth=2
	s_or_saveexec_b32 s23, s23
	v_mov_b32_e32 v146, s22
	s_xor_b32 exec_lo, exec_lo, s23
	s_cbranch_execnz .LBB6_12501
.LBB6_12339:                            ;   in Loop: Header=BB6_11991 Depth=2
	s_or_b32 exec_lo, exec_lo, s23
	s_and_saveexec_b32 s22, s10
	s_cbranch_execz .LBB6_12341
.LBB6_12340:                            ;   in Loop: Header=BB6_11991 Depth=2
	v_and_b32_e32 v146, 0xffff, v145
	v_lshlrev_b32_e32 v145, 24, v145
	s_delay_alu instid0(VALU_DEP_2) | instskip(NEXT) | instid1(VALU_DEP_2)
	v_and_b32_e32 v147, 7, v146
	v_and_b32_e32 v145, 0x80000000, v145
	s_delay_alu instid0(VALU_DEP_2) | instskip(NEXT) | instid1(VALU_DEP_1)
	v_clz_i32_u32_e32 v148, v147
	v_min_u32_e32 v148, 32, v148
	s_delay_alu instid0(VALU_DEP_1) | instskip(SKIP_1) | instid1(VALU_DEP_2)
	v_subrev_nc_u32_e32 v149, 28, v148
	v_sub_nc_u32_e32 v148, 29, v148
	v_lshlrev_b32_e32 v149, v149, v146
	v_bfe_u32 v146, v146, 3, 4
	s_delay_alu instid0(VALU_DEP_2) | instskip(NEXT) | instid1(VALU_DEP_2)
	v_and_b32_e32 v149, 7, v149
	v_cmp_eq_u32_e32 vcc_lo, 0, v146
	s_delay_alu instid0(VALU_DEP_2) | instskip(NEXT) | instid1(VALU_DEP_1)
	v_dual_cndmask_b32 v146, v146, v148 :: v_dual_cndmask_b32 v147, v147, v149
	v_lshl_add_u32 v146, v146, 23, 0x3b800000
	s_delay_alu instid0(VALU_DEP_2) | instskip(NEXT) | instid1(VALU_DEP_1)
	v_lshlrev_b32_e32 v147, 20, v147
	v_or3_b32 v146, v145, v146, v147
.LBB6_12341:                            ;   in Loop: Header=BB6_11991 Depth=2
	s_or_b32 exec_lo, exec_lo, s22
	s_delay_alu instid0(VALU_DEP_1) | instskip(NEXT) | instid1(VALU_DEP_1)
	v_mul_f32_e32 v146, v87, v146
	v_and_b32_e32 v145, 0x7f800000, v146
	s_delay_alu instid0(VALU_DEP_1)
	v_cmp_ne_u32_e32 vcc_lo, 0x7f800000, v145
	v_mov_b32_e32 v145, 0x80
	s_and_saveexec_b32 s22, vcc_lo
	s_cbranch_execz .LBB6_12349
; %bb.12342:                            ;   in Loop: Header=BB6_11991 Depth=2
	v_mov_b32_e32 v145, 0
	s_mov_b32 s23, exec_lo
	v_cmpx_ne_u32_e32 0, v146
	s_cbranch_execz .LBB6_12348
; %bb.12343:                            ;   in Loop: Header=BB6_11991 Depth=2
	v_bfe_u32 v145, v146, 23, 8
	s_delay_alu instid0(VALU_DEP_1) | instskip(SKIP_1) | instid1(VALU_DEP_2)
	v_sub_nc_u32_e32 v148, 0x78, v145
	v_cmp_gt_u32_e32 vcc_lo, 0x79, v145
	v_dual_cndmask_b32 v148, 0, v148 :: v_dual_and_b32 v147, 0x7fffff, v146
	s_delay_alu instid0(VALU_DEP_1) | instskip(SKIP_2) | instid1(VALU_DEP_4)
	v_or_b32_e32 v149, 0x800000, v147
	v_cmp_eq_u32_e32 vcc_lo, 0, v145
	v_add_nc_u32_e32 v145, 0xffffff89, v145
	v_cndmask_b32_e64 v148, v148, 0x77, vcc_lo
	s_delay_alu instid0(VALU_DEP_2) | instskip(SKIP_1) | instid1(VALU_DEP_3)
	v_cndmask_b32_e64 v145, v145, 0xffffff8a, vcc_lo
	v_cndmask_b32_e32 v147, v149, v147, vcc_lo
	v_lshl_add_u32 v149, 0x100000, v148, -1
	v_lshlrev_b32_e64 v160, v148, 0x80000
	s_delay_alu instid0(VALU_DEP_3) | instskip(SKIP_1) | instid1(VALU_DEP_4)
	v_lshrrev_b32_e32 v150, v148, v147
	v_add_nc_u32_e32 v148, v148, v145
	v_and_b32_e32 v147, v149, v147
	s_delay_alu instid0(VALU_DEP_3) | instskip(NEXT) | instid1(VALU_DEP_2)
	v_bfe_u32 v151, v150, 20, 1
	v_cmp_eq_u32_e64 s10, v147, v160
	s_delay_alu instid0(VALU_DEP_2) | instskip(NEXT) | instid1(VALU_DEP_1)
	v_add_nc_u32_e32 v149, -1, v151
	v_cndmask_b32_e64 v147, 0, v149, s10
	v_lshrrev_b32_e32 v149, 23, v150
	s_mov_b32 s10, exec_lo
	s_delay_alu instid0(VALU_DEP_2) | instskip(NEXT) | instid1(VALU_DEP_2)
	v_add_nc_u32_e32 v147, v147, v150
	v_xor_b32_e32 v149, 1, v149
	s_delay_alu instid0(VALU_DEP_2) | instskip(NEXT) | instid1(VALU_DEP_1)
	v_and_b32_e32 v145, 0xfffff, v147
	v_add_nc_u32_e32 v147, v145, v150
                                        ; implicit-def: $vgpr145
	s_delay_alu instid0(VALU_DEP_3)
	v_cmpx_ne_u32_e64 v148, v149
	s_xor_b32 s10, exec_lo, s10
; %bb.12344:                            ;   in Loop: Header=BB6_11991 Depth=2
	s_delay_alu instid0(VALU_DEP_2) | instskip(SKIP_2) | instid1(VALU_DEP_2)
	v_cmp_lt_u32_e32 vcc_lo, 0xffffff, v147
	v_sub_nc_u32_e32 v145, v148, v149
	v_cndmask_b32_e64 v148, 0, 1, vcc_lo
	v_add_co_ci_u32_e32 v145, vcc_lo, 0, v145, vcc_lo
	s_delay_alu instid0(VALU_DEP_2)
	v_lshrrev_b32_e32 v147, v148, v147
; %bb.12345:                            ;   in Loop: Header=BB6_11991 Depth=2
	s_and_not1_saveexec_b32 s10, s10
; %bb.12346:                            ;   in Loop: Header=BB6_11991 Depth=2
	s_delay_alu instid0(VALU_DEP_1)
	v_bfe_u32 v145, v147, 23, 1
; %bb.12347:                            ;   in Loop: Header=BB6_11991 Depth=2
	s_or_b32 exec_lo, exec_lo, s10
	v_lshrrev_b32_e32 v147, 20, v147
	s_delay_alu instid0(VALU_DEP_2) | instskip(SKIP_2) | instid1(VALU_DEP_2)
	v_cmp_gt_i32_e32 vcc_lo, 16, v145
	v_lshrrev_b32_e32 v146, 24, v146
	v_min_i32_e32 v148, 15, v145
	v_dual_cndmask_b32 v147, 7, v147 :: v_dual_and_b32 v146, 0x80, v146
	s_delay_alu instid0(VALU_DEP_1) | instskip(SKIP_1) | instid1(VALU_DEP_2)
	v_or_b32_e32 v145, v145, v147
	v_and_b32_e32 v149, 7, v147
	v_cmp_ne_u32_e32 vcc_lo, 0, v145
	v_lshlrev_b32_e32 v148, 3, v148
	s_delay_alu instid0(VALU_DEP_1) | instskip(NEXT) | instid1(VALU_DEP_1)
	v_or3_b32 v146, v148, v146, v149
	v_cndmask_b32_e32 v145, 0, v146, vcc_lo
.LBB6_12348:                            ;   in Loop: Header=BB6_11991 Depth=2
	s_or_b32 exec_lo, exec_lo, s23
.LBB6_12349:                            ;   in Loop: Header=BB6_11991 Depth=2
	s_delay_alu instid0(SALU_CYCLE_1)
	s_or_b32 exec_lo, exec_lo, s22
	flat_load_u8 v146, v[19:20] offset:928 slc dlc
	s_mov_b32 s10, 0
	s_mov_b32 s23, exec_lo
                                        ; implicit-def: $sgpr22
	s_waitcnt vmcnt(0) lgkmcnt(0)
	v_cmpx_lt_i16_e64 0x7f, v146
	s_xor_b32 s23, exec_lo, s23
	s_cbranch_execnz .LBB6_12502
; %bb.12350:                            ;   in Loop: Header=BB6_11991 Depth=2
	s_or_saveexec_b32 s23, s23
	v_mov_b32_e32 v147, s22
	s_xor_b32 exec_lo, exec_lo, s23
	s_cbranch_execnz .LBB6_12505
.LBB6_12351:                            ;   in Loop: Header=BB6_11991 Depth=2
	s_or_b32 exec_lo, exec_lo, s23
	s_and_saveexec_b32 s22, s10
	s_cbranch_execz .LBB6_12353
.LBB6_12352:                            ;   in Loop: Header=BB6_11991 Depth=2
	v_and_b32_e32 v147, 0xffff, v146
	v_lshlrev_b32_e32 v146, 24, v146
	s_delay_alu instid0(VALU_DEP_2) | instskip(NEXT) | instid1(VALU_DEP_2)
	v_and_b32_e32 v148, 7, v147
	v_and_b32_e32 v146, 0x80000000, v146
	s_delay_alu instid0(VALU_DEP_2) | instskip(NEXT) | instid1(VALU_DEP_1)
	v_clz_i32_u32_e32 v149, v148
	v_min_u32_e32 v149, 32, v149
	s_delay_alu instid0(VALU_DEP_1) | instskip(SKIP_1) | instid1(VALU_DEP_2)
	v_subrev_nc_u32_e32 v150, 28, v149
	v_sub_nc_u32_e32 v149, 29, v149
	v_lshlrev_b32_e32 v150, v150, v147
	v_bfe_u32 v147, v147, 3, 4
	s_delay_alu instid0(VALU_DEP_2) | instskip(NEXT) | instid1(VALU_DEP_2)
	v_and_b32_e32 v150, 7, v150
	v_cmp_eq_u32_e32 vcc_lo, 0, v147
	s_delay_alu instid0(VALU_DEP_2) | instskip(NEXT) | instid1(VALU_DEP_1)
	v_dual_cndmask_b32 v147, v147, v149 :: v_dual_cndmask_b32 v148, v148, v150
	v_lshl_add_u32 v147, v147, 23, 0x3b800000
	s_delay_alu instid0(VALU_DEP_2) | instskip(NEXT) | instid1(VALU_DEP_1)
	v_lshlrev_b32_e32 v148, 20, v148
	v_or3_b32 v147, v146, v147, v148
.LBB6_12353:                            ;   in Loop: Header=BB6_11991 Depth=2
	s_or_b32 exec_lo, exec_lo, s22
	s_delay_alu instid0(VALU_DEP_1) | instskip(NEXT) | instid1(VALU_DEP_1)
	v_mul_f32_e32 v147, v87, v147
	v_and_b32_e32 v146, 0x7f800000, v147
	s_delay_alu instid0(VALU_DEP_1)
	v_cmp_ne_u32_e32 vcc_lo, 0x7f800000, v146
	v_mov_b32_e32 v146, 0x80
	s_and_saveexec_b32 s22, vcc_lo
	s_cbranch_execz .LBB6_12361
; %bb.12354:                            ;   in Loop: Header=BB6_11991 Depth=2
	v_mov_b32_e32 v146, 0
	s_mov_b32 s23, exec_lo
	v_cmpx_ne_u32_e32 0, v147
	s_cbranch_execz .LBB6_12360
; %bb.12355:                            ;   in Loop: Header=BB6_11991 Depth=2
	v_bfe_u32 v146, v147, 23, 8
	s_delay_alu instid0(VALU_DEP_1) | instskip(SKIP_1) | instid1(VALU_DEP_2)
	v_sub_nc_u32_e32 v149, 0x78, v146
	v_cmp_gt_u32_e32 vcc_lo, 0x79, v146
	v_dual_cndmask_b32 v149, 0, v149 :: v_dual_and_b32 v148, 0x7fffff, v147
	s_delay_alu instid0(VALU_DEP_1) | instskip(SKIP_2) | instid1(VALU_DEP_4)
	v_or_b32_e32 v150, 0x800000, v148
	v_cmp_eq_u32_e32 vcc_lo, 0, v146
	v_add_nc_u32_e32 v146, 0xffffff89, v146
	v_cndmask_b32_e64 v149, v149, 0x77, vcc_lo
	s_delay_alu instid0(VALU_DEP_2) | instskip(SKIP_1) | instid1(VALU_DEP_3)
	v_cndmask_b32_e64 v146, v146, 0xffffff8a, vcc_lo
	v_cndmask_b32_e32 v148, v150, v148, vcc_lo
	v_lshl_add_u32 v150, 0x100000, v149, -1
	v_lshlrev_b32_e64 v161, v149, 0x80000
	s_delay_alu instid0(VALU_DEP_3) | instskip(SKIP_1) | instid1(VALU_DEP_4)
	v_lshrrev_b32_e32 v151, v149, v148
	v_add_nc_u32_e32 v149, v149, v146
	v_and_b32_e32 v148, v150, v148
	s_delay_alu instid0(VALU_DEP_3) | instskip(NEXT) | instid1(VALU_DEP_2)
	v_bfe_u32 v160, v151, 20, 1
	v_cmp_eq_u32_e64 s10, v148, v161
	s_delay_alu instid0(VALU_DEP_2) | instskip(NEXT) | instid1(VALU_DEP_1)
	v_add_nc_u32_e32 v150, -1, v160
	v_cndmask_b32_e64 v148, 0, v150, s10
	v_lshrrev_b32_e32 v150, 23, v151
	s_mov_b32 s10, exec_lo
	s_delay_alu instid0(VALU_DEP_2) | instskip(NEXT) | instid1(VALU_DEP_2)
	v_add_nc_u32_e32 v148, v148, v151
	v_xor_b32_e32 v150, 1, v150
	s_delay_alu instid0(VALU_DEP_2) | instskip(NEXT) | instid1(VALU_DEP_1)
	v_and_b32_e32 v146, 0xfffff, v148
	v_add_nc_u32_e32 v148, v146, v151
                                        ; implicit-def: $vgpr146
	s_delay_alu instid0(VALU_DEP_3)
	v_cmpx_ne_u32_e64 v149, v150
	s_xor_b32 s10, exec_lo, s10
; %bb.12356:                            ;   in Loop: Header=BB6_11991 Depth=2
	s_delay_alu instid0(VALU_DEP_2) | instskip(SKIP_2) | instid1(VALU_DEP_2)
	v_cmp_lt_u32_e32 vcc_lo, 0xffffff, v148
	v_sub_nc_u32_e32 v146, v149, v150
	v_cndmask_b32_e64 v149, 0, 1, vcc_lo
	v_add_co_ci_u32_e32 v146, vcc_lo, 0, v146, vcc_lo
	s_delay_alu instid0(VALU_DEP_2)
	v_lshrrev_b32_e32 v148, v149, v148
; %bb.12357:                            ;   in Loop: Header=BB6_11991 Depth=2
	s_and_not1_saveexec_b32 s10, s10
; %bb.12358:                            ;   in Loop: Header=BB6_11991 Depth=2
	s_delay_alu instid0(VALU_DEP_1)
	v_bfe_u32 v146, v148, 23, 1
; %bb.12359:                            ;   in Loop: Header=BB6_11991 Depth=2
	s_or_b32 exec_lo, exec_lo, s10
	v_lshrrev_b32_e32 v148, 20, v148
	s_delay_alu instid0(VALU_DEP_2) | instskip(SKIP_2) | instid1(VALU_DEP_2)
	v_cmp_gt_i32_e32 vcc_lo, 16, v146
	v_lshrrev_b32_e32 v147, 24, v147
	v_min_i32_e32 v149, 15, v146
	v_dual_cndmask_b32 v148, 7, v148 :: v_dual_and_b32 v147, 0x80, v147
	s_delay_alu instid0(VALU_DEP_1) | instskip(SKIP_1) | instid1(VALU_DEP_2)
	v_or_b32_e32 v146, v146, v148
	v_and_b32_e32 v150, 7, v148
	v_cmp_ne_u32_e32 vcc_lo, 0, v146
	v_lshlrev_b32_e32 v149, 3, v149
	s_delay_alu instid0(VALU_DEP_1) | instskip(NEXT) | instid1(VALU_DEP_1)
	v_or3_b32 v147, v149, v147, v150
	v_cndmask_b32_e32 v146, 0, v147, vcc_lo
.LBB6_12360:                            ;   in Loop: Header=BB6_11991 Depth=2
	s_or_b32 exec_lo, exec_lo, s23
.LBB6_12361:                            ;   in Loop: Header=BB6_11991 Depth=2
	s_delay_alu instid0(SALU_CYCLE_1)
	s_or_b32 exec_lo, exec_lo, s22
	flat_load_u8 v147, v[19:20] offset:960 slc dlc
	s_mov_b32 s10, 0
	s_mov_b32 s23, exec_lo
                                        ; implicit-def: $sgpr22
	s_waitcnt vmcnt(0) lgkmcnt(0)
	v_cmpx_lt_i16_e64 0x7f, v147
	s_xor_b32 s23, exec_lo, s23
	s_cbranch_execnz .LBB6_12506
; %bb.12362:                            ;   in Loop: Header=BB6_11991 Depth=2
	s_or_saveexec_b32 s23, s23
	v_mov_b32_e32 v148, s22
	s_xor_b32 exec_lo, exec_lo, s23
	s_cbranch_execnz .LBB6_12509
.LBB6_12363:                            ;   in Loop: Header=BB6_11991 Depth=2
	s_or_b32 exec_lo, exec_lo, s23
	s_and_saveexec_b32 s22, s10
	s_cbranch_execz .LBB6_12365
.LBB6_12364:                            ;   in Loop: Header=BB6_11991 Depth=2
	v_and_b32_e32 v148, 0xffff, v147
	v_lshlrev_b32_e32 v147, 24, v147
	s_delay_alu instid0(VALU_DEP_2) | instskip(NEXT) | instid1(VALU_DEP_2)
	v_and_b32_e32 v149, 7, v148
	v_and_b32_e32 v147, 0x80000000, v147
	s_delay_alu instid0(VALU_DEP_2) | instskip(NEXT) | instid1(VALU_DEP_1)
	v_clz_i32_u32_e32 v150, v149
	v_min_u32_e32 v150, 32, v150
	s_delay_alu instid0(VALU_DEP_1) | instskip(SKIP_1) | instid1(VALU_DEP_2)
	v_subrev_nc_u32_e32 v151, 28, v150
	v_sub_nc_u32_e32 v150, 29, v150
	v_lshlrev_b32_e32 v151, v151, v148
	v_bfe_u32 v148, v148, 3, 4
	s_delay_alu instid0(VALU_DEP_2) | instskip(NEXT) | instid1(VALU_DEP_2)
	v_and_b32_e32 v151, 7, v151
	v_cmp_eq_u32_e32 vcc_lo, 0, v148
	s_delay_alu instid0(VALU_DEP_2) | instskip(NEXT) | instid1(VALU_DEP_1)
	v_dual_cndmask_b32 v148, v148, v150 :: v_dual_cndmask_b32 v149, v149, v151
	v_lshl_add_u32 v148, v148, 23, 0x3b800000
	s_delay_alu instid0(VALU_DEP_2) | instskip(NEXT) | instid1(VALU_DEP_1)
	v_lshlrev_b32_e32 v149, 20, v149
	v_or3_b32 v148, v147, v148, v149
.LBB6_12365:                            ;   in Loop: Header=BB6_11991 Depth=2
	s_or_b32 exec_lo, exec_lo, s22
	s_delay_alu instid0(VALU_DEP_1) | instskip(NEXT) | instid1(VALU_DEP_1)
	v_mul_f32_e32 v148, v87, v148
	v_and_b32_e32 v147, 0x7f800000, v148
	s_delay_alu instid0(VALU_DEP_1)
	v_cmp_ne_u32_e32 vcc_lo, 0x7f800000, v147
	v_mov_b32_e32 v147, 0x80
	s_and_saveexec_b32 s22, vcc_lo
	s_cbranch_execz .LBB6_12373
; %bb.12366:                            ;   in Loop: Header=BB6_11991 Depth=2
	v_mov_b32_e32 v147, 0
	s_mov_b32 s23, exec_lo
	v_cmpx_ne_u32_e32 0, v148
	s_cbranch_execz .LBB6_12372
; %bb.12367:                            ;   in Loop: Header=BB6_11991 Depth=2
	v_bfe_u32 v147, v148, 23, 8
	s_delay_alu instid0(VALU_DEP_1) | instskip(SKIP_1) | instid1(VALU_DEP_2)
	v_sub_nc_u32_e32 v150, 0x78, v147
	v_cmp_gt_u32_e32 vcc_lo, 0x79, v147
	v_dual_cndmask_b32 v150, 0, v150 :: v_dual_and_b32 v149, 0x7fffff, v148
	s_delay_alu instid0(VALU_DEP_1) | instskip(SKIP_2) | instid1(VALU_DEP_4)
	v_or_b32_e32 v151, 0x800000, v149
	v_cmp_eq_u32_e32 vcc_lo, 0, v147
	v_add_nc_u32_e32 v147, 0xffffff89, v147
	v_cndmask_b32_e64 v150, v150, 0x77, vcc_lo
	s_delay_alu instid0(VALU_DEP_2) | instskip(SKIP_1) | instid1(VALU_DEP_3)
	v_cndmask_b32_e64 v147, v147, 0xffffff8a, vcc_lo
	v_cndmask_b32_e32 v149, v151, v149, vcc_lo
	v_lshl_add_u32 v151, 0x100000, v150, -1
	v_lshlrev_b32_e64 v162, v150, 0x80000
	s_delay_alu instid0(VALU_DEP_3) | instskip(SKIP_1) | instid1(VALU_DEP_4)
	v_lshrrev_b32_e32 v160, v150, v149
	v_add_nc_u32_e32 v150, v150, v147
	v_and_b32_e32 v149, v151, v149
	s_delay_alu instid0(VALU_DEP_3) | instskip(NEXT) | instid1(VALU_DEP_2)
	v_bfe_u32 v161, v160, 20, 1
	v_cmp_eq_u32_e64 s10, v149, v162
	s_delay_alu instid0(VALU_DEP_2) | instskip(NEXT) | instid1(VALU_DEP_1)
	v_add_nc_u32_e32 v151, -1, v161
	v_cndmask_b32_e64 v149, 0, v151, s10
	v_lshrrev_b32_e32 v151, 23, v160
	s_mov_b32 s10, exec_lo
	s_delay_alu instid0(VALU_DEP_2) | instskip(NEXT) | instid1(VALU_DEP_2)
	v_add_nc_u32_e32 v149, v149, v160
	v_xor_b32_e32 v151, 1, v151
	s_delay_alu instid0(VALU_DEP_2) | instskip(NEXT) | instid1(VALU_DEP_1)
	v_and_b32_e32 v147, 0xfffff, v149
	v_add_nc_u32_e32 v149, v147, v160
                                        ; implicit-def: $vgpr147
	s_delay_alu instid0(VALU_DEP_3)
	v_cmpx_ne_u32_e64 v150, v151
	s_xor_b32 s10, exec_lo, s10
; %bb.12368:                            ;   in Loop: Header=BB6_11991 Depth=2
	s_delay_alu instid0(VALU_DEP_2) | instskip(SKIP_2) | instid1(VALU_DEP_2)
	v_cmp_lt_u32_e32 vcc_lo, 0xffffff, v149
	v_sub_nc_u32_e32 v147, v150, v151
	v_cndmask_b32_e64 v150, 0, 1, vcc_lo
	v_add_co_ci_u32_e32 v147, vcc_lo, 0, v147, vcc_lo
	s_delay_alu instid0(VALU_DEP_2)
	v_lshrrev_b32_e32 v149, v150, v149
; %bb.12369:                            ;   in Loop: Header=BB6_11991 Depth=2
	s_and_not1_saveexec_b32 s10, s10
; %bb.12370:                            ;   in Loop: Header=BB6_11991 Depth=2
	s_delay_alu instid0(VALU_DEP_1)
	v_bfe_u32 v147, v149, 23, 1
; %bb.12371:                            ;   in Loop: Header=BB6_11991 Depth=2
	s_or_b32 exec_lo, exec_lo, s10
	v_lshrrev_b32_e32 v149, 20, v149
	s_delay_alu instid0(VALU_DEP_2) | instskip(SKIP_2) | instid1(VALU_DEP_2)
	v_cmp_gt_i32_e32 vcc_lo, 16, v147
	v_lshrrev_b32_e32 v148, 24, v148
	v_min_i32_e32 v150, 15, v147
	v_dual_cndmask_b32 v149, 7, v149 :: v_dual_and_b32 v148, 0x80, v148
	s_delay_alu instid0(VALU_DEP_1) | instskip(SKIP_1) | instid1(VALU_DEP_2)
	v_or_b32_e32 v147, v147, v149
	v_and_b32_e32 v151, 7, v149
	v_cmp_ne_u32_e32 vcc_lo, 0, v147
	v_lshlrev_b32_e32 v150, 3, v150
	s_delay_alu instid0(VALU_DEP_1) | instskip(NEXT) | instid1(VALU_DEP_1)
	v_or3_b32 v148, v150, v148, v151
	v_cndmask_b32_e32 v147, 0, v148, vcc_lo
.LBB6_12372:                            ;   in Loop: Header=BB6_11991 Depth=2
	s_or_b32 exec_lo, exec_lo, s23
.LBB6_12373:                            ;   in Loop: Header=BB6_11991 Depth=2
	s_delay_alu instid0(SALU_CYCLE_1)
	s_or_b32 exec_lo, exec_lo, s22
	flat_load_u8 v19, v[19:20] offset:992 slc dlc
	s_mov_b32 s10, 0
	s_mov_b32 s23, exec_lo
                                        ; implicit-def: $sgpr22
	s_waitcnt vmcnt(0) lgkmcnt(0)
	v_cmpx_lt_i16_e32 0x7f, v19
	s_xor_b32 s23, exec_lo, s23
	s_cbranch_execnz .LBB6_12510
; %bb.12374:                            ;   in Loop: Header=BB6_11991 Depth=2
	s_or_saveexec_b32 s23, s23
	v_mov_b32_e32 v20, s22
	s_xor_b32 exec_lo, exec_lo, s23
	s_cbranch_execnz .LBB6_12513
.LBB6_12375:                            ;   in Loop: Header=BB6_11991 Depth=2
	s_or_b32 exec_lo, exec_lo, s23
	s_and_saveexec_b32 s22, s10
	s_cbranch_execz .LBB6_12377
.LBB6_12376:                            ;   in Loop: Header=BB6_11991 Depth=2
	v_and_b32_e32 v20, 0xffff, v19
	s_delay_alu instid0(VALU_DEP_1) | instskip(NEXT) | instid1(VALU_DEP_1)
	v_and_b32_e32 v148, 7, v20
	v_clz_i32_u32_e32 v149, v148
	s_delay_alu instid0(VALU_DEP_1) | instskip(NEXT) | instid1(VALU_DEP_1)
	v_min_u32_e32 v149, 32, v149
	v_subrev_nc_u32_e32 v150, 28, v149
	v_sub_nc_u32_e32 v149, 29, v149
	s_delay_alu instid0(VALU_DEP_2) | instskip(SKIP_1) | instid1(VALU_DEP_2)
	v_lshlrev_b32_e32 v150, v150, v20
	v_bfe_u32 v20, v20, 3, 4
	v_and_b32_e32 v150, 7, v150
	s_delay_alu instid0(VALU_DEP_2) | instskip(SKIP_1) | instid1(VALU_DEP_1)
	v_cmp_eq_u32_e32 vcc_lo, 0, v20
	v_dual_cndmask_b32 v20, v20, v149 :: v_dual_lshlrev_b32 v19, 24, v19
	v_dual_cndmask_b32 v148, v148, v150 :: v_dual_and_b32 v19, 0x80000000, v19
	s_delay_alu instid0(VALU_DEP_2) | instskip(NEXT) | instid1(VALU_DEP_2)
	v_lshl_add_u32 v20, v20, 23, 0x3b800000
	v_lshlrev_b32_e32 v148, 20, v148
	s_delay_alu instid0(VALU_DEP_1)
	v_or3_b32 v20, v19, v20, v148
.LBB6_12377:                            ;   in Loop: Header=BB6_11991 Depth=2
	s_or_b32 exec_lo, exec_lo, s22
	s_delay_alu instid0(VALU_DEP_1) | instskip(NEXT) | instid1(VALU_DEP_1)
	v_mul_f32_e32 v19, v87, v20
	v_and_b32_e32 v20, 0x7f800000, v19
	s_delay_alu instid0(VALU_DEP_1)
	v_cmp_ne_u32_e32 vcc_lo, 0x7f800000, v20
	v_mov_b32_e32 v20, 0x80
	s_and_saveexec_b32 s22, vcc_lo
	s_cbranch_execz .LBB6_12385
; %bb.12378:                            ;   in Loop: Header=BB6_11991 Depth=2
	v_mov_b32_e32 v20, 0
	s_mov_b32 s23, exec_lo
	v_cmpx_ne_u32_e32 0, v19
	s_cbranch_execz .LBB6_12384
; %bb.12379:                            ;   in Loop: Header=BB6_11991 Depth=2
	v_bfe_u32 v20, v19, 23, 8
	s_delay_alu instid0(VALU_DEP_1) | instskip(SKIP_1) | instid1(VALU_DEP_2)
	v_sub_nc_u32_e32 v148, 0x78, v20
	v_cmp_gt_u32_e32 vcc_lo, 0x79, v20
	v_dual_cndmask_b32 v148, 0, v148 :: v_dual_and_b32 v87, 0x7fffff, v19
	s_delay_alu instid0(VALU_DEP_1) | instskip(SKIP_2) | instid1(VALU_DEP_4)
	v_or_b32_e32 v149, 0x800000, v87
	v_cmp_eq_u32_e32 vcc_lo, 0, v20
	v_add_nc_u32_e32 v20, 0xffffff89, v20
	v_cndmask_b32_e64 v148, v148, 0x77, vcc_lo
	s_delay_alu instid0(VALU_DEP_4) | instskip(NEXT) | instid1(VALU_DEP_3)
	v_cndmask_b32_e32 v87, v149, v87, vcc_lo
	v_cndmask_b32_e64 v20, v20, 0xffffff8a, vcc_lo
	s_delay_alu instid0(VALU_DEP_3) | instskip(NEXT) | instid1(VALU_DEP_3)
	v_lshl_add_u32 v149, 0x100000, v148, -1
	v_lshrrev_b32_e32 v150, v148, v87
	v_lshlrev_b32_e64 v160, v148, 0x80000
	s_delay_alu instid0(VALU_DEP_4) | instskip(NEXT) | instid1(VALU_DEP_4)
	v_add_nc_u32_e32 v148, v148, v20
	v_and_b32_e32 v87, v149, v87
	s_delay_alu instid0(VALU_DEP_4) | instskip(NEXT) | instid1(VALU_DEP_2)
	v_bfe_u32 v151, v150, 20, 1
	v_cmp_eq_u32_e64 s10, v87, v160
	s_delay_alu instid0(VALU_DEP_2) | instskip(NEXT) | instid1(VALU_DEP_1)
	v_add_nc_u32_e32 v149, -1, v151
	v_cndmask_b32_e64 v87, 0, v149, s10
	v_lshrrev_b32_e32 v149, 23, v150
	s_mov_b32 s10, exec_lo
	s_delay_alu instid0(VALU_DEP_2) | instskip(NEXT) | instid1(VALU_DEP_2)
	v_add_nc_u32_e32 v87, v87, v150
	v_xor_b32_e32 v149, 1, v149
	s_delay_alu instid0(VALU_DEP_2) | instskip(NEXT) | instid1(VALU_DEP_1)
	v_and_b32_e32 v20, 0xfffff, v87
	v_add_nc_u32_e32 v87, v20, v150
                                        ; implicit-def: $vgpr20
	s_delay_alu instid0(VALU_DEP_3)
	v_cmpx_ne_u32_e64 v148, v149
	s_xor_b32 s10, exec_lo, s10
; %bb.12380:                            ;   in Loop: Header=BB6_11991 Depth=2
	s_delay_alu instid0(VALU_DEP_2) | instskip(SKIP_2) | instid1(VALU_DEP_2)
	v_cmp_lt_u32_e32 vcc_lo, 0xffffff, v87
	v_sub_nc_u32_e32 v20, v148, v149
	v_cndmask_b32_e64 v148, 0, 1, vcc_lo
	v_add_co_ci_u32_e32 v20, vcc_lo, 0, v20, vcc_lo
	s_delay_alu instid0(VALU_DEP_2)
	v_lshrrev_b32_e32 v87, v148, v87
; %bb.12381:                            ;   in Loop: Header=BB6_11991 Depth=2
	s_and_not1_saveexec_b32 s10, s10
; %bb.12382:                            ;   in Loop: Header=BB6_11991 Depth=2
	s_delay_alu instid0(VALU_DEP_1)
	v_bfe_u32 v20, v87, 23, 1
; %bb.12383:                            ;   in Loop: Header=BB6_11991 Depth=2
	s_or_b32 exec_lo, exec_lo, s10
	v_lshrrev_b32_e32 v87, 20, v87
	s_delay_alu instid0(VALU_DEP_2) | instskip(SKIP_2) | instid1(VALU_DEP_4)
	v_cmp_gt_i32_e32 vcc_lo, 16, v20
	v_lshrrev_b32_e32 v19, 24, v19
	v_min_i32_e32 v148, 15, v20
	v_cndmask_b32_e32 v87, 7, v87, vcc_lo
	s_delay_alu instid0(VALU_DEP_3) | instskip(NEXT) | instid1(VALU_DEP_3)
	v_and_b32_e32 v19, 0x80, v19
	v_lshlrev_b32_e32 v148, 3, v148
	s_delay_alu instid0(VALU_DEP_3) | instskip(SKIP_1) | instid1(VALU_DEP_2)
	v_and_b32_e32 v149, 7, v87
	v_or_b32_e32 v20, v20, v87
	v_or3_b32 v19, v148, v19, v149
	s_delay_alu instid0(VALU_DEP_2) | instskip(NEXT) | instid1(VALU_DEP_2)
	v_cmp_ne_u32_e32 vcc_lo, 0, v20
	v_cndmask_b32_e32 v20, 0, v19, vcc_lo
.LBB6_12384:                            ;   in Loop: Header=BB6_11991 Depth=2
	s_or_b32 exec_lo, exec_lo, s23
.LBB6_12385:                            ;   in Loop: Header=BB6_11991 Depth=2
	s_delay_alu instid0(SALU_CYCLE_1)
	s_or_b32 exec_lo, exec_lo, s22
	v_add_co_u32 v148, vcc_lo, v85, v10
	v_sub_nc_u32_e32 v24, v24, v25
	v_add_co_ci_u32_e32 v149, vcc_lo, v86, v11, vcc_lo
	v_add_co_u32 v12, vcc_lo, v12, v70
	v_add_co_ci_u32_e32 v13, vcc_lo, v13, v71, vcc_lo
	s_delay_alu instid0(VALU_DEP_4) | instskip(SKIP_1) | instid1(VALU_DEP_1)
	v_cmp_gt_i32_e32 vcc_lo, 1, v24
	v_add_co_u32 v10, s10, v10, v70
	v_add_co_ci_u32_e64 v11, s10, v11, v71, s10
	s_or_b32 s21, vcc_lo, s21
	s_clause 0x1f
	flat_store_b8 v[148:149], v96 glc slc dlc
	flat_store_b8 v[148:149], v97 offset:32 glc slc dlc
	flat_store_b8 v[148:149], v98 offset:64 glc slc dlc
	;; [unrolled: 1-line block ×31, first 2 shown]
	s_and_not1_b32 exec_lo, exec_lo, s21
	s_cbranch_execnz .LBB6_11991
	s_branch .LBB6_12514
.LBB6_12386:                            ;   in Loop: Header=BB6_11991 Depth=2
	s_mov_b32 s10, -1
	s_mov_b32 s24, exec_lo
                                        ; implicit-def: $sgpr22
	v_cmpx_eq_u16_e32 0x80, v66
; %bb.12387:                            ;   in Loop: Header=BB6_11991 Depth=2
	s_mov_b32 s22, 0x7f800001
	s_xor_b32 s10, exec_lo, -1
; %bb.12388:                            ;   in Loop: Header=BB6_11991 Depth=2
	s_or_b32 exec_lo, exec_lo, s24
	s_delay_alu instid0(SALU_CYCLE_1)
	s_and_b32 s10, s10, exec_lo
	s_or_saveexec_b32 s23, s23
	v_mov_b32_e32 v82, s22
	s_xor_b32 exec_lo, exec_lo, s23
	s_cbranch_execz .LBB6_12003
.LBB6_12389:                            ;   in Loop: Header=BB6_11991 Depth=2
	v_cmp_ne_u16_e32 vcc_lo, 0, v66
	v_mov_b32_e32 v82, 0
	s_and_not1_b32 s10, s10, exec_lo
	s_and_b32 s22, vcc_lo, exec_lo
	s_delay_alu instid0(SALU_CYCLE_1)
	s_or_b32 s10, s10, s22
	s_or_b32 exec_lo, exec_lo, s23
	s_and_saveexec_b32 s22, s10
	s_cbranch_execnz .LBB6_12004
	s_branch .LBB6_12005
.LBB6_12390:                            ;   in Loop: Header=BB6_11991 Depth=2
	s_mov_b32 s10, -1
	s_mov_b32 s24, exec_lo
                                        ; implicit-def: $sgpr22
	v_cmpx_eq_u16_e32 0x80, v66
; %bb.12391:                            ;   in Loop: Header=BB6_11991 Depth=2
	s_mov_b32 s22, 0x7f800001
	s_xor_b32 s10, exec_lo, -1
; %bb.12392:                            ;   in Loop: Header=BB6_11991 Depth=2
	s_or_b32 exec_lo, exec_lo, s24
	s_delay_alu instid0(SALU_CYCLE_1)
	s_and_b32 s10, s10, exec_lo
	s_or_saveexec_b32 s23, s23
	v_mov_b32_e32 v82, s22
	s_xor_b32 exec_lo, exec_lo, s23
	s_cbranch_execz .LBB6_12015
.LBB6_12393:                            ;   in Loop: Header=BB6_11991 Depth=2
	v_cmp_ne_u16_e32 vcc_lo, 0, v66
	v_mov_b32_e32 v82, 0
	s_and_not1_b32 s10, s10, exec_lo
	s_and_b32 s22, vcc_lo, exec_lo
	s_delay_alu instid0(SALU_CYCLE_1)
	s_or_b32 s10, s10, s22
	s_or_b32 exec_lo, exec_lo, s23
	s_and_saveexec_b32 s22, s10
	s_cbranch_execnz .LBB6_12016
	s_branch .LBB6_12017
.LBB6_12394:                            ;   in Loop: Header=BB6_11991 Depth=2
	s_mov_b32 s10, -1
	s_mov_b32 s24, exec_lo
                                        ; implicit-def: $sgpr22
	v_cmpx_eq_u16_e32 0x80, v66
; %bb.12395:                            ;   in Loop: Header=BB6_11991 Depth=2
	s_mov_b32 s22, 0x7f800001
	s_xor_b32 s10, exec_lo, -1
; %bb.12396:                            ;   in Loop: Header=BB6_11991 Depth=2
	s_or_b32 exec_lo, exec_lo, s24
	s_delay_alu instid0(SALU_CYCLE_1)
	s_and_b32 s10, s10, exec_lo
	s_or_saveexec_b32 s23, s23
	v_mov_b32_e32 v82, s22
	s_xor_b32 exec_lo, exec_lo, s23
	s_cbranch_execz .LBB6_12027
.LBB6_12397:                            ;   in Loop: Header=BB6_11991 Depth=2
	v_cmp_ne_u16_e32 vcc_lo, 0, v66
	v_mov_b32_e32 v82, 0
	s_and_not1_b32 s10, s10, exec_lo
	s_and_b32 s22, vcc_lo, exec_lo
	s_delay_alu instid0(SALU_CYCLE_1)
	s_or_b32 s10, s10, s22
	s_or_b32 exec_lo, exec_lo, s23
	s_and_saveexec_b32 s22, s10
	s_cbranch_execnz .LBB6_12028
	s_branch .LBB6_12029
.LBB6_12398:                            ;   in Loop: Header=BB6_11991 Depth=2
	s_mov_b32 s10, -1
	s_mov_b32 s24, exec_lo
                                        ; implicit-def: $sgpr22
	v_cmpx_eq_u16_e32 0x80, v66
; %bb.12399:                            ;   in Loop: Header=BB6_11991 Depth=2
	s_mov_b32 s22, 0x7f800001
	s_xor_b32 s10, exec_lo, -1
; %bb.12400:                            ;   in Loop: Header=BB6_11991 Depth=2
	s_or_b32 exec_lo, exec_lo, s24
	s_delay_alu instid0(SALU_CYCLE_1)
	s_and_b32 s10, s10, exec_lo
	s_or_saveexec_b32 s23, s23
	v_mov_b32_e32 v82, s22
	s_xor_b32 exec_lo, exec_lo, s23
	s_cbranch_execz .LBB6_12039
.LBB6_12401:                            ;   in Loop: Header=BB6_11991 Depth=2
	v_cmp_ne_u16_e32 vcc_lo, 0, v66
	v_mov_b32_e32 v82, 0
	s_and_not1_b32 s10, s10, exec_lo
	s_and_b32 s22, vcc_lo, exec_lo
	s_delay_alu instid0(SALU_CYCLE_1)
	s_or_b32 s10, s10, s22
	s_or_b32 exec_lo, exec_lo, s23
	s_and_saveexec_b32 s22, s10
	s_cbranch_execnz .LBB6_12040
	s_branch .LBB6_12041
.LBB6_12402:                            ;   in Loop: Header=BB6_11991 Depth=2
	s_mov_b32 s10, -1
	s_mov_b32 s24, exec_lo
                                        ; implicit-def: $sgpr22
	v_cmpx_eq_u16_e32 0x80, v66
; %bb.12403:                            ;   in Loop: Header=BB6_11991 Depth=2
	s_mov_b32 s22, 0x7f800001
	s_xor_b32 s10, exec_lo, -1
; %bb.12404:                            ;   in Loop: Header=BB6_11991 Depth=2
	s_or_b32 exec_lo, exec_lo, s24
	s_delay_alu instid0(SALU_CYCLE_1)
	s_and_b32 s10, s10, exec_lo
	s_or_saveexec_b32 s23, s23
	v_mov_b32_e32 v82, s22
	s_xor_b32 exec_lo, exec_lo, s23
	s_cbranch_execz .LBB6_12051
.LBB6_12405:                            ;   in Loop: Header=BB6_11991 Depth=2
	v_cmp_ne_u16_e32 vcc_lo, 0, v66
	v_mov_b32_e32 v82, 0
	s_and_not1_b32 s10, s10, exec_lo
	s_and_b32 s22, vcc_lo, exec_lo
	s_delay_alu instid0(SALU_CYCLE_1)
	s_or_b32 s10, s10, s22
	s_or_b32 exec_lo, exec_lo, s23
	s_and_saveexec_b32 s22, s10
	s_cbranch_execnz .LBB6_12052
	s_branch .LBB6_12053
.LBB6_12406:                            ;   in Loop: Header=BB6_11991 Depth=2
	s_mov_b32 s10, -1
	s_mov_b32 s24, exec_lo
                                        ; implicit-def: $sgpr22
	v_cmpx_eq_u16_e32 0x80, v66
; %bb.12407:                            ;   in Loop: Header=BB6_11991 Depth=2
	s_mov_b32 s22, 0x7f800001
	s_xor_b32 s10, exec_lo, -1
; %bb.12408:                            ;   in Loop: Header=BB6_11991 Depth=2
	s_or_b32 exec_lo, exec_lo, s24
	s_delay_alu instid0(SALU_CYCLE_1)
	s_and_b32 s10, s10, exec_lo
	s_or_saveexec_b32 s23, s23
	v_mov_b32_e32 v82, s22
	s_xor_b32 exec_lo, exec_lo, s23
	s_cbranch_execz .LBB6_12063
.LBB6_12409:                            ;   in Loop: Header=BB6_11991 Depth=2
	v_cmp_ne_u16_e32 vcc_lo, 0, v66
	v_mov_b32_e32 v82, 0
	s_and_not1_b32 s10, s10, exec_lo
	s_and_b32 s22, vcc_lo, exec_lo
	s_delay_alu instid0(SALU_CYCLE_1)
	s_or_b32 s10, s10, s22
	s_or_b32 exec_lo, exec_lo, s23
	s_and_saveexec_b32 s22, s10
	s_cbranch_execnz .LBB6_12064
	s_branch .LBB6_12065
.LBB6_12410:                            ;   in Loop: Header=BB6_11991 Depth=2
	s_mov_b32 s10, -1
	s_mov_b32 s24, exec_lo
                                        ; implicit-def: $sgpr22
	v_cmpx_eq_u16_e32 0x80, v66
; %bb.12411:                            ;   in Loop: Header=BB6_11991 Depth=2
	s_mov_b32 s22, 0x7f800001
	s_xor_b32 s10, exec_lo, -1
; %bb.12412:                            ;   in Loop: Header=BB6_11991 Depth=2
	s_or_b32 exec_lo, exec_lo, s24
	s_delay_alu instid0(SALU_CYCLE_1)
	s_and_b32 s10, s10, exec_lo
	s_or_saveexec_b32 s23, s23
	v_mov_b32_e32 v82, s22
	s_xor_b32 exec_lo, exec_lo, s23
	s_cbranch_execz .LBB6_12075
.LBB6_12413:                            ;   in Loop: Header=BB6_11991 Depth=2
	v_cmp_ne_u16_e32 vcc_lo, 0, v66
	v_mov_b32_e32 v82, 0
	s_and_not1_b32 s10, s10, exec_lo
	s_and_b32 s22, vcc_lo, exec_lo
	s_delay_alu instid0(SALU_CYCLE_1)
	s_or_b32 s10, s10, s22
	s_or_b32 exec_lo, exec_lo, s23
	s_and_saveexec_b32 s22, s10
	s_cbranch_execnz .LBB6_12076
	s_branch .LBB6_12077
.LBB6_12414:                            ;   in Loop: Header=BB6_11991 Depth=2
	s_mov_b32 s10, -1
	s_mov_b32 s24, exec_lo
                                        ; implicit-def: $sgpr22
	v_cmpx_eq_u16_e32 0x80, v66
; %bb.12415:                            ;   in Loop: Header=BB6_11991 Depth=2
	s_mov_b32 s22, 0x7f800001
	s_xor_b32 s10, exec_lo, -1
; %bb.12416:                            ;   in Loop: Header=BB6_11991 Depth=2
	s_or_b32 exec_lo, exec_lo, s24
	s_delay_alu instid0(SALU_CYCLE_1)
	s_and_b32 s10, s10, exec_lo
	s_or_saveexec_b32 s23, s23
	v_mov_b32_e32 v82, s22
	s_xor_b32 exec_lo, exec_lo, s23
	s_cbranch_execz .LBB6_12087
.LBB6_12417:                            ;   in Loop: Header=BB6_11991 Depth=2
	v_cmp_ne_u16_e32 vcc_lo, 0, v66
	v_mov_b32_e32 v82, 0
	s_and_not1_b32 s10, s10, exec_lo
	s_and_b32 s22, vcc_lo, exec_lo
	s_delay_alu instid0(SALU_CYCLE_1)
	s_or_b32 s10, s10, s22
	s_or_b32 exec_lo, exec_lo, s23
	s_and_saveexec_b32 s22, s10
	s_cbranch_execnz .LBB6_12088
	s_branch .LBB6_12089
.LBB6_12418:                            ;   in Loop: Header=BB6_11991 Depth=2
	s_mov_b32 s10, -1
	s_mov_b32 s24, exec_lo
                                        ; implicit-def: $sgpr22
	v_cmpx_eq_u16_e32 0x80, v66
; %bb.12419:                            ;   in Loop: Header=BB6_11991 Depth=2
	s_mov_b32 s22, 0x7f800001
	s_xor_b32 s10, exec_lo, -1
; %bb.12420:                            ;   in Loop: Header=BB6_11991 Depth=2
	s_or_b32 exec_lo, exec_lo, s24
	s_delay_alu instid0(SALU_CYCLE_1)
	s_and_b32 s10, s10, exec_lo
	s_or_saveexec_b32 s23, s23
	v_mov_b32_e32 v82, s22
	s_xor_b32 exec_lo, exec_lo, s23
	s_cbranch_execz .LBB6_12099
.LBB6_12421:                            ;   in Loop: Header=BB6_11991 Depth=2
	v_cmp_ne_u16_e32 vcc_lo, 0, v66
	v_mov_b32_e32 v82, 0
	s_and_not1_b32 s10, s10, exec_lo
	s_and_b32 s22, vcc_lo, exec_lo
	s_delay_alu instid0(SALU_CYCLE_1)
	s_or_b32 s10, s10, s22
	s_or_b32 exec_lo, exec_lo, s23
	s_and_saveexec_b32 s22, s10
	s_cbranch_execnz .LBB6_12100
	s_branch .LBB6_12101
.LBB6_12422:                            ;   in Loop: Header=BB6_11991 Depth=2
	s_mov_b32 s10, -1
	s_mov_b32 s24, exec_lo
                                        ; implicit-def: $sgpr22
	v_cmpx_eq_u16_e32 0x80, v66
; %bb.12423:                            ;   in Loop: Header=BB6_11991 Depth=2
	s_mov_b32 s22, 0x7f800001
	s_xor_b32 s10, exec_lo, -1
; %bb.12424:                            ;   in Loop: Header=BB6_11991 Depth=2
	s_or_b32 exec_lo, exec_lo, s24
	s_delay_alu instid0(SALU_CYCLE_1)
	s_and_b32 s10, s10, exec_lo
	s_or_saveexec_b32 s23, s23
	v_mov_b32_e32 v82, s22
	s_xor_b32 exec_lo, exec_lo, s23
	s_cbranch_execz .LBB6_12111
.LBB6_12425:                            ;   in Loop: Header=BB6_11991 Depth=2
	v_cmp_ne_u16_e32 vcc_lo, 0, v66
	v_mov_b32_e32 v82, 0
	s_and_not1_b32 s10, s10, exec_lo
	s_and_b32 s22, vcc_lo, exec_lo
	s_delay_alu instid0(SALU_CYCLE_1)
	s_or_b32 s10, s10, s22
	s_or_b32 exec_lo, exec_lo, s23
	s_and_saveexec_b32 s22, s10
	s_cbranch_execnz .LBB6_12112
	s_branch .LBB6_12113
.LBB6_12426:                            ;   in Loop: Header=BB6_11991 Depth=2
	s_mov_b32 s10, -1
	s_mov_b32 s24, exec_lo
                                        ; implicit-def: $sgpr22
	v_cmpx_eq_u16_e32 0x80, v66
; %bb.12427:                            ;   in Loop: Header=BB6_11991 Depth=2
	s_mov_b32 s22, 0x7f800001
	s_xor_b32 s10, exec_lo, -1
; %bb.12428:                            ;   in Loop: Header=BB6_11991 Depth=2
	s_or_b32 exec_lo, exec_lo, s24
	s_delay_alu instid0(SALU_CYCLE_1)
	s_and_b32 s10, s10, exec_lo
	s_or_saveexec_b32 s23, s23
	v_mov_b32_e32 v82, s22
	s_xor_b32 exec_lo, exec_lo, s23
	s_cbranch_execz .LBB6_12123
.LBB6_12429:                            ;   in Loop: Header=BB6_11991 Depth=2
	v_cmp_ne_u16_e32 vcc_lo, 0, v66
	v_mov_b32_e32 v82, 0
	s_and_not1_b32 s10, s10, exec_lo
	s_and_b32 s22, vcc_lo, exec_lo
	s_delay_alu instid0(SALU_CYCLE_1)
	s_or_b32 s10, s10, s22
	s_or_b32 exec_lo, exec_lo, s23
	s_and_saveexec_b32 s22, s10
	s_cbranch_execnz .LBB6_12124
	s_branch .LBB6_12125
.LBB6_12430:                            ;   in Loop: Header=BB6_11991 Depth=2
	s_mov_b32 s10, -1
	s_mov_b32 s24, exec_lo
                                        ; implicit-def: $sgpr22
	v_cmpx_eq_u16_e32 0x80, v66
; %bb.12431:                            ;   in Loop: Header=BB6_11991 Depth=2
	s_mov_b32 s22, 0x7f800001
	s_xor_b32 s10, exec_lo, -1
; %bb.12432:                            ;   in Loop: Header=BB6_11991 Depth=2
	s_or_b32 exec_lo, exec_lo, s24
	s_delay_alu instid0(SALU_CYCLE_1)
	s_and_b32 s10, s10, exec_lo
	s_or_saveexec_b32 s23, s23
	v_mov_b32_e32 v82, s22
	s_xor_b32 exec_lo, exec_lo, s23
	s_cbranch_execz .LBB6_12135
.LBB6_12433:                            ;   in Loop: Header=BB6_11991 Depth=2
	v_cmp_ne_u16_e32 vcc_lo, 0, v66
	v_mov_b32_e32 v82, 0
	s_and_not1_b32 s10, s10, exec_lo
	s_and_b32 s22, vcc_lo, exec_lo
	s_delay_alu instid0(SALU_CYCLE_1)
	s_or_b32 s10, s10, s22
	s_or_b32 exec_lo, exec_lo, s23
	s_and_saveexec_b32 s22, s10
	s_cbranch_execnz .LBB6_12136
	s_branch .LBB6_12137
.LBB6_12434:                            ;   in Loop: Header=BB6_11991 Depth=2
	s_mov_b32 s10, -1
	s_mov_b32 s24, exec_lo
                                        ; implicit-def: $sgpr22
	v_cmpx_eq_u16_e32 0x80, v66
; %bb.12435:                            ;   in Loop: Header=BB6_11991 Depth=2
	s_mov_b32 s22, 0x7f800001
	s_xor_b32 s10, exec_lo, -1
; %bb.12436:                            ;   in Loop: Header=BB6_11991 Depth=2
	s_or_b32 exec_lo, exec_lo, s24
	s_delay_alu instid0(SALU_CYCLE_1)
	s_and_b32 s10, s10, exec_lo
	s_or_saveexec_b32 s23, s23
	v_mov_b32_e32 v82, s22
	s_xor_b32 exec_lo, exec_lo, s23
	s_cbranch_execz .LBB6_12147
.LBB6_12437:                            ;   in Loop: Header=BB6_11991 Depth=2
	v_cmp_ne_u16_e32 vcc_lo, 0, v66
	v_mov_b32_e32 v82, 0
	s_and_not1_b32 s10, s10, exec_lo
	s_and_b32 s22, vcc_lo, exec_lo
	s_delay_alu instid0(SALU_CYCLE_1)
	s_or_b32 s10, s10, s22
	s_or_b32 exec_lo, exec_lo, s23
	s_and_saveexec_b32 s22, s10
	s_cbranch_execnz .LBB6_12148
	s_branch .LBB6_12149
.LBB6_12438:                            ;   in Loop: Header=BB6_11991 Depth=2
	s_mov_b32 s10, -1
	s_mov_b32 s24, exec_lo
                                        ; implicit-def: $sgpr22
	v_cmpx_eq_u16_e32 0x80, v66
; %bb.12439:                            ;   in Loop: Header=BB6_11991 Depth=2
	s_mov_b32 s22, 0x7f800001
	s_xor_b32 s10, exec_lo, -1
; %bb.12440:                            ;   in Loop: Header=BB6_11991 Depth=2
	s_or_b32 exec_lo, exec_lo, s24
	s_delay_alu instid0(SALU_CYCLE_1)
	s_and_b32 s10, s10, exec_lo
	s_or_saveexec_b32 s23, s23
	v_mov_b32_e32 v82, s22
	s_xor_b32 exec_lo, exec_lo, s23
	s_cbranch_execz .LBB6_12159
.LBB6_12441:                            ;   in Loop: Header=BB6_11991 Depth=2
	v_cmp_ne_u16_e32 vcc_lo, 0, v66
	v_mov_b32_e32 v82, 0
	s_and_not1_b32 s10, s10, exec_lo
	s_and_b32 s22, vcc_lo, exec_lo
	s_delay_alu instid0(SALU_CYCLE_1)
	s_or_b32 s10, s10, s22
	s_or_b32 exec_lo, exec_lo, s23
	s_and_saveexec_b32 s22, s10
	s_cbranch_execnz .LBB6_12160
	s_branch .LBB6_12161
.LBB6_12442:                            ;   in Loop: Header=BB6_11991 Depth=2
	s_mov_b32 s10, -1
	s_mov_b32 s24, exec_lo
                                        ; implicit-def: $sgpr22
	v_cmpx_eq_u16_e32 0x80, v66
; %bb.12443:                            ;   in Loop: Header=BB6_11991 Depth=2
	s_mov_b32 s22, 0x7f800001
	s_xor_b32 s10, exec_lo, -1
; %bb.12444:                            ;   in Loop: Header=BB6_11991 Depth=2
	s_or_b32 exec_lo, exec_lo, s24
	s_delay_alu instid0(SALU_CYCLE_1)
	s_and_b32 s10, s10, exec_lo
	s_or_saveexec_b32 s23, s23
	v_mov_b32_e32 v82, s22
	s_xor_b32 exec_lo, exec_lo, s23
	s_cbranch_execz .LBB6_12171
.LBB6_12445:                            ;   in Loop: Header=BB6_11991 Depth=2
	v_cmp_ne_u16_e32 vcc_lo, 0, v66
	v_mov_b32_e32 v82, 0
	s_and_not1_b32 s10, s10, exec_lo
	s_and_b32 s22, vcc_lo, exec_lo
	s_delay_alu instid0(SALU_CYCLE_1)
	s_or_b32 s10, s10, s22
	s_or_b32 exec_lo, exec_lo, s23
	s_and_saveexec_b32 s22, s10
	s_cbranch_execnz .LBB6_12172
	s_branch .LBB6_12173
.LBB6_12446:                            ;   in Loop: Header=BB6_11991 Depth=2
	s_mov_b32 s10, -1
	s_mov_b32 s24, exec_lo
                                        ; implicit-def: $sgpr22
	v_cmpx_eq_u16_e32 0x80, v66
; %bb.12447:                            ;   in Loop: Header=BB6_11991 Depth=2
	s_mov_b32 s22, 0x7f800001
	s_xor_b32 s10, exec_lo, -1
; %bb.12448:                            ;   in Loop: Header=BB6_11991 Depth=2
	s_or_b32 exec_lo, exec_lo, s24
	s_delay_alu instid0(SALU_CYCLE_1)
	s_and_b32 s10, s10, exec_lo
	s_or_saveexec_b32 s23, s23
	v_mov_b32_e32 v82, s22
	s_xor_b32 exec_lo, exec_lo, s23
	s_cbranch_execz .LBB6_12183
.LBB6_12449:                            ;   in Loop: Header=BB6_11991 Depth=2
	v_cmp_ne_u16_e32 vcc_lo, 0, v66
	v_mov_b32_e32 v82, 0
	s_and_not1_b32 s10, s10, exec_lo
	s_and_b32 s22, vcc_lo, exec_lo
	s_delay_alu instid0(SALU_CYCLE_1)
	s_or_b32 s10, s10, s22
	s_or_b32 exec_lo, exec_lo, s23
	s_and_saveexec_b32 s22, s10
	s_cbranch_execnz .LBB6_12184
	s_branch .LBB6_12185
.LBB6_12450:                            ;   in Loop: Header=BB6_11991 Depth=2
	s_mov_b32 s10, -1
	s_mov_b32 s24, exec_lo
                                        ; implicit-def: $sgpr22
	v_cmpx_eq_u16_e32 0x80, v66
; %bb.12451:                            ;   in Loop: Header=BB6_11991 Depth=2
	s_mov_b32 s22, 0x7f800001
	s_xor_b32 s10, exec_lo, -1
; %bb.12452:                            ;   in Loop: Header=BB6_11991 Depth=2
	s_or_b32 exec_lo, exec_lo, s24
	s_delay_alu instid0(SALU_CYCLE_1)
	s_and_b32 s10, s10, exec_lo
	s_or_saveexec_b32 s23, s23
	v_mov_b32_e32 v82, s22
	s_xor_b32 exec_lo, exec_lo, s23
	s_cbranch_execz .LBB6_12195
.LBB6_12453:                            ;   in Loop: Header=BB6_11991 Depth=2
	v_cmp_ne_u16_e32 vcc_lo, 0, v66
	v_mov_b32_e32 v82, 0
	s_and_not1_b32 s10, s10, exec_lo
	s_and_b32 s22, vcc_lo, exec_lo
	s_delay_alu instid0(SALU_CYCLE_1)
	s_or_b32 s10, s10, s22
	s_or_b32 exec_lo, exec_lo, s23
	s_and_saveexec_b32 s22, s10
	s_cbranch_execnz .LBB6_12196
	s_branch .LBB6_12197
.LBB6_12454:                            ;   in Loop: Header=BB6_11991 Depth=2
	s_mov_b32 s10, -1
	s_mov_b32 s24, exec_lo
                                        ; implicit-def: $sgpr22
	v_cmpx_eq_u16_e32 0x80, v66
; %bb.12455:                            ;   in Loop: Header=BB6_11991 Depth=2
	s_mov_b32 s22, 0x7f800001
	s_xor_b32 s10, exec_lo, -1
; %bb.12456:                            ;   in Loop: Header=BB6_11991 Depth=2
	s_or_b32 exec_lo, exec_lo, s24
	s_delay_alu instid0(SALU_CYCLE_1)
	s_and_b32 s10, s10, exec_lo
	s_or_saveexec_b32 s23, s23
	v_mov_b32_e32 v82, s22
	s_xor_b32 exec_lo, exec_lo, s23
	s_cbranch_execz .LBB6_12207
.LBB6_12457:                            ;   in Loop: Header=BB6_11991 Depth=2
	v_cmp_ne_u16_e32 vcc_lo, 0, v66
	v_mov_b32_e32 v82, 0
	s_and_not1_b32 s10, s10, exec_lo
	s_and_b32 s22, vcc_lo, exec_lo
	s_delay_alu instid0(SALU_CYCLE_1)
	s_or_b32 s10, s10, s22
	s_or_b32 exec_lo, exec_lo, s23
	s_and_saveexec_b32 s22, s10
	s_cbranch_execnz .LBB6_12208
	s_branch .LBB6_12209
.LBB6_12458:                            ;   in Loop: Header=BB6_11991 Depth=2
	s_mov_b32 s10, -1
	s_mov_b32 s24, exec_lo
                                        ; implicit-def: $sgpr22
	v_cmpx_eq_u16_e32 0x80, v66
; %bb.12459:                            ;   in Loop: Header=BB6_11991 Depth=2
	s_mov_b32 s22, 0x7f800001
	s_xor_b32 s10, exec_lo, -1
; %bb.12460:                            ;   in Loop: Header=BB6_11991 Depth=2
	s_or_b32 exec_lo, exec_lo, s24
	s_delay_alu instid0(SALU_CYCLE_1)
	s_and_b32 s10, s10, exec_lo
	s_or_saveexec_b32 s23, s23
	v_mov_b32_e32 v82, s22
	s_xor_b32 exec_lo, exec_lo, s23
	s_cbranch_execz .LBB6_12219
.LBB6_12461:                            ;   in Loop: Header=BB6_11991 Depth=2
	v_cmp_ne_u16_e32 vcc_lo, 0, v66
	v_mov_b32_e32 v82, 0
	s_and_not1_b32 s10, s10, exec_lo
	s_and_b32 s22, vcc_lo, exec_lo
	s_delay_alu instid0(SALU_CYCLE_1)
	s_or_b32 s10, s10, s22
	s_or_b32 exec_lo, exec_lo, s23
	s_and_saveexec_b32 s22, s10
	s_cbranch_execnz .LBB6_12220
	s_branch .LBB6_12221
.LBB6_12462:                            ;   in Loop: Header=BB6_11991 Depth=2
	s_mov_b32 s10, -1
	s_mov_b32 s24, exec_lo
                                        ; implicit-def: $sgpr22
	v_cmpx_eq_u16_e32 0x80, v66
; %bb.12463:                            ;   in Loop: Header=BB6_11991 Depth=2
	s_mov_b32 s22, 0x7f800001
	s_xor_b32 s10, exec_lo, -1
; %bb.12464:                            ;   in Loop: Header=BB6_11991 Depth=2
	s_or_b32 exec_lo, exec_lo, s24
	s_delay_alu instid0(SALU_CYCLE_1)
	s_and_b32 s10, s10, exec_lo
	s_or_saveexec_b32 s23, s23
	v_mov_b32_e32 v82, s22
	s_xor_b32 exec_lo, exec_lo, s23
	s_cbranch_execz .LBB6_12231
.LBB6_12465:                            ;   in Loop: Header=BB6_11991 Depth=2
	v_cmp_ne_u16_e32 vcc_lo, 0, v66
	v_mov_b32_e32 v82, 0
	s_and_not1_b32 s10, s10, exec_lo
	s_and_b32 s22, vcc_lo, exec_lo
	s_delay_alu instid0(SALU_CYCLE_1)
	s_or_b32 s10, s10, s22
	s_or_b32 exec_lo, exec_lo, s23
	s_and_saveexec_b32 s22, s10
	s_cbranch_execnz .LBB6_12232
	s_branch .LBB6_12233
.LBB6_12466:                            ;   in Loop: Header=BB6_11991 Depth=2
	s_mov_b32 s10, -1
	s_mov_b32 s24, exec_lo
                                        ; implicit-def: $sgpr22
	v_cmpx_eq_u16_e32 0x80, v66
; %bb.12467:                            ;   in Loop: Header=BB6_11991 Depth=2
	s_mov_b32 s22, 0x7f800001
	s_xor_b32 s10, exec_lo, -1
; %bb.12468:                            ;   in Loop: Header=BB6_11991 Depth=2
	s_or_b32 exec_lo, exec_lo, s24
	s_delay_alu instid0(SALU_CYCLE_1)
	s_and_b32 s10, s10, exec_lo
	s_or_saveexec_b32 s23, s23
	v_mov_b32_e32 v82, s22
	s_xor_b32 exec_lo, exec_lo, s23
	s_cbranch_execz .LBB6_12243
.LBB6_12469:                            ;   in Loop: Header=BB6_11991 Depth=2
	v_cmp_ne_u16_e32 vcc_lo, 0, v66
	v_mov_b32_e32 v82, 0
	s_and_not1_b32 s10, s10, exec_lo
	s_and_b32 s22, vcc_lo, exec_lo
	s_delay_alu instid0(SALU_CYCLE_1)
	s_or_b32 s10, s10, s22
	s_or_b32 exec_lo, exec_lo, s23
	s_and_saveexec_b32 s22, s10
	s_cbranch_execnz .LBB6_12244
	s_branch .LBB6_12245
.LBB6_12470:                            ;   in Loop: Header=BB6_11991 Depth=2
	s_mov_b32 s10, -1
	s_mov_b32 s24, exec_lo
                                        ; implicit-def: $sgpr22
	v_cmpx_eq_u16_e32 0x80, v66
; %bb.12471:                            ;   in Loop: Header=BB6_11991 Depth=2
	s_mov_b32 s22, 0x7f800001
	s_xor_b32 s10, exec_lo, -1
; %bb.12472:                            ;   in Loop: Header=BB6_11991 Depth=2
	s_or_b32 exec_lo, exec_lo, s24
	s_delay_alu instid0(SALU_CYCLE_1)
	s_and_b32 s10, s10, exec_lo
	s_or_saveexec_b32 s23, s23
	v_mov_b32_e32 v82, s22
	s_xor_b32 exec_lo, exec_lo, s23
	s_cbranch_execz .LBB6_12255
.LBB6_12473:                            ;   in Loop: Header=BB6_11991 Depth=2
	v_cmp_ne_u16_e32 vcc_lo, 0, v66
	v_mov_b32_e32 v82, 0
	s_and_not1_b32 s10, s10, exec_lo
	s_and_b32 s22, vcc_lo, exec_lo
	s_delay_alu instid0(SALU_CYCLE_1)
	s_or_b32 s10, s10, s22
	s_or_b32 exec_lo, exec_lo, s23
	s_and_saveexec_b32 s22, s10
	s_cbranch_execnz .LBB6_12256
	s_branch .LBB6_12257
.LBB6_12474:                            ;   in Loop: Header=BB6_11991 Depth=2
	s_mov_b32 s10, -1
	s_mov_b32 s24, exec_lo
                                        ; implicit-def: $sgpr22
	v_cmpx_eq_u16_e32 0x80, v66
; %bb.12475:                            ;   in Loop: Header=BB6_11991 Depth=2
	s_mov_b32 s22, 0x7f800001
	s_xor_b32 s10, exec_lo, -1
; %bb.12476:                            ;   in Loop: Header=BB6_11991 Depth=2
	s_or_b32 exec_lo, exec_lo, s24
	s_delay_alu instid0(SALU_CYCLE_1)
	s_and_b32 s10, s10, exec_lo
	s_or_saveexec_b32 s23, s23
	v_mov_b32_e32 v82, s22
	s_xor_b32 exec_lo, exec_lo, s23
	s_cbranch_execz .LBB6_12267
.LBB6_12477:                            ;   in Loop: Header=BB6_11991 Depth=2
	v_cmp_ne_u16_e32 vcc_lo, 0, v66
	v_mov_b32_e32 v82, 0
	s_and_not1_b32 s10, s10, exec_lo
	s_and_b32 s22, vcc_lo, exec_lo
	s_delay_alu instid0(SALU_CYCLE_1)
	s_or_b32 s10, s10, s22
	s_or_b32 exec_lo, exec_lo, s23
	s_and_saveexec_b32 s22, s10
	s_cbranch_execnz .LBB6_12268
	s_branch .LBB6_12269
.LBB6_12478:                            ;   in Loop: Header=BB6_11991 Depth=2
	s_mov_b32 s10, -1
	s_mov_b32 s24, exec_lo
                                        ; implicit-def: $sgpr22
	v_cmpx_eq_u16_e32 0x80, v66
; %bb.12479:                            ;   in Loop: Header=BB6_11991 Depth=2
	s_mov_b32 s22, 0x7f800001
	s_xor_b32 s10, exec_lo, -1
; %bb.12480:                            ;   in Loop: Header=BB6_11991 Depth=2
	s_or_b32 exec_lo, exec_lo, s24
	s_delay_alu instid0(SALU_CYCLE_1)
	s_and_b32 s10, s10, exec_lo
	s_or_saveexec_b32 s23, s23
	v_mov_b32_e32 v82, s22
	s_xor_b32 exec_lo, exec_lo, s23
	s_cbranch_execz .LBB6_12279
.LBB6_12481:                            ;   in Loop: Header=BB6_11991 Depth=2
	v_cmp_ne_u16_e32 vcc_lo, 0, v66
	v_mov_b32_e32 v82, 0
	s_and_not1_b32 s10, s10, exec_lo
	s_and_b32 s22, vcc_lo, exec_lo
	s_delay_alu instid0(SALU_CYCLE_1)
	s_or_b32 s10, s10, s22
	s_or_b32 exec_lo, exec_lo, s23
	s_and_saveexec_b32 s22, s10
	s_cbranch_execnz .LBB6_12280
	s_branch .LBB6_12281
.LBB6_12482:                            ;   in Loop: Header=BB6_11991 Depth=2
	s_mov_b32 s10, -1
	s_mov_b32 s24, exec_lo
                                        ; implicit-def: $sgpr22
	v_cmpx_eq_u16_e32 0x80, v66
; %bb.12483:                            ;   in Loop: Header=BB6_11991 Depth=2
	s_mov_b32 s22, 0x7f800001
	s_xor_b32 s10, exec_lo, -1
; %bb.12484:                            ;   in Loop: Header=BB6_11991 Depth=2
	s_or_b32 exec_lo, exec_lo, s24
	s_delay_alu instid0(SALU_CYCLE_1)
	s_and_b32 s10, s10, exec_lo
	s_or_saveexec_b32 s23, s23
	v_mov_b32_e32 v83, s22
	s_xor_b32 exec_lo, exec_lo, s23
	s_cbranch_execz .LBB6_12291
.LBB6_12485:                            ;   in Loop: Header=BB6_11991 Depth=2
	v_cmp_ne_u16_e32 vcc_lo, 0, v66
	v_mov_b32_e32 v83, 0
	s_and_not1_b32 s10, s10, exec_lo
	s_and_b32 s22, vcc_lo, exec_lo
	s_delay_alu instid0(SALU_CYCLE_1)
	s_or_b32 s10, s10, s22
	s_or_b32 exec_lo, exec_lo, s23
	s_and_saveexec_b32 s22, s10
	s_cbranch_execnz .LBB6_12292
	s_branch .LBB6_12293
.LBB6_12486:                            ;   in Loop: Header=BB6_11991 Depth=2
	s_mov_b32 s10, -1
	s_mov_b32 s24, exec_lo
                                        ; implicit-def: $sgpr22
	v_cmpx_eq_u16_e32 0x80, v83
; %bb.12487:                            ;   in Loop: Header=BB6_11991 Depth=2
	s_mov_b32 s22, 0x7f800001
	s_xor_b32 s10, exec_lo, -1
; %bb.12488:                            ;   in Loop: Header=BB6_11991 Depth=2
	s_or_b32 exec_lo, exec_lo, s24
	s_delay_alu instid0(SALU_CYCLE_1)
	s_and_b32 s10, s10, exec_lo
	s_or_saveexec_b32 s23, s23
	v_mov_b32_e32 v135, s22
	s_xor_b32 exec_lo, exec_lo, s23
	s_cbranch_execz .LBB6_12303
.LBB6_12489:                            ;   in Loop: Header=BB6_11991 Depth=2
	v_cmp_ne_u16_e32 vcc_lo, 0, v83
	v_mov_b32_e32 v135, 0
	s_and_not1_b32 s10, s10, exec_lo
	s_and_b32 s22, vcc_lo, exec_lo
	s_delay_alu instid0(SALU_CYCLE_1)
	s_or_b32 s10, s10, s22
	s_or_b32 exec_lo, exec_lo, s23
	s_and_saveexec_b32 s22, s10
	s_cbranch_execnz .LBB6_12304
	s_branch .LBB6_12305
.LBB6_12490:                            ;   in Loop: Header=BB6_11991 Depth=2
	s_mov_b32 s10, -1
	s_mov_b32 s24, exec_lo
                                        ; implicit-def: $sgpr22
	v_cmpx_eq_u16_e64 0x80, v135
; %bb.12491:                            ;   in Loop: Header=BB6_11991 Depth=2
	s_mov_b32 s22, 0x7f800001
	s_xor_b32 s10, exec_lo, -1
; %bb.12492:                            ;   in Loop: Header=BB6_11991 Depth=2
	s_or_b32 exec_lo, exec_lo, s24
	s_delay_alu instid0(SALU_CYCLE_1)
	s_and_b32 s10, s10, exec_lo
	s_or_saveexec_b32 s23, s23
	v_mov_b32_e32 v144, s22
	s_xor_b32 exec_lo, exec_lo, s23
	s_cbranch_execz .LBB6_12315
.LBB6_12493:                            ;   in Loop: Header=BB6_11991 Depth=2
	v_cmp_ne_u16_e64 vcc_lo, 0, v135
	v_mov_b32_e32 v144, 0
	s_and_not1_b32 s10, s10, exec_lo
	s_delay_alu instid0(VALU_DEP_2) | instskip(NEXT) | instid1(SALU_CYCLE_1)
	s_and_b32 s22, vcc_lo, exec_lo
	s_or_b32 s10, s10, s22
	s_or_b32 exec_lo, exec_lo, s23
	s_and_saveexec_b32 s22, s10
	s_cbranch_execnz .LBB6_12316
	s_branch .LBB6_12317
.LBB6_12494:                            ;   in Loop: Header=BB6_11991 Depth=2
	s_mov_b32 s10, -1
	s_mov_b32 s24, exec_lo
                                        ; implicit-def: $sgpr22
	v_cmpx_eq_u16_e64 0x80, v144
; %bb.12495:                            ;   in Loop: Header=BB6_11991 Depth=2
	s_mov_b32 s22, 0x7f800001
	s_xor_b32 s10, exec_lo, -1
; %bb.12496:                            ;   in Loop: Header=BB6_11991 Depth=2
	s_or_b32 exec_lo, exec_lo, s24
	s_delay_alu instid0(SALU_CYCLE_1)
	s_and_b32 s10, s10, exec_lo
	s_or_saveexec_b32 s23, s23
	v_mov_b32_e32 v145, s22
	s_xor_b32 exec_lo, exec_lo, s23
	s_cbranch_execz .LBB6_12327
.LBB6_12497:                            ;   in Loop: Header=BB6_11991 Depth=2
	v_cmp_ne_u16_e64 vcc_lo, 0, v144
	v_mov_b32_e32 v145, 0
	s_and_not1_b32 s10, s10, exec_lo
	s_delay_alu instid0(VALU_DEP_2) | instskip(NEXT) | instid1(SALU_CYCLE_1)
	s_and_b32 s22, vcc_lo, exec_lo
	s_or_b32 s10, s10, s22
	s_or_b32 exec_lo, exec_lo, s23
	s_and_saveexec_b32 s22, s10
	s_cbranch_execnz .LBB6_12328
	s_branch .LBB6_12329
.LBB6_12498:                            ;   in Loop: Header=BB6_11991 Depth=2
	s_mov_b32 s10, -1
	s_mov_b32 s24, exec_lo
                                        ; implicit-def: $sgpr22
	v_cmpx_eq_u16_e64 0x80, v145
; %bb.12499:                            ;   in Loop: Header=BB6_11991 Depth=2
	s_mov_b32 s22, 0x7f800001
	s_xor_b32 s10, exec_lo, -1
; %bb.12500:                            ;   in Loop: Header=BB6_11991 Depth=2
	s_or_b32 exec_lo, exec_lo, s24
	s_delay_alu instid0(SALU_CYCLE_1)
	s_and_b32 s10, s10, exec_lo
	s_or_saveexec_b32 s23, s23
	v_mov_b32_e32 v146, s22
	s_xor_b32 exec_lo, exec_lo, s23
	s_cbranch_execz .LBB6_12339
.LBB6_12501:                            ;   in Loop: Header=BB6_11991 Depth=2
	v_cmp_ne_u16_e64 vcc_lo, 0, v145
	v_mov_b32_e32 v146, 0
	s_and_not1_b32 s10, s10, exec_lo
	s_delay_alu instid0(VALU_DEP_2) | instskip(NEXT) | instid1(SALU_CYCLE_1)
	s_and_b32 s22, vcc_lo, exec_lo
	s_or_b32 s10, s10, s22
	s_or_b32 exec_lo, exec_lo, s23
	s_and_saveexec_b32 s22, s10
	s_cbranch_execnz .LBB6_12340
	s_branch .LBB6_12341
.LBB6_12502:                            ;   in Loop: Header=BB6_11991 Depth=2
	s_mov_b32 s10, -1
	s_mov_b32 s24, exec_lo
                                        ; implicit-def: $sgpr22
	v_cmpx_eq_u16_e64 0x80, v146
; %bb.12503:                            ;   in Loop: Header=BB6_11991 Depth=2
	s_mov_b32 s22, 0x7f800001
	s_xor_b32 s10, exec_lo, -1
; %bb.12504:                            ;   in Loop: Header=BB6_11991 Depth=2
	s_or_b32 exec_lo, exec_lo, s24
	s_delay_alu instid0(SALU_CYCLE_1)
	s_and_b32 s10, s10, exec_lo
	s_or_saveexec_b32 s23, s23
	v_mov_b32_e32 v147, s22
	s_xor_b32 exec_lo, exec_lo, s23
	s_cbranch_execz .LBB6_12351
.LBB6_12505:                            ;   in Loop: Header=BB6_11991 Depth=2
	v_cmp_ne_u16_e64 vcc_lo, 0, v146
	v_mov_b32_e32 v147, 0
	s_and_not1_b32 s10, s10, exec_lo
	s_delay_alu instid0(VALU_DEP_2) | instskip(NEXT) | instid1(SALU_CYCLE_1)
	s_and_b32 s22, vcc_lo, exec_lo
	s_or_b32 s10, s10, s22
	s_or_b32 exec_lo, exec_lo, s23
	s_and_saveexec_b32 s22, s10
	s_cbranch_execnz .LBB6_12352
	s_branch .LBB6_12353
.LBB6_12506:                            ;   in Loop: Header=BB6_11991 Depth=2
	s_mov_b32 s10, -1
	s_mov_b32 s24, exec_lo
                                        ; implicit-def: $sgpr22
	v_cmpx_eq_u16_e64 0x80, v147
; %bb.12507:                            ;   in Loop: Header=BB6_11991 Depth=2
	s_mov_b32 s22, 0x7f800001
	s_xor_b32 s10, exec_lo, -1
; %bb.12508:                            ;   in Loop: Header=BB6_11991 Depth=2
	s_or_b32 exec_lo, exec_lo, s24
	s_delay_alu instid0(SALU_CYCLE_1)
	s_and_b32 s10, s10, exec_lo
	s_or_saveexec_b32 s23, s23
	v_mov_b32_e32 v148, s22
	s_xor_b32 exec_lo, exec_lo, s23
	s_cbranch_execz .LBB6_12363
.LBB6_12509:                            ;   in Loop: Header=BB6_11991 Depth=2
	v_cmp_ne_u16_e64 vcc_lo, 0, v147
	v_mov_b32_e32 v148, 0
	s_and_not1_b32 s10, s10, exec_lo
	s_delay_alu instid0(VALU_DEP_2) | instskip(NEXT) | instid1(SALU_CYCLE_1)
	s_and_b32 s22, vcc_lo, exec_lo
	s_or_b32 s10, s10, s22
	s_or_b32 exec_lo, exec_lo, s23
	s_and_saveexec_b32 s22, s10
	s_cbranch_execnz .LBB6_12364
	s_branch .LBB6_12365
.LBB6_12510:                            ;   in Loop: Header=BB6_11991 Depth=2
	s_mov_b32 s10, -1
	s_mov_b32 s24, exec_lo
                                        ; implicit-def: $sgpr22
	v_cmpx_eq_u16_e32 0x80, v19
; %bb.12511:                            ;   in Loop: Header=BB6_11991 Depth=2
	s_mov_b32 s22, 0x7f800001
	s_xor_b32 s10, exec_lo, -1
; %bb.12512:                            ;   in Loop: Header=BB6_11991 Depth=2
	s_or_b32 exec_lo, exec_lo, s24
	s_delay_alu instid0(SALU_CYCLE_1)
	s_and_b32 s10, s10, exec_lo
	s_or_saveexec_b32 s23, s23
	v_mov_b32_e32 v20, s22
	s_xor_b32 exec_lo, exec_lo, s23
	s_cbranch_execz .LBB6_12375
.LBB6_12513:                            ;   in Loop: Header=BB6_11991 Depth=2
	v_cmp_ne_u16_e32 vcc_lo, 0, v19
	v_mov_b32_e32 v20, 0
	s_and_not1_b32 s10, s10, exec_lo
	s_and_b32 s22, vcc_lo, exec_lo
	s_delay_alu instid0(SALU_CYCLE_1)
	s_or_b32 s10, s10, s22
	s_or_b32 exec_lo, exec_lo, s23
	s_and_saveexec_b32 s22, s10
	s_cbranch_execnz .LBB6_12376
	s_branch .LBB6_12377
.LBB6_12514:                            ;   in Loop: Header=BB6_9570 Depth=1
	s_or_b32 exec_lo, exec_lo, s21
.LBB6_12515:                            ;   in Loop: Header=BB6_9570 Depth=1
	s_delay_alu instid0(SALU_CYCLE_1) | instskip(SKIP_1) | instid1(VALU_DEP_1)
	s_or_b32 exec_lo, exec_lo, s20
	v_lshlrev_b32_e32 v10, 10, v84
	v_cmp_ne_u32_e32 vcc_lo, v21, v10
	s_and_b32 exec_lo, exec_lo, vcc_lo
	s_cbranch_execz .LBB6_12546
; %bb.12516:                            ;   in Loop: Header=BB6_9570 Depth=1
	v_ashrrev_i32_e32 v11, 31, v23
	v_lshlrev_b32_e32 v12, 5, v24
	s_delay_alu instid0(VALU_DEP_2) | instskip(NEXT) | instid1(VALU_DEP_1)
	v_lshrrev_b32_e32 v11, 27, v11
	v_add_nc_u32_e32 v11, v23, v11
	s_delay_alu instid0(VALU_DEP_1) | instskip(NEXT) | instid1(VALU_DEP_1)
	v_and_b32_e32 v11, 0xffffffe0, v11
	v_sub_nc_u32_e32 v11, v23, v11
	s_delay_alu instid0(VALU_DEP_1) | instskip(NEXT) | instid1(VALU_DEP_1)
	v_sub_nc_u32_e32 v11, v11, v12
	v_add_nc_u32_e32 v12, v10, v11
	s_delay_alu instid0(VALU_DEP_1) | instskip(NEXT) | instid1(VALU_DEP_1)
	v_sub_nc_u32_e32 v19, v21, v12
	v_cmp_lt_i32_e32 vcc_lo, 0, v19
	s_and_b32 exec_lo, exec_lo, vcc_lo
	s_cbranch_execz .LBB6_12546
; %bb.12517:                            ;   in Loop: Header=BB6_9570 Depth=1
	s_cbranch_execnz .LBB6_12871
; %bb.12518:                            ;   in Loop: Header=BB6_9570 Depth=1
	ds_load_b64 v[10:11], v0
	v_add_nc_u32_e32 v20, v12, v22
	s_mov_b32 s20, 0
	s_delay_alu instid0(VALU_DEP_1)
	v_ashrrev_i32_e32 v21, 31, v20
.LBB6_12519:                            ;   Parent Loop BB6_9570 Depth=1
                                        ; =>  This Inner Loop Header: Depth=2
	s_cbranch_execnz .LBB6_12873
; %bb.12520:                            ;   in Loop: Header=BB6_12519 Depth=2
	ds_load_b64 v[12:13], v0
	s_waitcnt lgkmcnt(0)
	v_and_b32_e32 v13, 0xff, v12
	v_readfirstlane_b32 s10, v12
	s_delay_alu instid0(VALU_DEP_2)
	v_cmp_gt_i16_e32 vcc_lo, 0x80, v13
	s_cbranch_vccnz .LBB6_12524
; %bb.12521:                            ;   in Loop: Header=BB6_12519 Depth=2
	v_cmp_eq_u16_e32 vcc_lo, 0x80, v13
	s_mov_b32 s21, -1
                                        ; implicit-def: $sgpr22
	s_cbranch_vccz .LBB6_12523
; %bb.12522:                            ;   in Loop: Header=BB6_12519 Depth=2
	s_mov_b32 s21, 0
	s_mov_b32 s22, 0x7f800001
.LBB6_12523:                            ;   in Loop: Header=BB6_12519 Depth=2
	s_mov_b32 s23, 0
	s_branch .LBB6_12525
.LBB6_12524:                            ;   in Loop: Header=BB6_12519 Depth=2
	s_mov_b32 s23, -1
	s_mov_b32 s21, 0
                                        ; implicit-def: $sgpr22
.LBB6_12525:                            ;   in Loop: Header=BB6_12519 Depth=2
	s_and_b32 vcc_lo, exec_lo, s23
	s_cbranch_vccz .LBB6_12527
; %bb.12526:                            ;   in Loop: Header=BB6_12519 Depth=2
	v_cmp_ne_u16_e64 s21, 0, v13
	s_mov_b32 s22, 0
.LBB6_12527:                            ;   in Loop: Header=BB6_12519 Depth=2
	s_delay_alu instid0(SALU_CYCLE_1) | instskip(NEXT) | instid1(VALU_DEP_2)
	v_mov_b32_e32 v22, s22
	s_and_not1_b32 vcc_lo, exec_lo, s21
	s_cbranch_vccnz .LBB6_12529
; %bb.12528:                            ;   in Loop: Header=BB6_12519 Depth=2
	s_and_b32 s21, s10, 7
	s_bfe_u32 s23, s10, 0x40003
	s_clz_i32_u32 s22, s21
	v_lshlrev_b32_e32 v12, 24, v12
	s_min_u32 s22, s22, 32
	s_delay_alu instid0(SALU_CYCLE_1)
	s_sub_i32 s24, s22, 28
	s_sub_i32 s22, 29, s22
	s_lshl_b32 s10, s10, s24
	v_and_b32_e32 v12, 0x80000000, v12
	s_and_b32 s10, s10, 7
	s_cmp_eq_u32 s23, 0
	s_cselect_b32 s22, s22, s23
	s_cselect_b32 s10, s10, s21
	s_lshl_b32 s21, s22, 23
	s_lshl_b32 s10, s10, 20
	s_add_i32 s21, s21, 0x3b800000
	s_delay_alu instid0(SALU_CYCLE_1) | instskip(NEXT) | instid1(VALU_DEP_1)
	v_or_b32_e32 v12, s21, v12
	v_or_b32_e32 v22, s10, v12
.LBB6_12529:                            ;   in Loop: Header=BB6_12519 Depth=2
	v_add_co_u32 v12, vcc_lo, v10, v20
	v_add_co_ci_u32_e32 v13, vcc_lo, v11, v21, vcc_lo
	s_mov_b32 s10, 0
	s_mov_b32 s22, exec_lo
                                        ; implicit-def: $sgpr21
	flat_load_u8 v23, v[12:13] slc dlc
	s_waitcnt vmcnt(0) lgkmcnt(0)
	v_cmpx_lt_i16_e32 0x7f, v23
	s_xor_b32 s22, exec_lo, s22
	s_cbranch_execnz .LBB6_12542
; %bb.12530:                            ;   in Loop: Header=BB6_12519 Depth=2
	s_or_saveexec_b32 s22, s22
	v_mov_b32_e32 v24, s21
	s_xor_b32 exec_lo, exec_lo, s22
	s_cbranch_execnz .LBB6_12545
.LBB6_12531:                            ;   in Loop: Header=BB6_12519 Depth=2
	s_or_b32 exec_lo, exec_lo, s22
	s_and_saveexec_b32 s21, s10
	s_cbranch_execz .LBB6_12533
.LBB6_12532:                            ;   in Loop: Header=BB6_12519 Depth=2
	v_and_b32_e32 v24, 0xffff, v23
	v_lshlrev_b32_e32 v23, 24, v23
	s_delay_alu instid0(VALU_DEP_2) | instskip(NEXT) | instid1(VALU_DEP_2)
	v_and_b32_e32 v66, 7, v24
	v_and_b32_e32 v23, 0x80000000, v23
	s_delay_alu instid0(VALU_DEP_2) | instskip(NEXT) | instid1(VALU_DEP_1)
	v_clz_i32_u32_e32 v82, v66
	v_min_u32_e32 v82, 32, v82
	s_delay_alu instid0(VALU_DEP_1) | instskip(SKIP_1) | instid1(VALU_DEP_2)
	v_subrev_nc_u32_e32 v83, 28, v82
	v_sub_nc_u32_e32 v82, 29, v82
	v_lshlrev_b32_e32 v83, v83, v24
	v_bfe_u32 v24, v24, 3, 4
	s_delay_alu instid0(VALU_DEP_1) | instskip(NEXT) | instid1(VALU_DEP_3)
	v_cmp_eq_u32_e32 vcc_lo, 0, v24
	v_dual_cndmask_b32 v24, v24, v82 :: v_dual_and_b32 v83, 7, v83
	s_delay_alu instid0(VALU_DEP_1) | instskip(NEXT) | instid1(VALU_DEP_2)
	v_lshl_add_u32 v24, v24, 23, 0x3b800000
	v_cndmask_b32_e32 v66, v66, v83, vcc_lo
	s_delay_alu instid0(VALU_DEP_1) | instskip(NEXT) | instid1(VALU_DEP_1)
	v_lshlrev_b32_e32 v66, 20, v66
	v_or3_b32 v24, v23, v24, v66
.LBB6_12533:                            ;   in Loop: Header=BB6_12519 Depth=2
	s_or_b32 exec_lo, exec_lo, s21
	s_delay_alu instid0(VALU_DEP_1) | instskip(NEXT) | instid1(VALU_DEP_1)
	v_mul_f32_e32 v22, v22, v24
	v_and_b32_e32 v23, 0x7f800000, v22
	s_delay_alu instid0(VALU_DEP_1)
	v_cmp_ne_u32_e32 vcc_lo, 0x7f800000, v23
	v_mov_b32_e32 v23, 0x80
	s_and_saveexec_b32 s21, vcc_lo
	s_cbranch_execz .LBB6_12541
; %bb.12534:                            ;   in Loop: Header=BB6_12519 Depth=2
	v_mov_b32_e32 v23, 0
	s_mov_b32 s22, exec_lo
	v_cmpx_ne_u32_e32 0, v22
	s_cbranch_execz .LBB6_12540
; %bb.12535:                            ;   in Loop: Header=BB6_12519 Depth=2
	v_bfe_u32 v23, v22, 23, 8
	v_and_b32_e32 v24, 0x7fffff, v22
	s_delay_alu instid0(VALU_DEP_2) | instskip(SKIP_1) | instid1(VALU_DEP_3)
	v_sub_nc_u32_e32 v66, 0x78, v23
	v_cmp_gt_u32_e32 vcc_lo, 0x79, v23
	v_or_b32_e32 v82, 0x800000, v24
	s_delay_alu instid0(VALU_DEP_3) | instskip(SKIP_2) | instid1(VALU_DEP_3)
	v_cndmask_b32_e32 v66, 0, v66, vcc_lo
	v_cmp_eq_u32_e32 vcc_lo, 0, v23
	v_add_nc_u32_e32 v23, 0xffffff89, v23
	v_cndmask_b32_e64 v66, v66, 0x77, vcc_lo
	v_cndmask_b32_e32 v24, v82, v24, vcc_lo
	s_delay_alu instid0(VALU_DEP_3) | instskip(NEXT) | instid1(VALU_DEP_3)
	v_cndmask_b32_e64 v23, v23, 0xffffff8a, vcc_lo
	v_lshl_add_u32 v82, 0x100000, v66, -1
	s_delay_alu instid0(VALU_DEP_3) | instskip(SKIP_1) | instid1(VALU_DEP_4)
	v_lshrrev_b32_e32 v83, v66, v24
	v_lshlrev_b32_e64 v85, v66, 0x80000
	v_add_nc_u32_e32 v66, v66, v23
	s_delay_alu instid0(VALU_DEP_4) | instskip(NEXT) | instid1(VALU_DEP_4)
	v_and_b32_e32 v24, v82, v24
	v_bfe_u32 v84, v83, 20, 1
	s_delay_alu instid0(VALU_DEP_2) | instskip(NEXT) | instid1(VALU_DEP_2)
	v_cmp_eq_u32_e64 s10, v24, v85
	v_add_nc_u32_e32 v82, -1, v84
	s_delay_alu instid0(VALU_DEP_1) | instskip(SKIP_2) | instid1(VALU_DEP_2)
	v_cndmask_b32_e64 v24, 0, v82, s10
	v_lshrrev_b32_e32 v82, 23, v83
	s_mov_b32 s10, exec_lo
	v_add_nc_u32_e32 v24, v24, v83
	s_delay_alu instid0(VALU_DEP_2) | instskip(NEXT) | instid1(VALU_DEP_2)
	v_xor_b32_e32 v82, 1, v82
	v_and_b32_e32 v23, 0xfffff, v24
	s_delay_alu instid0(VALU_DEP_1) | instskip(NEXT) | instid1(VALU_DEP_3)
	v_add_nc_u32_e32 v24, v23, v83
                                        ; implicit-def: $vgpr23
	v_cmpx_ne_u32_e64 v66, v82
	s_xor_b32 s10, exec_lo, s10
; %bb.12536:                            ;   in Loop: Header=BB6_12519 Depth=2
	s_delay_alu instid0(VALU_DEP_2) | instskip(SKIP_2) | instid1(VALU_DEP_2)
	v_cmp_lt_u32_e32 vcc_lo, 0xffffff, v24
	v_sub_nc_u32_e32 v23, v66, v82
	v_cndmask_b32_e64 v66, 0, 1, vcc_lo
	v_add_co_ci_u32_e32 v23, vcc_lo, 0, v23, vcc_lo
	s_delay_alu instid0(VALU_DEP_2)
	v_lshrrev_b32_e32 v24, v66, v24
; %bb.12537:                            ;   in Loop: Header=BB6_12519 Depth=2
	s_and_not1_saveexec_b32 s10, s10
; %bb.12538:                            ;   in Loop: Header=BB6_12519 Depth=2
	s_delay_alu instid0(VALU_DEP_1)
	v_bfe_u32 v23, v24, 23, 1
; %bb.12539:                            ;   in Loop: Header=BB6_12519 Depth=2
	s_or_b32 exec_lo, exec_lo, s10
	v_lshrrev_b32_e32 v24, 20, v24
	s_delay_alu instid0(VALU_DEP_2) | instskip(SKIP_2) | instid1(VALU_DEP_4)
	v_cmp_gt_i32_e32 vcc_lo, 16, v23
	v_lshrrev_b32_e32 v22, 24, v22
	v_min_i32_e32 v66, 15, v23
	v_cndmask_b32_e32 v24, 7, v24, vcc_lo
	s_delay_alu instid0(VALU_DEP_3) | instskip(NEXT) | instid1(VALU_DEP_3)
	v_and_b32_e32 v22, 0x80, v22
	v_lshlrev_b32_e32 v66, 3, v66
	s_delay_alu instid0(VALU_DEP_3) | instskip(SKIP_1) | instid1(VALU_DEP_2)
	v_and_b32_e32 v82, 7, v24
	v_or_b32_e32 v23, v23, v24
	v_or3_b32 v22, v66, v22, v82
	s_delay_alu instid0(VALU_DEP_2) | instskip(NEXT) | instid1(VALU_DEP_2)
	v_cmp_ne_u32_e32 vcc_lo, 0, v23
	v_cndmask_b32_e32 v23, 0, v22, vcc_lo
.LBB6_12540:                            ;   in Loop: Header=BB6_12519 Depth=2
	s_or_b32 exec_lo, exec_lo, s22
.LBB6_12541:                            ;   in Loop: Header=BB6_12519 Depth=2
	s_delay_alu instid0(SALU_CYCLE_1)
	s_or_b32 exec_lo, exec_lo, s21
	v_sub_nc_u32_e32 v19, v19, v69
	v_ashrrev_i32_e32 v22, 31, v69
	v_add_co_u32 v20, s10, v20, v69
	flat_store_b8 v[12:13], v23 glc slc dlc
	v_cmp_gt_i32_e32 vcc_lo, 1, v19
	v_add_co_ci_u32_e64 v21, s10, v21, v22, s10
	s_or_b32 s20, vcc_lo, s20
	s_delay_alu instid0(SALU_CYCLE_1)
	s_and_not1_b32 exec_lo, exec_lo, s20
	s_cbranch_execnz .LBB6_12519
	s_branch .LBB6_12546
.LBB6_12542:                            ;   in Loop: Header=BB6_12519 Depth=2
	s_mov_b32 s10, -1
	s_mov_b32 s23, exec_lo
                                        ; implicit-def: $sgpr21
	v_cmpx_eq_u16_e32 0x80, v23
; %bb.12543:                            ;   in Loop: Header=BB6_12519 Depth=2
	s_mov_b32 s21, 0x7f800001
	s_xor_b32 s10, exec_lo, -1
; %bb.12544:                            ;   in Loop: Header=BB6_12519 Depth=2
	s_or_b32 exec_lo, exec_lo, s23
	s_delay_alu instid0(SALU_CYCLE_1)
	s_and_b32 s10, s10, exec_lo
	s_or_saveexec_b32 s22, s22
	v_mov_b32_e32 v24, s21
	s_xor_b32 exec_lo, exec_lo, s22
	s_cbranch_execz .LBB6_12531
.LBB6_12545:                            ;   in Loop: Header=BB6_12519 Depth=2
	v_cmp_ne_u16_e32 vcc_lo, 0, v23
	v_mov_b32_e32 v24, 0
	s_and_not1_b32 s10, s10, exec_lo
	s_and_b32 s21, vcc_lo, exec_lo
	s_delay_alu instid0(SALU_CYCLE_1)
	s_or_b32 s10, s10, s21
	s_or_b32 exec_lo, exec_lo, s22
	s_and_saveexec_b32 s21, s10
	s_cbranch_execnz .LBB6_12532
	s_branch .LBB6_12533
.LBB6_12546:                            ;   in Loop: Header=BB6_9570 Depth=1
	s_or_b32 exec_lo, exec_lo, s11
	scratch_load_b32 v10, off, s33 offset:440 ; 4-byte Folded Reload
	s_waitcnt vmcnt(0)
	v_cmp_ne_u32_e64 s10, 0, v10
.LBB6_12547:                            ;   in Loop: Header=BB6_9570 Depth=1
	s_and_saveexec_b32 s11, s2
	s_cbranch_execz .LBB6_12569
; %bb.12548:                            ;   in Loop: Header=BB6_9570 Depth=1
	s_and_saveexec_b32 s20, s3
	s_delay_alu instid0(SALU_CYCLE_1)
	s_xor_b32 s20, exec_lo, s20
	s_cbranch_execz .LBB6_12566
; %bb.12549:                            ;   in Loop: Header=BB6_9570 Depth=1
	s_and_saveexec_b32 s21, s4
	s_cbranch_execz .LBB6_12565
; %bb.12550:                            ;   in Loop: Header=BB6_9570 Depth=1
	s_mov_b32 s23, exec_lo
	s_mov_b32 s22, exec_lo
	v_mbcnt_lo_u32_b32 v10, s23, 0
	s_waitcnt lgkmcnt(0)
	s_waitcnt_vscnt null, 0x0
	buffer_gl1_inv
	buffer_gl0_inv
	v_cmpx_eq_u32_e32 0, v10
	s_cbranch_execz .LBB6_12552
; %bb.12551:                            ;   in Loop: Header=BB6_9570 Depth=1
	s_bcnt1_i32_b32 s23, s23
	s_delay_alu instid0(SALU_CYCLE_1)
	v_dual_mov_b32 v11, v15 :: v_dual_mov_b32 v10, s23
	ds_add_u64 v0, v[10:11]
	s_cbranch_execnz .LBB6_12831
.LBB6_12552:                            ;   in Loop: Header=BB6_9570 Depth=1
	s_or_b32 exec_lo, exec_lo, s22
	s_cbranch_execnz .LBB6_12813
; %bb.12553:                            ;   in Loop: Header=BB6_9570 Depth=1
	ds_load_b64 v[10:11], v0
	v_add_co_u32 v38, vcc_lo, v38, v25
	v_add_co_ci_u32_e32 v39, vcc_lo, 0, v39, vcc_lo
	s_mov_b32 s22, exec_lo
	s_waitcnt lgkmcnt(0)
	s_delay_alu instid0(VALU_DEP_1)
	v_cmpx_lt_u64_e64 v[10:11], v[38:39]
	s_cbranch_execz .LBB6_12564
; %bb.12554:                            ;   in Loop: Header=BB6_9570 Depth=1
	s_mov_b32 s23, 0
	s_mov_b32 s26, 0
                                        ; implicit-def: $sgpr24
                                        ; implicit-def: $sgpr25
	s_branch .LBB6_12556
.LBB6_12555:                            ;   in Loop: Header=BB6_12556 Depth=2
	s_or_b32 exec_lo, exec_lo, s29
	s_delay_alu instid0(SALU_CYCLE_1) | instskip(NEXT) | instid1(SALU_CYCLE_1)
	s_and_b32 s27, exec_lo, s28
	s_or_b32 s23, s27, s23
	s_and_not1_b32 s24, s24, exec_lo
	s_and_b32 s27, s25, exec_lo
	s_delay_alu instid0(SALU_CYCLE_1)
	s_or_b32 s24, s24, s27
	s_and_not1_b32 exec_lo, exec_lo, s23
	s_cbranch_execz .LBB6_12562
.LBB6_12556:                            ;   Parent Loop BB6_9570 Depth=1
                                        ; =>  This Inner Loop Header: Depth=2
	s_add_i32 s26, s26, 1
                                        ; implicit-def: $sgpr28
	s_delay_alu instid0(SALU_CYCLE_1) | instskip(SKIP_1) | instid1(SALU_CYCLE_1)
	s_cmpk_lg_i32 s26, 0x2710
	s_cselect_b32 s27, -1, 0
	s_and_b32 vcc_lo, exec_lo, s27
	s_cbranch_vccz .LBB6_12560
.LBB6_12557:                            ;   in Loop: Header=BB6_12556 Depth=2
	s_and_not1_b32 s25, s25, exec_lo
	s_and_b32 s29, s28, exec_lo
	s_mov_b32 s28, -1
	s_or_b32 s25, s25, s29
	s_and_saveexec_b32 s29, s27
	s_cbranch_execz .LBB6_12555
; %bb.12558:                            ;   in Loop: Header=BB6_12556 Depth=2
	s_sleep 1
	s_cbranch_execnz .LBB6_12887
; %bb.12559:                            ;   in Loop: Header=BB6_12556 Depth=2
	ds_load_b64 v[10:11], v0
	s_and_not1_b32 s25, s25, exec_lo
	s_waitcnt lgkmcnt(0)
	v_cmp_ge_u64_e32 vcc_lo, v[10:11], v[38:39]
	s_or_not1_b32 s28, vcc_lo, exec_lo
	s_branch .LBB6_12555
.LBB6_12560:                            ;   in Loop: Header=BB6_12556 Depth=2
	s_cbranch_execnz .LBB6_12893
; %bb.12561:                            ;   in Loop: Header=BB6_12556 Depth=2
	ds_load_b64 v[10:11], v0
	s_and_not1_b32 s27, s27, exec_lo
	s_mov_b32 s26, 0
	s_mov_b32 s28, -1
	s_waitcnt lgkmcnt(0)
	flat_load_b32 v10, v[10:11] glc
	s_waitcnt vmcnt(0) lgkmcnt(0)
	buffer_gl1_inv
	buffer_gl0_inv
	v_cmp_eq_u32_e32 vcc_lo, 0, v10
	s_and_b32 s29, vcc_lo, exec_lo
	s_delay_alu instid0(SALU_CYCLE_1)
	s_or_b32 s27, s27, s29
	s_branch .LBB6_12557
.LBB6_12562:                            ;   in Loop: Header=BB6_9570 Depth=1
	s_or_b32 exec_lo, exec_lo, s23
	s_and_saveexec_b32 s23, s24
	s_delay_alu instid0(SALU_CYCLE_1)
	s_xor_b32 s23, exec_lo, s23
	s_cbranch_execz .LBB6_12564
; %bb.12563:                            ;   in Loop: Header=BB6_9570 Depth=1
	v_mov_b32_e32 v10, 1
	ds_store_b32 v0, v10
	s_cbranch_execnz .LBB6_12931
.LBB6_12564:                            ;   in Loop: Header=BB6_9570 Depth=1
	s_or_b32 exec_lo, exec_lo, s22
	;;#ASMSTART
	s_wakeup
	;;#ASMEND
.LBB6_12565:                            ;   in Loop: Header=BB6_9570 Depth=1
	s_or_b32 exec_lo, exec_lo, s21
.LBB6_12566:                            ;   in Loop: Header=BB6_9570 Depth=1
	s_and_not1_saveexec_b32 s20, s20
	s_cbranch_execz .LBB6_12568
; %bb.12567:                            ;   in Loop: Header=BB6_9570 Depth=1
	s_waitcnt lgkmcnt(0)
	s_waitcnt_vscnt null, 0x0
	buffer_gl1_inv
	buffer_gl0_inv
	s_barrier
.LBB6_12568:                            ;   in Loop: Header=BB6_9570 Depth=1
	s_or_b32 exec_lo, exec_lo, s20
.LBB6_12569:                            ;   in Loop: Header=BB6_9570 Depth=1
	s_delay_alu instid0(SALU_CYCLE_1) | instskip(SKIP_1) | instid1(VALU_DEP_1)
	s_or_b32 exec_lo, exec_lo, s11
	v_and_b32_e32 v10, 16, v30
	v_cmp_ne_u32_e32 vcc_lo, 0, v10
	s_and_b32 s11, vcc_lo, s10
	s_delay_alu instid0(SALU_CYCLE_1)
	s_and_saveexec_b32 s10, s11
	s_cbranch_execz .LBB6_12571
; %bb.12570:                            ;   in Loop: Header=BB6_9570 Depth=1
	s_waitcnt lgkmcnt(0)
	s_waitcnt_vscnt null, 0x0
	buffer_gl1_inv
	buffer_gl0_inv
.LBB6_12571:                            ;   in Loop: Header=BB6_9570 Depth=1
	s_or_b32 exec_lo, exec_lo, s10
	s_delay_alu instid0(SALU_CYCLE_1)
	s_mov_b32 s10, exec_lo
	v_cmpx_ne_u32_e32 0, v10
	s_cbranch_execz .LBB6_12575
; %bb.12572:                            ;   in Loop: Header=BB6_9570 Depth=1
	s_and_saveexec_b32 s11, s7
	s_cbranch_execz .LBB6_12574
; %bb.12573:                            ;   in Loop: Header=BB6_9570 Depth=1
	v_mov_b32_e32 v10, 1
	s_waitcnt lgkmcnt(0)
	s_waitcnt_vscnt null, 0x0
	flat_store_b32 v[50:51], v10
.LBB6_12574:                            ;   in Loop: Header=BB6_9570 Depth=1
	s_or_b32 exec_lo, exec_lo, s11
	v_add_co_u32 v8, vcc_lo, v8, 1
	v_add_co_ci_u32_e32 v9, vcc_lo, 0, v9, vcc_lo
	s_waitcnt lgkmcnt(0)
	s_waitcnt_vscnt null, 0x0
	flat_store_b64 v[32:33], v[8:9]
.LBB6_12575:                            ;   in Loop: Header=BB6_9570 Depth=1
	s_or_b32 exec_lo, exec_lo, s10
	v_dual_mov_b32 v12, v14 :: v_dual_mov_b32 v23, 1
	v_ashrrev_i32_e32 v21, 31, v55
	v_ashrrev_i32_e32 v22, 31, v69
.LBB6_12576:                            ;   in Loop: Header=BB6_9570 Depth=1
	s_or_b32 exec_lo, exec_lo, s19
	s_and_saveexec_b32 s11, s18
	s_cbranch_execz .LBB6_12631
; %bb.12577:                            ;   in Loop: Header=BB6_9570 Depth=1
	v_and_b32_e32 v10, 8, v30
	s_mov_b32 s18, -1
	s_mov_b32 s10, exec_lo
	s_delay_alu instid0(VALU_DEP_1)
	v_cmpx_ne_u32_e32 0, v10
	s_cbranch_execz .LBB6_12591
; %bb.12578:                            ;   in Loop: Header=BB6_9570 Depth=1
	v_add_co_u32 v19, vcc_lo, v36, 8
	s_waitcnt lgkmcnt(0)
	v_add_co_ci_u32_e32 v20, vcc_lo, 0, v37, vcc_lo
	v_add_co_u32 v10, vcc_lo, v8, 1
	v_add_co_ci_u32_e32 v11, vcc_lo, 0, v9, vcc_lo
	v_mov_b32_e32 v13, 1
	s_mov_b32 s18, exec_lo
	s_delay_alu instid0(VALU_DEP_2)
	v_cmpx_lt_u64_e64 v[19:20], v[10:11]
	s_cbranch_execz .LBB6_12590
; %bb.12579:                            ;   in Loop: Header=BB6_9570 Depth=1
	v_mov_b32_e32 v13, 0
	s_mov_b32 s19, 0
                                        ; implicit-def: $sgpr20
	s_branch .LBB6_12583
.LBB6_12580:                            ;   in Loop: Header=BB6_12583 Depth=2
	s_or_b32 exec_lo, exec_lo, s24
	v_mov_b32_e32 v19, 0
	s_or_not1_b32 s23, s23, exec_lo
.LBB6_12581:                            ;   in Loop: Header=BB6_12583 Depth=2
	s_or_b32 exec_lo, exec_lo, s22
	s_delay_alu instid0(VALU_DEP_1) | instskip(SKIP_2) | instid1(SALU_CYCLE_1)
	v_mov_b32_e32 v13, v19
	s_and_not1_b32 s20, s20, exec_lo
	s_and_b32 s22, s23, exec_lo
	s_or_b32 s20, s20, s22
.LBB6_12582:                            ;   in Loop: Header=BB6_12583 Depth=2
	s_or_b32 exec_lo, exec_lo, s21
	s_waitcnt vmcnt(0) lgkmcnt(0)
	v_add_co_u32 v19, vcc_lo, v36, 8
	v_add_co_ci_u32_e32 v20, vcc_lo, 0, v37, vcc_lo
	s_xor_b32 s21, s20, -1
	s_delay_alu instid0(VALU_DEP_1) | instskip(SKIP_1) | instid1(SALU_CYCLE_1)
	v_cmp_ge_u64_e32 vcc_lo, v[19:20], v[10:11]
	s_or_b32 s21, s21, vcc_lo
	s_and_b32 s21, exec_lo, s21
	s_delay_alu instid0(SALU_CYCLE_1) | instskip(NEXT) | instid1(SALU_CYCLE_1)
	s_or_b32 s19, s21, s19
	s_and_not1_b32 exec_lo, exec_lo, s19
	s_cbranch_execz .LBB6_12589
.LBB6_12583:                            ;   Parent Loop BB6_9570 Depth=1
                                        ; =>  This Inner Loop Header: Depth=2
	s_sleep 1
	flat_load_b64 v[36:37], v[32:33] glc
	v_and_b32_e32 v19, 64, v30
	s_and_not1_b32 s20, s20, exec_lo
	s_mov_b32 s21, exec_lo
	s_delay_alu instid0(VALU_DEP_1)
	v_cmpx_eq_u32_e32 0, v19
	s_cbranch_execz .LBB6_12582
; %bb.12584:                            ;   in Loop: Header=BB6_12583 Depth=2
	v_add_nc_u32_e32 v19, 1, v13
	s_mov_b32 s23, -1
	s_mov_b32 s22, exec_lo
	v_cmpx_lt_i32_e32 0x270e, v13
	s_cbranch_execz .LBB6_12581
; %bb.12585:                            ;   in Loop: Header=BB6_12583 Depth=2
	s_cbranch_execnz .LBB6_12720
; %bb.12586:                            ;   in Loop: Header=BB6_12583 Depth=2
	ds_load_b64 v[19:20], v0
	s_mov_b32 s24, exec_lo
	s_waitcnt vmcnt(0) lgkmcnt(0)
	s_waitcnt_vscnt null, 0x0
	flat_load_b32 v13, v[19:20] glc
	s_waitcnt vmcnt(0) lgkmcnt(0)
	buffer_gl1_inv
	buffer_gl0_inv
	v_cmpx_ne_u32_e32 0, v13
	s_cbranch_execz .LBB6_12580
; %bb.12587:                            ;   in Loop: Header=BB6_12583 Depth=2
	ds_store_b32 v0, v13
	s_cbranch_execnz .LBB6_12757
; %bb.12588:                            ;   in Loop: Header=BB6_12583 Depth=2
	v_or_b32_e32 v30, 64, v30
	v_mov_b32_e32 v23, 1
	s_xor_b32 s23, exec_lo, -1
	s_branch .LBB6_12580
.LBB6_12589:                            ;   in Loop: Header=BB6_9570 Depth=1
	s_or_b32 exec_lo, exec_lo, s19
	v_and_b32_e32 v13, 8, v30
.LBB6_12590:                            ;   in Loop: Header=BB6_9570 Depth=1
	s_or_b32 exec_lo, exec_lo, s18
	s_delay_alu instid0(VALU_DEP_1)
	v_cmp_eq_u32_e32 vcc_lo, 0, v13
	;;#ASMSTART
	s_wakeup
	;;#ASMEND
	s_or_not1_b32 s18, vcc_lo, exec_lo
.LBB6_12591:                            ;   in Loop: Header=BB6_9570 Depth=1
	s_or_b32 exec_lo, exec_lo, s10
	v_sub_nc_u32_e32 v10, v18, v12
	s_xor_b32 s10, s18, -1
	s_delay_alu instid0(VALU_DEP_1)
	v_min_i32_e32 v10, v14, v10
	s_and_saveexec_b32 s18, s10
	s_cbranch_execz .LBB6_12601
; %bb.12592:                            ;   in Loop: Header=BB6_9570 Depth=1
	v_and_b32_e32 v11, 0x100, v30
	s_waitcnt lgkmcnt(0)
	v_and_b32_e32 v18, 7, v8
	s_mov_b32 s10, -1
	s_delay_alu instid0(VALU_DEP_2)
	v_cmp_ne_u32_e32 vcc_lo, 0, v11
                                        ; implicit-def: $vgpr11_vgpr12
	s_and_saveexec_b32 s19, vcc_lo
	s_cbranch_execz .LBB6_12596
; %bb.12593:                            ;   in Loop: Header=BB6_9570 Depth=1
	v_mad_u64_u32 v[13:14], null, v18, 24, v[6:7]
	v_ashrrev_i32_e32 v11, 31, v10
	flat_load_b32 v12, v[13:14]
	flat_store_b64 v[13:14], v[10:11] offset:8
	s_waitcnt vmcnt(0) lgkmcnt(1)
	v_cmp_ne_u32_e32 vcc_lo, 1, v12
	v_cmp_eq_u32_e64 s10, 1, v12
                                        ; implicit-def: $vgpr11_vgpr12
	s_delay_alu instid0(VALU_DEP_1)
	s_and_saveexec_b32 s20, s10
	s_cbranch_execz .LBB6_12595
; %bb.12594:                            ;   in Loop: Header=BB6_9570 Depth=1
	flat_load_b32 v11, v[13:14] offset:4 glc
	s_waitcnt vmcnt(0) lgkmcnt(0)
	v_ashrrev_i32_e32 v12, 31, v11
.LBB6_12595:                            ;   in Loop: Header=BB6_9570 Depth=1
	s_or_b32 exec_lo, exec_lo, s20
	s_delay_alu instid0(SALU_CYCLE_1)
	s_or_not1_b32 s10, vcc_lo, exec_lo
.LBB6_12596:                            ;   in Loop: Header=BB6_9570 Depth=1
	s_or_b32 exec_lo, exec_lo, s19
	s_and_saveexec_b32 s19, s10
; %bb.12597:                            ;   in Loop: Header=BB6_9570 Depth=1
	v_mad_i64_i32 v[11:12], null, v18, v81, 0
; %bb.12598:                            ;   in Loop: Header=BB6_9570 Depth=1
	s_or_b32 exec_lo, exec_lo, s19
	s_delay_alu instid0(VALU_DEP_1) | instskip(SKIP_1) | instid1(VALU_DEP_3)
	v_add_co_u32 v11, vcc_lo, v34, v11
	v_and_b32_e32 v13, 0x2000, v30
	v_add_co_ci_u32_e32 v12, vcc_lo, v35, v12, vcc_lo
	s_mov_b32 s10, exec_lo
	ds_store_b64 v0, v[11:12] offset:784
	v_cmpx_ne_u32_e32 0, v13
	s_cbranch_execz .LBB6_12600
; %bb.12599:                            ;   in Loop: Header=BB6_9570 Depth=1
	ds_load_b64 v[11:12], v0 offset:584
	s_waitcnt lgkmcnt(0)
	v_add_co_u32 v11, vcc_lo, v11, 1
	v_add_co_ci_u32_e32 v12, vcc_lo, 0, v12, vcc_lo
	ds_store_b64 v0, v[11:12] offset:584
.LBB6_12600:                            ;   in Loop: Header=BB6_9570 Depth=1
	s_or_b32 exec_lo, exec_lo, s10
	v_add_co_u32 v8, vcc_lo, v8, 1
	v_add_co_ci_u32_e32 v9, vcc_lo, 0, v9, vcc_lo
.LBB6_12601:                            ;   in Loop: Header=BB6_9570 Depth=1
	s_or_b32 exec_lo, exec_lo, s18
	s_and_saveexec_b32 s10, s2
	s_cbranch_execz .LBB6_12623
; %bb.12602:                            ;   in Loop: Header=BB6_9570 Depth=1
	s_and_saveexec_b32 s18, s3
	s_delay_alu instid0(SALU_CYCLE_1)
	s_xor_b32 s18, exec_lo, s18
	s_cbranch_execz .LBB6_12620
; %bb.12603:                            ;   in Loop: Header=BB6_9570 Depth=1
	s_and_saveexec_b32 s19, s4
	s_cbranch_execz .LBB6_12619
; %bb.12604:                            ;   in Loop: Header=BB6_9570 Depth=1
	s_mov_b32 s21, exec_lo
	v_mov_b32_e32 v13, 1
	v_mbcnt_lo_u32_b32 v11, s21, 0
	s_mov_b32 s20, exec_lo
	s_waitcnt lgkmcnt(0)
	s_waitcnt_vscnt null, 0x0
	buffer_gl1_inv
	buffer_gl0_inv
	v_cmpx_eq_u32_e32 0, v11
	s_cbranch_execz .LBB6_12606
; %bb.12605:                            ;   in Loop: Header=BB6_9570 Depth=1
	s_bcnt1_i32_b32 s21, s21
	s_delay_alu instid0(SALU_CYCLE_1)
	v_mov_b32_e32 v14, s21
	ds_add_u64 v0, v[14:15]
	s_cbranch_execnz .LBB6_12773
.LBB6_12606:                            ;   in Loop: Header=BB6_9570 Depth=1
	s_or_b32 exec_lo, exec_lo, s20
	s_cbranch_execnz .LBB6_12761
; %bb.12607:                            ;   in Loop: Header=BB6_9570 Depth=1
	ds_load_b64 v[11:12], v0
	v_add_co_u32 v38, vcc_lo, v38, v25
	v_add_co_ci_u32_e32 v39, vcc_lo, 0, v39, vcc_lo
	s_mov_b32 s20, exec_lo
	s_waitcnt lgkmcnt(0)
	s_delay_alu instid0(VALU_DEP_1)
	v_cmpx_lt_u64_e64 v[11:12], v[38:39]
	s_cbranch_execz .LBB6_12618
; %bb.12608:                            ;   in Loop: Header=BB6_9570 Depth=1
	s_mov_b32 s21, 0
	s_mov_b32 s24, 0
                                        ; implicit-def: $sgpr22
                                        ; implicit-def: $sgpr23
	s_branch .LBB6_12610
.LBB6_12609:                            ;   in Loop: Header=BB6_12610 Depth=2
	s_or_b32 exec_lo, exec_lo, s27
	s_delay_alu instid0(SALU_CYCLE_1) | instskip(NEXT) | instid1(SALU_CYCLE_1)
	s_and_b32 s25, exec_lo, s26
	s_or_b32 s21, s25, s21
	s_and_not1_b32 s22, s22, exec_lo
	s_and_b32 s25, s23, exec_lo
	s_delay_alu instid0(SALU_CYCLE_1)
	s_or_b32 s22, s22, s25
	s_and_not1_b32 exec_lo, exec_lo, s21
	s_cbranch_execz .LBB6_12616
.LBB6_12610:                            ;   Parent Loop BB6_9570 Depth=1
                                        ; =>  This Inner Loop Header: Depth=2
	s_add_i32 s24, s24, 1
                                        ; implicit-def: $sgpr26
	s_delay_alu instid0(SALU_CYCLE_1) | instskip(SKIP_1) | instid1(SALU_CYCLE_1)
	s_cmpk_lg_i32 s24, 0x2710
	s_cselect_b32 s25, -1, 0
	s_and_b32 vcc_lo, exec_lo, s25
	s_cbranch_vccz .LBB6_12614
.LBB6_12611:                            ;   in Loop: Header=BB6_12610 Depth=2
	s_and_not1_b32 s23, s23, exec_lo
	s_and_b32 s27, s26, exec_lo
	s_mov_b32 s26, -1
	s_or_b32 s23, s23, s27
	s_and_saveexec_b32 s27, s25
	s_cbranch_execz .LBB6_12609
; %bb.12612:                            ;   in Loop: Header=BB6_12610 Depth=2
	s_sleep 1
	s_cbranch_execnz .LBB6_12811
; %bb.12613:                            ;   in Loop: Header=BB6_12610 Depth=2
	ds_load_b64 v[11:12], v0
	s_and_not1_b32 s23, s23, exec_lo
	s_waitcnt lgkmcnt(0)
	v_cmp_ge_u64_e32 vcc_lo, v[11:12], v[38:39]
	s_or_not1_b32 s26, vcc_lo, exec_lo
	s_branch .LBB6_12609
.LBB6_12614:                            ;   in Loop: Header=BB6_12610 Depth=2
	s_cbranch_execnz .LBB6_12815
; %bb.12615:                            ;   in Loop: Header=BB6_12610 Depth=2
	ds_load_b64 v[11:12], v0
	s_and_not1_b32 s25, s25, exec_lo
	s_mov_b32 s24, 0
	s_mov_b32 s26, -1
	s_waitcnt lgkmcnt(0)
	flat_load_b32 v11, v[11:12] glc
	s_waitcnt vmcnt(0) lgkmcnt(0)
	buffer_gl1_inv
	buffer_gl0_inv
	v_cmp_eq_u32_e32 vcc_lo, 0, v11
	s_and_b32 s27, vcc_lo, exec_lo
	s_delay_alu instid0(SALU_CYCLE_1)
	s_or_b32 s25, s25, s27
	s_branch .LBB6_12611
.LBB6_12616:                            ;   in Loop: Header=BB6_9570 Depth=1
	s_or_b32 exec_lo, exec_lo, s21
	s_and_saveexec_b32 s21, s22
	s_delay_alu instid0(SALU_CYCLE_1)
	s_xor_b32 s21, exec_lo, s21
	s_cbranch_execz .LBB6_12618
; %bb.12617:                            ;   in Loop: Header=BB6_9570 Depth=1
	ds_store_b32 v0, v13
	s_cbranch_execnz .LBB6_12915
.LBB6_12618:                            ;   in Loop: Header=BB6_9570 Depth=1
	s_or_b32 exec_lo, exec_lo, s20
	v_mov_b32_e32 v23, 1
	;;#ASMSTART
	s_wakeup
	;;#ASMEND
.LBB6_12619:                            ;   in Loop: Header=BB6_9570 Depth=1
	s_or_b32 exec_lo, exec_lo, s19
.LBB6_12620:                            ;   in Loop: Header=BB6_9570 Depth=1
	s_and_not1_saveexec_b32 s18, s18
	s_cbranch_execz .LBB6_12622
; %bb.12621:                            ;   in Loop: Header=BB6_9570 Depth=1
	s_waitcnt lgkmcnt(0)
	s_waitcnt_vscnt null, 0x0
	buffer_gl1_inv
	buffer_gl0_inv
	s_barrier
.LBB6_12622:                            ;   in Loop: Header=BB6_9570 Depth=1
	s_or_b32 exec_lo, exec_lo, s18
.LBB6_12623:                            ;   in Loop: Header=BB6_9570 Depth=1
	s_delay_alu instid0(SALU_CYCLE_1)
	s_or_b32 exec_lo, exec_lo, s10
	s_cbranch_execnz .LBB6_12706
; %bb.12624:                            ;   in Loop: Header=BB6_9570 Depth=1
	ds_load_b32 v11, v0
	v_cmp_lt_i32_e32 vcc_lo, 0, v10
	s_waitcnt lgkmcnt(0)
	v_readfirstlane_b32 s10, v11
	v_and_b32_e32 v11, 16, v30
	s_delay_alu instid0(VALU_DEP_2) | instskip(NEXT) | instid1(VALU_DEP_1)
	s_cmp_eq_u32 s10, 0
	v_cmp_ne_u32_e64 s10, 0, v11
	s_cselect_b32 s18, -1, 0
	s_delay_alu instid0(SALU_CYCLE_1)
	s_and_b32 s18, vcc_lo, s18
	s_delay_alu instid0(VALU_DEP_1) | instid1(SALU_CYCLE_1)
	s_and_b32 s18, s10, s18
	s_delay_alu instid0(SALU_CYCLE_1)
	s_and_saveexec_b32 s10, s18
	s_cbranch_execz .LBB6_12626
; %bb.12625:                            ;   in Loop: Header=BB6_9570 Depth=1
	s_waitcnt_vscnt null, 0x0
	buffer_gl1_inv
	buffer_gl0_inv
.LBB6_12626:                            ;   in Loop: Header=BB6_9570 Depth=1
	s_or_b32 exec_lo, exec_lo, s10
	s_delay_alu instid0(SALU_CYCLE_1)
	s_mov_b32 s10, exec_lo
	v_cmpx_ne_u32_e32 0, v11
	s_cbranch_execz .LBB6_12630
; %bb.12627:                            ;   in Loop: Header=BB6_9570 Depth=1
	s_and_saveexec_b32 s18, s7
	s_cbranch_execz .LBB6_12629
; %bb.12628:                            ;   in Loop: Header=BB6_9570 Depth=1
	s_waitcnt_vscnt null, 0x0
	flat_store_b32 v[50:51], v23
.LBB6_12629:                            ;   in Loop: Header=BB6_9570 Depth=1
	s_or_b32 exec_lo, exec_lo, s18
	v_add_co_u32 v8, vcc_lo, v8, 1
	v_add_co_ci_u32_e32 v9, vcc_lo, 0, v9, vcc_lo
	s_waitcnt lgkmcnt(0)
	s_waitcnt_vscnt null, 0x0
	flat_store_b64 v[32:33], v[8:9]
.LBB6_12630:                            ;   in Loop: Header=BB6_9570 Depth=1
	s_or_b32 exec_lo, exec_lo, s10
.LBB6_12631:                            ;   in Loop: Header=BB6_9570 Depth=1
	s_delay_alu instid0(SALU_CYCLE_1) | instskip(SKIP_2) | instid1(VALU_DEP_1)
	s_or_b32 exec_lo, exec_lo, s11
	v_add_co_u32 v16, vcc_lo, v16, v48
	v_add_co_ci_u32_e32 v17, vcc_lo, 0, v17, vcc_lo
	v_cmp_ge_u64_e32 vcc_lo, v[16:17], v[4:5]
	s_or_b32 s14, vcc_lo, s14
	s_delay_alu instid0(SALU_CYCLE_1)
	s_and_not1_b32 exec_lo, exec_lo, s14
	s_cbranch_execz .LBB6_12632
; %bb.13181:                            ;   in Loop: Header=BB6_9570 Depth=1
	s_getpc_b64 s[34:35]
.Lpost_getpc240:
	s_add_u32 s34, s34, (.LBB6_9570-.Lpost_getpc240)&4294967295
	s_addc_u32 s35, s35, (.LBB6_9570-.Lpost_getpc240)>>32
	s_setpc_b64 s[34:35]
.LBB6_12632:
	s_or_b32 exec_lo, exec_lo, s14
.LBB6_12633:
	s_delay_alu instid0(SALU_CYCLE_1)
	s_or_b32 exec_lo, exec_lo, s15
.LBB6_12634:
	s_delay_alu instid0(SALU_CYCLE_1) | instskip(SKIP_2) | instid1(VALU_DEP_1)
	s_or_b32 exec_lo, exec_lo, s12
	v_and_b32_e32 v0, 0x800, v30
	s_mov_b32 s0, exec_lo
	v_cmpx_eq_u32_e32 0, v0
	s_cbranch_execz .LBB6_12859
; %bb.12635:
	v_and_b32_e32 v0, 48, v30
	s_mov_b32 s1, exec_lo
	s_delay_alu instid0(VALU_DEP_1)
	v_cmpx_ne_u32_e32 0, v0
	s_cbranch_execz .LBB6_12637
; %bb.12636:
	s_waitcnt lgkmcnt(0)
	flat_store_b64 v[28:29], v[8:9] offset:104
.LBB6_12637:
	s_or_b32 exec_lo, exec_lo, s1
	v_and_b32_e32 v0, 0x88, v30
	s_mov_b32 s1, exec_lo
	s_delay_alu instid0(VALU_DEP_1)
	v_cmpx_eq_u32_e32 0x88, v0
	s_cbranch_execz .LBB6_12687
; %bb.12638:
	s_waitcnt lgkmcnt(0)
	v_add_nc_u32_e32 v0, -1, v8
	s_mov_b32 s2, 0
                                        ; implicit-def: $sgpr3
	s_delay_alu instid0(VALU_DEP_1) | instskip(NEXT) | instid1(VALU_DEP_1)
	v_and_b32_e32 v0, 7, v0
	v_mad_u64_u32 v[4:5], null, v0, 24, v[6:7]
	v_mov_b32_e32 v0, 0
	s_delay_alu instid0(VALU_DEP_2) | instskip(NEXT) | instid1(VALU_DEP_3)
	v_add_co_u32 v4, vcc_lo, v4, 8
	v_add_co_ci_u32_e32 v5, vcc_lo, 0, v5, vcc_lo
	s_branch .LBB6_12671
.LBB6_12639:
	s_trap 2
	s_sendmsg_rtn_b32 s0, sendmsg(MSG_RTN_GET_DOORBELL)
	s_mov_b32 ttmp2, m0
	s_waitcnt lgkmcnt(0)
	s_and_b32 s0, s0, 0x3ff
	s_delay_alu instid0(SALU_CYCLE_1) | instskip(NEXT) | instid1(SALU_CYCLE_1)
	s_bitset1_b32 s0, 10
	s_mov_b32 m0, s0
	s_sendmsg sendmsg(MSG_INTERRUPT)
	s_mov_b32 m0, ttmp2
.LBB6_12640:                            ; =>This Inner Loop Header: Depth=1
	s_sethalt 5
	s_branch .LBB6_12640
.LBB6_12641:
	v_bfe_u32 v10, v6, 8, 8
	v_not_b32_e32 v8, v8
	s_mov_b32 s1, exec_lo
                                        ; implicit-def: $vgpr17_vgpr18
                                        ; implicit-def: $vgpr4_vgpr5
                                        ; implicit-def: $vgpr26_vgpr27
	s_delay_alu instid0(VALU_DEP_2)
	v_cmpx_ne_u32_e64 v10, v9
	s_xor_b32 s1, exec_lo, s1
	s_cbranch_execz .LBB6_12643
; %bb.12642:
	s_clause 0x1
	flat_load_b128 v[4:7], v[2:3] offset:72
	flat_load_b64 v[10:11], v[2:3] offset:96
	v_add_nc_u32_e32 v8, v9, v8
	s_delay_alu instid0(VALU_DEP_1) | instskip(SKIP_1) | instid1(VALU_DEP_1)
	v_ashrrev_i32_e32 v9, 31, v8
	s_waitcnt vmcnt(1) lgkmcnt(1)
	v_mul_lo_u32 v9, v6, v9
	v_mad_u64_u32 v[26:27], null, v6, v8, v[4:5]
	v_mul_lo_u32 v4, v7, v8
	s_waitcnt vmcnt(0) lgkmcnt(0)
	v_lshrrev_b64 v[17:18], 12, v[10:11]
                                        ; implicit-def: $vgpr10
                                        ; implicit-def: $vgpr8
	s_delay_alu instid0(VALU_DEP_2)
	v_add3_u32 v27, v4, v27, v9
	v_dual_mov_b32 v4, v6 :: v_dual_mov_b32 v5, v7
.LBB6_12643:
	s_and_not1_saveexec_b32 s1, s1
	s_cbranch_execz .LBB6_12645
; %bb.12644:
	s_clause 0x1
	flat_load_b128 v[17:20], v[2:3] offset:72
	flat_load_b128 v[4:7], v[2:3] offset:88
	s_waitcnt vmcnt(0) lgkmcnt(0)
	v_add_nc_u32_e32 v6, v10, v8
	s_delay_alu instid0(VALU_DEP_1) | instskip(NEXT) | instid1(VALU_DEP_1)
	v_ashrrev_i32_e32 v8, 31, v6
	v_mul_lo_u32 v8, v19, v8
	v_mad_u64_u32 v[26:27], null, v19, v6, v[17:18]
	v_mul_lo_u32 v6, v20, v6
	v_lshrrev_b32_e32 v17, 1, v7
	s_delay_alu instid0(VALU_DEP_2)
	v_add3_u32 v27, v6, v27, v8
.LBB6_12645:
	s_or_b32 exec_lo, exec_lo, s1
	s_and_not1_saveexec_b32 s0, s0
	s_cbranch_execnz .LBB6_12646
; %bb.13183:
	s_getpc_b64 s[34:35]
.Lpost_getpc241:
	s_add_u32 s34, s34, (.LBB6_3-.Lpost_getpc241)&4294967295
	s_addc_u32 s35, s35, (.LBB6_3-.Lpost_getpc241)>>32
	s_setpc_b64 s[34:35]
.LBB6_12646:
	s_clause 0x1
	flat_load_b64 v[6:7], v[2:3] offset:96
	flat_load_b64 v[4:5], v[2:3] offset:72
	v_mov_b32_e32 v26, 0
	v_mov_b32_e32 v27, 0
	s_waitcnt vmcnt(1) lgkmcnt(1)
	v_lshlrev_b64 v[17:18], 9, v[6:7]
	s_or_b32 exec_lo, exec_lo, s0
	s_cbranch_execnz .LBB6_12647
; %bb.13185:
	s_getpc_b64 s[34:35]
.Lpost_getpc242:
	s_add_u32 s34, s34, (.LBB6_4-.Lpost_getpc242)&4294967295
	s_addc_u32 s35, s35, (.LBB6_4-.Lpost_getpc242)>>32
	s_setpc_b64 s[34:35]
.LBB6_12647:
	s_trap 2
	s_sendmsg_rtn_b32 s0, sendmsg(MSG_RTN_GET_DOORBELL)
	s_mov_b32 ttmp2, m0
	s_waitcnt lgkmcnt(0)
	s_and_b32 s0, s0, 0x3ff
	s_delay_alu instid0(SALU_CYCLE_1) | instskip(NEXT) | instid1(SALU_CYCLE_1)
	s_bitset1_b32 s0, 10
	s_mov_b32 m0, s0
	s_sendmsg sendmsg(MSG_INTERRUPT)
	s_mov_b32 m0, ttmp2
.LBB6_12648:                            ; =>This Inner Loop Header: Depth=1
	s_sethalt 5
	s_branch .LBB6_12648
.LBB6_12649:
	s_trap 2
	s_sendmsg_rtn_b32 s0, sendmsg(MSG_RTN_GET_DOORBELL)
	s_mov_b32 ttmp2, m0
	s_waitcnt lgkmcnt(0)
	s_and_b32 s0, s0, 0x3ff
	s_delay_alu instid0(SALU_CYCLE_1) | instskip(NEXT) | instid1(SALU_CYCLE_1)
	s_bitset1_b32 s0, 10
	s_mov_b32 m0, s0
	s_sendmsg sendmsg(MSG_INTERRUPT)
	s_mov_b32 m0, ttmp2
.LBB6_12650:                            ; =>This Inner Loop Header: Depth=1
	s_sethalt 5
	s_branch .LBB6_12650
.LBB6_12651:
	s_trap 2
	s_sendmsg_rtn_b32 s0, sendmsg(MSG_RTN_GET_DOORBELL)
	s_mov_b32 ttmp2, m0
	s_waitcnt lgkmcnt(0)
	s_and_b32 s0, s0, 0x3ff
	s_delay_alu instid0(SALU_CYCLE_1) | instskip(NEXT) | instid1(SALU_CYCLE_1)
	s_bitset1_b32 s0, 10
	s_mov_b32 m0, s0
	s_sendmsg sendmsg(MSG_INTERRUPT)
	s_mov_b32 m0, ttmp2
.LBB6_12652:                            ; =>This Inner Loop Header: Depth=1
	s_sethalt 5
	s_branch .LBB6_12652
.LBB6_12653:
	s_trap 2
	s_sendmsg_rtn_b32 s0, sendmsg(MSG_RTN_GET_DOORBELL)
	s_mov_b32 ttmp2, m0
	s_waitcnt lgkmcnt(0)
	s_and_b32 s0, s0, 0x3ff
	s_delay_alu instid0(SALU_CYCLE_1) | instskip(NEXT) | instid1(SALU_CYCLE_1)
	s_bitset1_b32 s0, 10
	s_mov_b32 m0, s0
	s_sendmsg sendmsg(MSG_INTERRUPT)
	s_mov_b32 m0, ttmp2
.LBB6_12654:                            ; =>This Inner Loop Header: Depth=1
	s_sethalt 5
	s_branch .LBB6_12654
.LBB6_12655:
	s_trap 2
	s_sendmsg_rtn_b32 s0, sendmsg(MSG_RTN_GET_DOORBELL)
	s_mov_b32 ttmp2, m0
	s_waitcnt lgkmcnt(0)
	s_and_b32 s0, s0, 0x3ff
	s_delay_alu instid0(SALU_CYCLE_1) | instskip(NEXT) | instid1(SALU_CYCLE_1)
	s_bitset1_b32 s0, 10
	s_mov_b32 m0, s0
	s_sendmsg sendmsg(MSG_INTERRUPT)
	s_mov_b32 m0, ttmp2
.LBB6_12656:                            ; =>This Inner Loop Header: Depth=1
	s_sethalt 5
	s_branch .LBB6_12656
.LBB6_12657:
	s_trap 2
	s_sendmsg_rtn_b32 s0, sendmsg(MSG_RTN_GET_DOORBELL)
	s_mov_b32 ttmp2, m0
	s_waitcnt lgkmcnt(0)
	s_and_b32 s0, s0, 0x3ff
	s_delay_alu instid0(SALU_CYCLE_1) | instskip(NEXT) | instid1(SALU_CYCLE_1)
	s_bitset1_b32 s0, 10
	s_mov_b32 m0, s0
	s_sendmsg sendmsg(MSG_INTERRUPT)
	s_mov_b32 m0, ttmp2
.LBB6_12658:                            ; =>This Inner Loop Header: Depth=1
	s_sethalt 5
	s_branch .LBB6_12658
.LBB6_12659:
	s_trap 2
	s_sendmsg_rtn_b32 s0, sendmsg(MSG_RTN_GET_DOORBELL)
	s_mov_b32 ttmp2, m0
	s_waitcnt lgkmcnt(0)
	s_and_b32 s0, s0, 0x3ff
	s_delay_alu instid0(SALU_CYCLE_1) | instskip(NEXT) | instid1(SALU_CYCLE_1)
	s_bitset1_b32 s0, 10
	s_mov_b32 m0, s0
	s_sendmsg sendmsg(MSG_INTERRUPT)
	s_mov_b32 m0, ttmp2
.LBB6_12660:                            ; =>This Inner Loop Header: Depth=1
	s_sethalt 5
	s_branch .LBB6_12660
.LBB6_12661:
	s_trap 2
	s_sendmsg_rtn_b32 s0, sendmsg(MSG_RTN_GET_DOORBELL)
	s_mov_b32 ttmp2, m0
	s_waitcnt lgkmcnt(0)
	s_and_b32 s0, s0, 0x3ff
	s_delay_alu instid0(SALU_CYCLE_1) | instskip(NEXT) | instid1(SALU_CYCLE_1)
	s_bitset1_b32 s0, 10
	s_mov_b32 m0, s0
	s_sendmsg sendmsg(MSG_INTERRUPT)
	s_mov_b32 m0, ttmp2
.LBB6_12662:                            ; =>This Inner Loop Header: Depth=1
	s_sethalt 5
	s_branch .LBB6_12662
.LBB6_12663:
	s_trap 2
	s_sendmsg_rtn_b32 s0, sendmsg(MSG_RTN_GET_DOORBELL)
	s_mov_b32 ttmp2, m0
	s_waitcnt lgkmcnt(0)
	s_and_b32 s0, s0, 0x3ff
	s_delay_alu instid0(SALU_CYCLE_1) | instskip(NEXT) | instid1(SALU_CYCLE_1)
	s_bitset1_b32 s0, 10
	s_mov_b32 m0, s0
	s_sendmsg sendmsg(MSG_INTERRUPT)
	s_mov_b32 m0, ttmp2
.LBB6_12664:                            ; =>This Inner Loop Header: Depth=1
	s_sethalt 5
	s_branch .LBB6_12664
.LBB6_12665:
	s_trap 2
	s_sendmsg_rtn_b32 s0, sendmsg(MSG_RTN_GET_DOORBELL)
	s_mov_b32 ttmp2, m0
	s_waitcnt lgkmcnt(0)
	s_and_b32 s0, s0, 0x3ff
	s_delay_alu instid0(SALU_CYCLE_1) | instskip(NEXT) | instid1(SALU_CYCLE_1)
	s_bitset1_b32 s0, 10
	s_mov_b32 m0, s0
	s_sendmsg sendmsg(MSG_INTERRUPT)
	s_mov_b32 m0, ttmp2
.LBB6_12666:                            ; =>This Inner Loop Header: Depth=1
	s_sethalt 5
	s_branch .LBB6_12666
.LBB6_12667:                            ;   in Loop: Header=BB6_12671 Depth=1
	s_or_b32 exec_lo, exec_lo, s10
	v_mov_b32_e32 v6, 0
	s_or_not1_b32 s7, s7, exec_lo
.LBB6_12668:                            ;   in Loop: Header=BB6_12671 Depth=1
	s_or_b32 exec_lo, exec_lo, s6
	s_delay_alu instid0(VALU_DEP_1)
	v_mov_b32_e32 v0, v6
	s_and_b32 s6, s7, exec_lo
.LBB6_12669:                            ;   in Loop: Header=BB6_12671 Depth=1
	s_or_b32 exec_lo, exec_lo, s5
	s_xor_b32 s5, s6, -1
	s_and_not1_b32 s3, s3, exec_lo
	s_and_b32 s5, s5, exec_lo
	s_delay_alu instid0(SALU_CYCLE_1)
	s_or_b32 s3, s3, s5
.LBB6_12670:                            ;   in Loop: Header=BB6_12671 Depth=1
	s_or_b32 exec_lo, exec_lo, s4
	s_delay_alu instid0(SALU_CYCLE_1) | instskip(NEXT) | instid1(SALU_CYCLE_1)
	s_and_b32 s4, exec_lo, s3
	s_or_b32 s2, s4, s2
	s_delay_alu instid0(SALU_CYCLE_1)
	s_and_not1_b32 exec_lo, exec_lo, s2
	s_cbranch_execz .LBB6_12686
.LBB6_12671:                            ; =>This Inner Loop Header: Depth=1
	flat_load_b64 v[6:7], v[4:5] glc dlc
	s_waitcnt vmcnt(0)
	s_or_b32 s3, s3, exec_lo
	s_mov_b32 s4, exec_lo
	s_waitcnt lgkmcnt(0)
	v_cmpx_ne_u64_e32 -1, v[6:7]
	s_cbranch_execz .LBB6_12670
; %bb.12672:                            ;   in Loop: Header=BB6_12671 Depth=1
	v_and_b32_e32 v6, 64, v30
	s_mov_b32 s6, 0
	s_mov_b32 s5, exec_lo
	s_delay_alu instid0(VALU_DEP_1)
	v_cmpx_eq_u32_e32 0, v6
	s_cbranch_execz .LBB6_12669
; %bb.12673:                            ;   in Loop: Header=BB6_12671 Depth=1
	v_add_nc_u32_e32 v6, 1, v0
	s_mov_b32 s7, -1
	s_mov_b32 s6, exec_lo
	v_cmpx_lt_i32_e32 0x270e, v0
	s_cbranch_execz .LBB6_12668
; %bb.12674:                            ;   in Loop: Header=BB6_12671 Depth=1
	s_cbranch_execnz .LBB6_12678
; %bb.12675:                            ;   in Loop: Header=BB6_12671 Depth=1
	ds_load_b64 v[6:7], v0
	s_mov_b32 s10, exec_lo
	s_waitcnt lgkmcnt(0)
	s_waitcnt_vscnt null, 0x0
	flat_load_b32 v0, v[6:7] glc
	s_waitcnt vmcnt(0) lgkmcnt(0)
	buffer_gl1_inv
	buffer_gl0_inv
	v_cmpx_ne_u32_e32 0, v0
	s_cbranch_execz .LBB6_12667
; %bb.12676:                            ;   in Loop: Header=BB6_12671 Depth=1
	ds_store_b32 v0, v0
	s_cbranch_execnz .LBB6_12700
; %bb.12677:                            ;   in Loop: Header=BB6_12671 Depth=1
	v_or_b32_e32 v30, 64, v30
	s_xor_b32 s7, exec_lo, -1
	s_branch .LBB6_12667
.LBB6_12678:
	s_trap 2
	s_sendmsg_rtn_b32 s0, sendmsg(MSG_RTN_GET_DOORBELL)
	s_mov_b32 ttmp2, m0
	s_waitcnt lgkmcnt(0)
	s_and_b32 s0, s0, 0x3ff
	s_delay_alu instid0(SALU_CYCLE_1) | instskip(NEXT) | instid1(SALU_CYCLE_1)
	s_bitset1_b32 s0, 10
	s_mov_b32 m0, s0
	s_sendmsg sendmsg(MSG_INTERRUPT)
	s_mov_b32 m0, ttmp2
.LBB6_12679:                            ; =>This Inner Loop Header: Depth=1
	s_sethalt 5
	s_branch .LBB6_12679
.LBB6_12680:
	s_trap 2
	s_sendmsg_rtn_b32 s0, sendmsg(MSG_RTN_GET_DOORBELL)
	s_mov_b32 ttmp2, m0
	s_waitcnt lgkmcnt(0)
	s_and_b32 s0, s0, 0x3ff
	s_delay_alu instid0(SALU_CYCLE_1) | instskip(NEXT) | instid1(SALU_CYCLE_1)
	s_bitset1_b32 s0, 10
	s_mov_b32 m0, s0
	s_sendmsg sendmsg(MSG_INTERRUPT)
	s_mov_b32 m0, ttmp2
.LBB6_12681:                            ; =>This Inner Loop Header: Depth=1
	s_sethalt 5
	s_branch .LBB6_12681
.LBB6_12682:
	s_trap 2
	s_sendmsg_rtn_b32 s0, sendmsg(MSG_RTN_GET_DOORBELL)
	s_mov_b32 ttmp2, m0
	s_waitcnt lgkmcnt(0)
	s_and_b32 s0, s0, 0x3ff
	s_delay_alu instid0(SALU_CYCLE_1) | instskip(NEXT) | instid1(SALU_CYCLE_1)
	s_bitset1_b32 s0, 10
	s_mov_b32 m0, s0
	s_sendmsg sendmsg(MSG_INTERRUPT)
	s_mov_b32 m0, ttmp2
.LBB6_12683:                            ; =>This Inner Loop Header: Depth=1
	s_sethalt 5
	s_branch .LBB6_12683
.LBB6_12684:
	s_trap 2
	s_sendmsg_rtn_b32 s0, sendmsg(MSG_RTN_GET_DOORBELL)
	s_mov_b32 ttmp2, m0
	s_waitcnt lgkmcnt(0)
	s_and_b32 s0, s0, 0x3ff
	s_delay_alu instid0(SALU_CYCLE_1) | instskip(NEXT) | instid1(SALU_CYCLE_1)
	s_bitset1_b32 s0, 10
	s_mov_b32 m0, s0
	s_sendmsg sendmsg(MSG_INTERRUPT)
	s_mov_b32 m0, ttmp2
.LBB6_12685:                            ; =>This Inner Loop Header: Depth=1
	s_sethalt 5
	s_branch .LBB6_12685
.LBB6_12686:
	s_or_b32 exec_lo, exec_lo, s2
.LBB6_12687:
	s_delay_alu instid0(SALU_CYCLE_1) | instskip(SKIP_2) | instid1(VALU_DEP_1)
	s_or_b32 exec_lo, exec_lo, s1
	v_and_b32_e32 v0, 0x2000, v30
	s_mov_b32 s1, exec_lo
	v_cmpx_ne_u32_e32 0, v0
	s_cbranch_execz .LBB6_12690
; %bb.12688:
	s_cbranch_execnz .LBB6_12698
; %bb.12689:
	ds_load_b64 v[4:5], v0
	s_waitcnt lgkmcnt(0)
	flat_store_b64 v[2:3], v[4:5] offset:16
.LBB6_12690:
	s_or_b32 exec_lo, exec_lo, s1
	v_cmp_ne_u32_e32 vcc_lo, 32, v1
	s_and_b32 exec_lo, exec_lo, vcc_lo
	s_cbranch_execz .LBB6_12859
; %bb.12691:
	s_mov_b32 s1, exec_lo
	v_cmpx_ne_u32_e64 v80, v1
	s_xor_b32 s1, exec_lo, s1
	s_cbranch_execz .LBB6_12857
; %bb.12692:
	v_and_b32_e32 v0, 31, v31
	s_mov_b32 s2, exec_lo
	s_delay_alu instid0(VALU_DEP_1)
	v_cmpx_eq_u32_e32 0, v0
	s_cbranch_execz .LBB6_12856
; %bb.12693:
	s_mov_b32 s4, exec_lo
	s_mov_b32 s3, exec_lo
	v_mbcnt_lo_u32_b32 v0, s4, 0
	s_waitcnt lgkmcnt(0)
	s_waitcnt_vscnt null, 0x0
	buffer_gl1_inv
	buffer_gl0_inv
	v_cmpx_eq_u32_e32 0, v0
	s_cbranch_execz .LBB6_12695
; %bb.12694:
	s_bcnt1_i32_b32 s4, s4
	s_delay_alu instid0(SALU_CYCLE_1)
	v_dual_mov_b32 v3, 0 :: v_dual_mov_b32 v2, s4
	ds_add_u64 v0, v[2:3]
	s_cbranch_execnz .LBB6_12743
.LBB6_12695:
	s_or_b32 exec_lo, exec_lo, s3
	s_cbranch_execnz .LBB6_12726
; %bb.12696:
	v_ashrrev_i32_e32 v0, 31, v1
	s_mov_b32 s3, exec_lo
	s_delay_alu instid0(VALU_DEP_1) | instskip(NEXT) | instid1(VALU_DEP_1)
	v_lshrrev_b32_e32 v0, 27, v0
	v_add_nc_u32_e32 v0, v1, v0
	ds_load_b64 v[2:3], v0
	v_ashrrev_i32_e32 v0, 5, v0
	s_delay_alu instid0(VALU_DEP_1) | instskip(SKIP_1) | instid1(VALU_DEP_2)
	v_ashrrev_i32_e32 v1, 31, v0
	v_add_co_u32 v0, vcc_lo, v38, v0
	v_add_co_ci_u32_e32 v1, vcc_lo, v39, v1, vcc_lo
	s_waitcnt lgkmcnt(0)
	s_delay_alu instid0(VALU_DEP_1)
	v_cmpx_lt_u64_e64 v[2:3], v[0:1]
	s_cbranch_execz .LBB6_12855
; %bb.12697:
	s_mov_b32 s4, 0
	s_mov_b32 s7, 0
                                        ; implicit-def: $sgpr5
                                        ; implicit-def: $sgpr6
	s_branch .LBB6_12733
.LBB6_12698:
	s_trap 2
	s_sendmsg_rtn_b32 s0, sendmsg(MSG_RTN_GET_DOORBELL)
	s_mov_b32 ttmp2, m0
	s_waitcnt lgkmcnt(0)
	s_and_b32 s0, s0, 0x3ff
	s_delay_alu instid0(SALU_CYCLE_1) | instskip(NEXT) | instid1(SALU_CYCLE_1)
	s_bitset1_b32 s0, 10
	s_mov_b32 m0, s0
	s_sendmsg sendmsg(MSG_INTERRUPT)
	s_mov_b32 m0, ttmp2
.LBB6_12699:                            ; =>This Inner Loop Header: Depth=1
	s_sethalt 5
	s_branch .LBB6_12699
.LBB6_12700:
	s_trap 2
	s_sendmsg_rtn_b32 s0, sendmsg(MSG_RTN_GET_DOORBELL)
	s_mov_b32 ttmp2, m0
	s_waitcnt lgkmcnt(0)
	s_and_b32 s0, s0, 0x3ff
	s_delay_alu instid0(SALU_CYCLE_1) | instskip(NEXT) | instid1(SALU_CYCLE_1)
	s_bitset1_b32 s0, 10
	s_mov_b32 m0, s0
	s_sendmsg sendmsg(MSG_INTERRUPT)
	s_mov_b32 m0, ttmp2
.LBB6_12701:                            ; =>This Inner Loop Header: Depth=1
	s_sethalt 5
	s_branch .LBB6_12701
.LBB6_12702:
	s_trap 2
	s_sendmsg_rtn_b32 s0, sendmsg(MSG_RTN_GET_DOORBELL)
	s_mov_b32 ttmp2, m0
	s_waitcnt lgkmcnt(0)
	s_and_b32 s0, s0, 0x3ff
	s_delay_alu instid0(SALU_CYCLE_1) | instskip(NEXT) | instid1(SALU_CYCLE_1)
	s_bitset1_b32 s0, 10
	s_mov_b32 m0, s0
	s_sendmsg sendmsg(MSG_INTERRUPT)
	s_mov_b32 m0, ttmp2
.LBB6_12703:                            ; =>This Inner Loop Header: Depth=1
	s_sethalt 5
	s_branch .LBB6_12703
.LBB6_12704:
	s_trap 2
	s_sendmsg_rtn_b32 s0, sendmsg(MSG_RTN_GET_DOORBELL)
	s_mov_b32 ttmp2, m0
	s_waitcnt lgkmcnt(0)
	s_and_b32 s0, s0, 0x3ff
	s_delay_alu instid0(SALU_CYCLE_1) | instskip(NEXT) | instid1(SALU_CYCLE_1)
	s_bitset1_b32 s0, 10
	s_mov_b32 m0, s0
	s_sendmsg sendmsg(MSG_INTERRUPT)
	s_mov_b32 m0, ttmp2
.LBB6_12705:                            ; =>This Inner Loop Header: Depth=1
	s_sethalt 5
	s_branch .LBB6_12705
.LBB6_12706:
	s_trap 2
	s_sendmsg_rtn_b32 s0, sendmsg(MSG_RTN_GET_DOORBELL)
	s_mov_b32 ttmp2, m0
	s_waitcnt lgkmcnt(0)
	s_and_b32 s0, s0, 0x3ff
	s_delay_alu instid0(SALU_CYCLE_1) | instskip(NEXT) | instid1(SALU_CYCLE_1)
	s_bitset1_b32 s0, 10
	s_mov_b32 m0, s0
	s_sendmsg sendmsg(MSG_INTERRUPT)
	s_mov_b32 m0, ttmp2
.LBB6_12707:                            ; =>This Inner Loop Header: Depth=1
	s_sethalt 5
	s_branch .LBB6_12707
.LBB6_12708:
	s_trap 2
	s_sendmsg_rtn_b32 s0, sendmsg(MSG_RTN_GET_DOORBELL)
	s_mov_b32 ttmp2, m0
	s_waitcnt lgkmcnt(0)
	s_and_b32 s0, s0, 0x3ff
	s_delay_alu instid0(SALU_CYCLE_1) | instskip(NEXT) | instid1(SALU_CYCLE_1)
	s_bitset1_b32 s0, 10
	s_mov_b32 m0, s0
	s_sendmsg sendmsg(MSG_INTERRUPT)
	s_mov_b32 m0, ttmp2
.LBB6_12709:                            ; =>This Inner Loop Header: Depth=1
	s_sethalt 5
	s_branch .LBB6_12709
.LBB6_12710:
	s_trap 2
	s_sendmsg_rtn_b32 s0, sendmsg(MSG_RTN_GET_DOORBELL)
	s_mov_b32 ttmp2, m0
	s_waitcnt lgkmcnt(0)
	s_and_b32 s0, s0, 0x3ff
	s_delay_alu instid0(SALU_CYCLE_1) | instskip(NEXT) | instid1(SALU_CYCLE_1)
	s_bitset1_b32 s0, 10
	s_mov_b32 m0, s0
	s_sendmsg sendmsg(MSG_INTERRUPT)
	s_mov_b32 m0, ttmp2
.LBB6_12711:                            ; =>This Inner Loop Header: Depth=1
	s_sethalt 5
	s_branch .LBB6_12711
.LBB6_12712:
	s_trap 2
	s_sendmsg_rtn_b32 s0, sendmsg(MSG_RTN_GET_DOORBELL)
	s_mov_b32 ttmp2, m0
	s_waitcnt lgkmcnt(0)
	s_and_b32 s0, s0, 0x3ff
	s_delay_alu instid0(SALU_CYCLE_1) | instskip(NEXT) | instid1(SALU_CYCLE_1)
	s_bitset1_b32 s0, 10
	s_mov_b32 m0, s0
	s_sendmsg sendmsg(MSG_INTERRUPT)
	s_mov_b32 m0, ttmp2
.LBB6_12713:                            ; =>This Inner Loop Header: Depth=1
	s_sethalt 5
	s_branch .LBB6_12713
.LBB6_12714:
	s_trap 2
	s_sendmsg_rtn_b32 s0, sendmsg(MSG_RTN_GET_DOORBELL)
	s_mov_b32 ttmp2, m0
	s_waitcnt lgkmcnt(0)
	s_and_b32 s0, s0, 0x3ff
	s_delay_alu instid0(SALU_CYCLE_1) | instskip(NEXT) | instid1(SALU_CYCLE_1)
	s_bitset1_b32 s0, 10
	s_mov_b32 m0, s0
	s_sendmsg sendmsg(MSG_INTERRUPT)
	s_mov_b32 m0, ttmp2
.LBB6_12715:                            ; =>This Inner Loop Header: Depth=1
	s_sethalt 5
	s_branch .LBB6_12715
.LBB6_12716:
	s_trap 2
	s_sendmsg_rtn_b32 s0, sendmsg(MSG_RTN_GET_DOORBELL)
	s_mov_b32 ttmp2, m0
	s_waitcnt lgkmcnt(0)
	s_and_b32 s0, s0, 0x3ff
	s_delay_alu instid0(SALU_CYCLE_1) | instskip(NEXT) | instid1(SALU_CYCLE_1)
	s_bitset1_b32 s0, 10
	s_mov_b32 m0, s0
	s_sendmsg sendmsg(MSG_INTERRUPT)
	s_mov_b32 m0, ttmp2
.LBB6_12717:                            ; =>This Inner Loop Header: Depth=1
	s_sethalt 5
	s_branch .LBB6_12717
.LBB6_12718:
	s_trap 2
	s_sendmsg_rtn_b32 s0, sendmsg(MSG_RTN_GET_DOORBELL)
	s_mov_b32 ttmp2, m0
	s_waitcnt lgkmcnt(0)
	s_and_b32 s0, s0, 0x3ff
	s_delay_alu instid0(SALU_CYCLE_1) | instskip(NEXT) | instid1(SALU_CYCLE_1)
	s_bitset1_b32 s0, 10
	s_mov_b32 m0, s0
	s_sendmsg sendmsg(MSG_INTERRUPT)
	s_mov_b32 m0, ttmp2
.LBB6_12719:                            ; =>This Inner Loop Header: Depth=1
	s_sethalt 5
	s_branch .LBB6_12719
.LBB6_12720:
	s_trap 2
	s_sendmsg_rtn_b32 s0, sendmsg(MSG_RTN_GET_DOORBELL)
	s_mov_b32 ttmp2, m0
	s_waitcnt lgkmcnt(0)
	s_and_b32 s0, s0, 0x3ff
	s_delay_alu instid0(SALU_CYCLE_1) | instskip(NEXT) | instid1(SALU_CYCLE_1)
	s_bitset1_b32 s0, 10
	s_mov_b32 m0, s0
	s_sendmsg sendmsg(MSG_INTERRUPT)
	s_mov_b32 m0, ttmp2
.LBB6_12721:                            ; =>This Inner Loop Header: Depth=1
	s_sethalt 5
	s_branch .LBB6_12721
.LBB6_12722:
	s_trap 2
	s_sendmsg_rtn_b32 s0, sendmsg(MSG_RTN_GET_DOORBELL)
	s_mov_b32 ttmp2, m0
	s_waitcnt lgkmcnt(0)
	s_and_b32 s0, s0, 0x3ff
	s_delay_alu instid0(SALU_CYCLE_1) | instskip(NEXT) | instid1(SALU_CYCLE_1)
	s_bitset1_b32 s0, 10
	s_mov_b32 m0, s0
	s_sendmsg sendmsg(MSG_INTERRUPT)
	s_mov_b32 m0, ttmp2
.LBB6_12723:                            ; =>This Inner Loop Header: Depth=1
	s_sethalt 5
	s_branch .LBB6_12723
.LBB6_12724:
	s_trap 2
	s_sendmsg_rtn_b32 s0, sendmsg(MSG_RTN_GET_DOORBELL)
	s_mov_b32 ttmp2, m0
	s_waitcnt lgkmcnt(0)
	s_and_b32 s0, s0, 0x3ff
	s_delay_alu instid0(SALU_CYCLE_1) | instskip(NEXT) | instid1(SALU_CYCLE_1)
	s_bitset1_b32 s0, 10
	s_mov_b32 m0, s0
	s_sendmsg sendmsg(MSG_INTERRUPT)
	s_mov_b32 m0, ttmp2
.LBB6_12725:                            ; =>This Inner Loop Header: Depth=1
	s_sethalt 5
	s_branch .LBB6_12725
.LBB6_12726:
	s_trap 2
	s_sendmsg_rtn_b32 s0, sendmsg(MSG_RTN_GET_DOORBELL)
	s_mov_b32 ttmp2, m0
	s_waitcnt lgkmcnt(0)
	s_and_b32 s0, s0, 0x3ff
	s_delay_alu instid0(SALU_CYCLE_1) | instskip(NEXT) | instid1(SALU_CYCLE_1)
	s_bitset1_b32 s0, 10
	s_mov_b32 m0, s0
	s_sendmsg sendmsg(MSG_INTERRUPT)
	s_mov_b32 m0, ttmp2
.LBB6_12727:                            ; =>This Inner Loop Header: Depth=1
	s_sethalt 5
	s_branch .LBB6_12727
.LBB6_12728:
	s_trap 2
	s_sendmsg_rtn_b32 s0, sendmsg(MSG_RTN_GET_DOORBELL)
	s_mov_b32 ttmp2, m0
	s_waitcnt lgkmcnt(0)
	s_and_b32 s0, s0, 0x3ff
	s_delay_alu instid0(SALU_CYCLE_1) | instskip(NEXT) | instid1(SALU_CYCLE_1)
	s_bitset1_b32 s0, 10
	s_mov_b32 m0, s0
	s_sendmsg sendmsg(MSG_INTERRUPT)
	s_mov_b32 m0, ttmp2
.LBB6_12729:                            ; =>This Inner Loop Header: Depth=1
	s_sethalt 5
	s_branch .LBB6_12729
.LBB6_12730:
	s_trap 2
	s_sendmsg_rtn_b32 s0, sendmsg(MSG_RTN_GET_DOORBELL)
	s_mov_b32 ttmp2, m0
	s_waitcnt lgkmcnt(0)
	s_and_b32 s0, s0, 0x3ff
	s_delay_alu instid0(SALU_CYCLE_1) | instskip(NEXT) | instid1(SALU_CYCLE_1)
	s_bitset1_b32 s0, 10
	s_mov_b32 m0, s0
	s_sendmsg sendmsg(MSG_INTERRUPT)
	s_mov_b32 m0, ttmp2
.LBB6_12731:                            ; =>This Inner Loop Header: Depth=1
	s_sethalt 5
	s_branch .LBB6_12731
.LBB6_12732:                            ;   in Loop: Header=BB6_12733 Depth=1
	s_or_b32 exec_lo, exec_lo, s12
	s_delay_alu instid0(SALU_CYCLE_1) | instskip(NEXT) | instid1(SALU_CYCLE_1)
	s_and_b32 s10, exec_lo, s11
	s_or_b32 s4, s10, s4
	s_and_not1_b32 s5, s5, exec_lo
	s_and_b32 s10, s6, exec_lo
	s_delay_alu instid0(SALU_CYCLE_1)
	s_or_b32 s5, s5, s10
	s_and_not1_b32 exec_lo, exec_lo, s4
	s_cbranch_execz .LBB6_12853
.LBB6_12733:                            ; =>This Inner Loop Header: Depth=1
	s_add_i32 s7, s7, 1
                                        ; implicit-def: $sgpr11
	s_delay_alu instid0(SALU_CYCLE_1) | instskip(SKIP_1) | instid1(SALU_CYCLE_1)
	s_cmpk_lg_i32 s7, 0x2710
	s_cselect_b32 s10, -1, 0
	s_and_b32 vcc_lo, exec_lo, s10
	s_cbranch_vccz .LBB6_12737
.LBB6_12734:                            ;   in Loop: Header=BB6_12733 Depth=1
	s_and_not1_b32 s6, s6, exec_lo
	s_and_b32 s12, s11, exec_lo
	s_mov_b32 s11, -1
	s_or_b32 s6, s6, s12
	s_and_saveexec_b32 s12, s10
	s_cbranch_execz .LBB6_12732
; %bb.12735:                            ;   in Loop: Header=BB6_12733 Depth=1
	s_sleep 1
	s_cbranch_execnz .LBB6_12759
; %bb.12736:                            ;   in Loop: Header=BB6_12733 Depth=1
	ds_load_b64 v[2:3], v0
	s_and_not1_b32 s6, s6, exec_lo
	s_waitcnt lgkmcnt(0)
	v_cmp_ge_u64_e32 vcc_lo, v[2:3], v[0:1]
	s_or_not1_b32 s11, vcc_lo, exec_lo
	s_branch .LBB6_12732
.LBB6_12737:                            ;   in Loop: Header=BB6_12733 Depth=1
	s_cbranch_execnz .LBB6_12767
; %bb.12738:                            ;   in Loop: Header=BB6_12733 Depth=1
	ds_load_b64 v[2:3], v0
	s_and_not1_b32 s10, s10, exec_lo
	s_mov_b32 s7, 0
	s_mov_b32 s11, -1
	s_waitcnt lgkmcnt(0)
	flat_load_b32 v2, v[2:3] glc
	s_waitcnt vmcnt(0) lgkmcnt(0)
	buffer_gl1_inv
	buffer_gl0_inv
	v_cmp_eq_u32_e32 vcc_lo, 0, v2
	s_and_b32 s12, vcc_lo, exec_lo
	s_delay_alu instid0(SALU_CYCLE_1)
	s_or_b32 s10, s10, s12
	s_branch .LBB6_12734
.LBB6_12739:
	s_trap 2
	s_sendmsg_rtn_b32 s0, sendmsg(MSG_RTN_GET_DOORBELL)
	s_mov_b32 ttmp2, m0
	s_waitcnt lgkmcnt(0)
	s_and_b32 s0, s0, 0x3ff
	s_delay_alu instid0(SALU_CYCLE_1) | instskip(NEXT) | instid1(SALU_CYCLE_1)
	s_bitset1_b32 s0, 10
	s_mov_b32 m0, s0
	s_sendmsg sendmsg(MSG_INTERRUPT)
	s_mov_b32 m0, ttmp2
.LBB6_12740:                            ; =>This Inner Loop Header: Depth=1
	s_sethalt 5
	s_branch .LBB6_12740
.LBB6_12741:
	s_trap 2
	s_sendmsg_rtn_b32 s0, sendmsg(MSG_RTN_GET_DOORBELL)
	s_mov_b32 ttmp2, m0
	s_waitcnt lgkmcnt(0)
	s_and_b32 s0, s0, 0x3ff
	s_delay_alu instid0(SALU_CYCLE_1) | instskip(NEXT) | instid1(SALU_CYCLE_1)
	s_bitset1_b32 s0, 10
	s_mov_b32 m0, s0
	s_sendmsg sendmsg(MSG_INTERRUPT)
	s_mov_b32 m0, ttmp2
.LBB6_12742:                            ; =>This Inner Loop Header: Depth=1
	s_sethalt 5
	s_branch .LBB6_12742
.LBB6_12743:
	s_trap 2
	s_sendmsg_rtn_b32 s0, sendmsg(MSG_RTN_GET_DOORBELL)
	s_mov_b32 ttmp2, m0
	s_waitcnt lgkmcnt(0)
	s_and_b32 s0, s0, 0x3ff
	s_delay_alu instid0(SALU_CYCLE_1) | instskip(NEXT) | instid1(SALU_CYCLE_1)
	s_bitset1_b32 s0, 10
	s_mov_b32 m0, s0
	s_sendmsg sendmsg(MSG_INTERRUPT)
	s_mov_b32 m0, ttmp2
.LBB6_12744:                            ; =>This Inner Loop Header: Depth=1
	s_sethalt 5
	s_branch .LBB6_12744
.LBB6_12745:
	s_trap 2
	s_sendmsg_rtn_b32 s0, sendmsg(MSG_RTN_GET_DOORBELL)
	s_mov_b32 ttmp2, m0
	s_waitcnt lgkmcnt(0)
	s_and_b32 s0, s0, 0x3ff
	s_delay_alu instid0(SALU_CYCLE_1) | instskip(NEXT) | instid1(SALU_CYCLE_1)
	s_bitset1_b32 s0, 10
	s_mov_b32 m0, s0
	s_sendmsg sendmsg(MSG_INTERRUPT)
	s_mov_b32 m0, ttmp2
.LBB6_12746:                            ; =>This Inner Loop Header: Depth=1
	s_sethalt 5
	s_branch .LBB6_12746
.LBB6_12747:
	s_trap 2
	s_sendmsg_rtn_b32 s0, sendmsg(MSG_RTN_GET_DOORBELL)
	s_mov_b32 ttmp2, m0
	s_waitcnt lgkmcnt(0)
	s_and_b32 s0, s0, 0x3ff
	s_delay_alu instid0(SALU_CYCLE_1) | instskip(NEXT) | instid1(SALU_CYCLE_1)
	s_bitset1_b32 s0, 10
	s_mov_b32 m0, s0
	s_sendmsg sendmsg(MSG_INTERRUPT)
	s_mov_b32 m0, ttmp2
.LBB6_12748:                            ; =>This Inner Loop Header: Depth=1
	s_sethalt 5
	s_branch .LBB6_12748
.LBB6_12749:
	s_trap 2
	s_sendmsg_rtn_b32 s0, sendmsg(MSG_RTN_GET_DOORBELL)
	s_mov_b32 ttmp2, m0
	s_waitcnt lgkmcnt(0)
	s_and_b32 s0, s0, 0x3ff
	s_delay_alu instid0(SALU_CYCLE_1) | instskip(NEXT) | instid1(SALU_CYCLE_1)
	s_bitset1_b32 s0, 10
	s_mov_b32 m0, s0
	s_sendmsg sendmsg(MSG_INTERRUPT)
	s_mov_b32 m0, ttmp2
.LBB6_12750:                            ; =>This Inner Loop Header: Depth=1
	s_sethalt 5
	s_branch .LBB6_12750
.LBB6_12751:
	s_trap 2
	s_sendmsg_rtn_b32 s0, sendmsg(MSG_RTN_GET_DOORBELL)
	s_mov_b32 ttmp2, m0
	s_waitcnt lgkmcnt(0)
	s_and_b32 s0, s0, 0x3ff
	s_delay_alu instid0(SALU_CYCLE_1) | instskip(NEXT) | instid1(SALU_CYCLE_1)
	s_bitset1_b32 s0, 10
	s_mov_b32 m0, s0
	s_sendmsg sendmsg(MSG_INTERRUPT)
	s_mov_b32 m0, ttmp2
.LBB6_12752:                            ; =>This Inner Loop Header: Depth=1
	s_sethalt 5
	s_branch .LBB6_12752
.LBB6_12753:
	s_trap 2
	s_sendmsg_rtn_b32 s0, sendmsg(MSG_RTN_GET_DOORBELL)
	s_mov_b32 ttmp2, m0
	s_waitcnt lgkmcnt(0)
	s_and_b32 s0, s0, 0x3ff
	s_delay_alu instid0(SALU_CYCLE_1) | instskip(NEXT) | instid1(SALU_CYCLE_1)
	s_bitset1_b32 s0, 10
	s_mov_b32 m0, s0
	s_sendmsg sendmsg(MSG_INTERRUPT)
	s_mov_b32 m0, ttmp2
.LBB6_12754:                            ; =>This Inner Loop Header: Depth=1
	s_sethalt 5
	s_branch .LBB6_12754
.LBB6_12755:
	s_trap 2
	s_sendmsg_rtn_b32 s0, sendmsg(MSG_RTN_GET_DOORBELL)
	s_mov_b32 ttmp2, m0
	s_waitcnt lgkmcnt(0)
	s_and_b32 s0, s0, 0x3ff
	s_delay_alu instid0(SALU_CYCLE_1) | instskip(NEXT) | instid1(SALU_CYCLE_1)
	s_bitset1_b32 s0, 10
	s_mov_b32 m0, s0
	s_sendmsg sendmsg(MSG_INTERRUPT)
	s_mov_b32 m0, ttmp2
.LBB6_12756:                            ; =>This Inner Loop Header: Depth=1
	s_sethalt 5
	s_branch .LBB6_12756
.LBB6_12757:
	s_trap 2
	s_sendmsg_rtn_b32 s0, sendmsg(MSG_RTN_GET_DOORBELL)
	s_mov_b32 ttmp2, m0
	s_waitcnt lgkmcnt(0)
	s_and_b32 s0, s0, 0x3ff
	s_delay_alu instid0(SALU_CYCLE_1) | instskip(NEXT) | instid1(SALU_CYCLE_1)
	s_bitset1_b32 s0, 10
	s_mov_b32 m0, s0
	s_sendmsg sendmsg(MSG_INTERRUPT)
	s_mov_b32 m0, ttmp2
.LBB6_12758:                            ; =>This Inner Loop Header: Depth=1
	s_sethalt 5
	s_branch .LBB6_12758
.LBB6_12759:
	s_trap 2
	s_sendmsg_rtn_b32 s0, sendmsg(MSG_RTN_GET_DOORBELL)
	s_mov_b32 ttmp2, m0
	s_waitcnt lgkmcnt(0)
	s_and_b32 s0, s0, 0x3ff
	s_delay_alu instid0(SALU_CYCLE_1) | instskip(NEXT) | instid1(SALU_CYCLE_1)
	s_bitset1_b32 s0, 10
	s_mov_b32 m0, s0
	s_sendmsg sendmsg(MSG_INTERRUPT)
	s_mov_b32 m0, ttmp2
.LBB6_12760:                            ; =>This Inner Loop Header: Depth=1
	s_sethalt 5
	s_branch .LBB6_12760
.LBB6_12761:
	s_trap 2
	s_sendmsg_rtn_b32 s0, sendmsg(MSG_RTN_GET_DOORBELL)
	s_mov_b32 ttmp2, m0
	s_waitcnt lgkmcnt(0)
	s_and_b32 s0, s0, 0x3ff
	s_delay_alu instid0(SALU_CYCLE_1) | instskip(NEXT) | instid1(SALU_CYCLE_1)
	s_bitset1_b32 s0, 10
	s_mov_b32 m0, s0
	s_sendmsg sendmsg(MSG_INTERRUPT)
	s_mov_b32 m0, ttmp2
.LBB6_12762:                            ; =>This Inner Loop Header: Depth=1
	s_sethalt 5
	s_branch .LBB6_12762
.LBB6_12763:
	s_trap 2
	s_sendmsg_rtn_b32 s0, sendmsg(MSG_RTN_GET_DOORBELL)
	s_mov_b32 ttmp2, m0
	s_waitcnt lgkmcnt(0)
	s_and_b32 s0, s0, 0x3ff
	s_delay_alu instid0(SALU_CYCLE_1) | instskip(NEXT) | instid1(SALU_CYCLE_1)
	s_bitset1_b32 s0, 10
	s_mov_b32 m0, s0
	s_sendmsg sendmsg(MSG_INTERRUPT)
	s_mov_b32 m0, ttmp2
.LBB6_12764:                            ; =>This Inner Loop Header: Depth=1
	s_sethalt 5
	s_branch .LBB6_12764
.LBB6_12765:
	s_trap 2
	s_sendmsg_rtn_b32 s0, sendmsg(MSG_RTN_GET_DOORBELL)
	s_mov_b32 ttmp2, m0
	s_waitcnt lgkmcnt(0)
	s_and_b32 s0, s0, 0x3ff
	s_delay_alu instid0(SALU_CYCLE_1) | instskip(NEXT) | instid1(SALU_CYCLE_1)
	s_bitset1_b32 s0, 10
	s_mov_b32 m0, s0
	s_sendmsg sendmsg(MSG_INTERRUPT)
	s_mov_b32 m0, ttmp2
.LBB6_12766:                            ; =>This Inner Loop Header: Depth=1
	s_sethalt 5
	s_branch .LBB6_12766
.LBB6_12767:
	s_trap 2
	s_sendmsg_rtn_b32 s0, sendmsg(MSG_RTN_GET_DOORBELL)
	s_mov_b32 ttmp2, m0
	s_waitcnt lgkmcnt(0)
	s_and_b32 s0, s0, 0x3ff
	s_delay_alu instid0(SALU_CYCLE_1) | instskip(NEXT) | instid1(SALU_CYCLE_1)
	s_bitset1_b32 s0, 10
	s_mov_b32 m0, s0
	s_sendmsg sendmsg(MSG_INTERRUPT)
	s_mov_b32 m0, ttmp2
.LBB6_12768:                            ; =>This Inner Loop Header: Depth=1
	s_sethalt 5
	s_branch .LBB6_12768
.LBB6_12769:
	s_trap 2
	s_sendmsg_rtn_b32 s0, sendmsg(MSG_RTN_GET_DOORBELL)
	s_mov_b32 ttmp2, m0
	s_waitcnt lgkmcnt(0)
	s_and_b32 s0, s0, 0x3ff
	s_delay_alu instid0(SALU_CYCLE_1) | instskip(NEXT) | instid1(SALU_CYCLE_1)
	s_bitset1_b32 s0, 10
	s_mov_b32 m0, s0
	s_sendmsg sendmsg(MSG_INTERRUPT)
	s_mov_b32 m0, ttmp2
.LBB6_12770:                            ; =>This Inner Loop Header: Depth=1
	s_sethalt 5
	s_branch .LBB6_12770
.LBB6_12771:
	s_trap 2
	s_sendmsg_rtn_b32 s0, sendmsg(MSG_RTN_GET_DOORBELL)
	s_mov_b32 ttmp2, m0
	s_waitcnt lgkmcnt(0)
	s_and_b32 s0, s0, 0x3ff
	s_delay_alu instid0(SALU_CYCLE_1) | instskip(NEXT) | instid1(SALU_CYCLE_1)
	s_bitset1_b32 s0, 10
	s_mov_b32 m0, s0
	s_sendmsg sendmsg(MSG_INTERRUPT)
	s_mov_b32 m0, ttmp2
.LBB6_12772:                            ; =>This Inner Loop Header: Depth=1
	s_sethalt 5
	s_branch .LBB6_12772
.LBB6_12773:
	s_trap 2
	s_sendmsg_rtn_b32 s0, sendmsg(MSG_RTN_GET_DOORBELL)
	s_mov_b32 ttmp2, m0
	s_waitcnt lgkmcnt(0)
	s_and_b32 s0, s0, 0x3ff
	s_delay_alu instid0(SALU_CYCLE_1) | instskip(NEXT) | instid1(SALU_CYCLE_1)
	s_bitset1_b32 s0, 10
	s_mov_b32 m0, s0
	s_sendmsg sendmsg(MSG_INTERRUPT)
	s_mov_b32 m0, ttmp2
.LBB6_12774:                            ; =>This Inner Loop Header: Depth=1
	s_sethalt 5
	s_branch .LBB6_12774
.LBB6_12775:
	s_trap 2
	s_sendmsg_rtn_b32 s0, sendmsg(MSG_RTN_GET_DOORBELL)
	s_mov_b32 ttmp2, m0
	s_waitcnt lgkmcnt(0)
	s_and_b32 s0, s0, 0x3ff
	s_delay_alu instid0(SALU_CYCLE_1) | instskip(NEXT) | instid1(SALU_CYCLE_1)
	s_bitset1_b32 s0, 10
	s_mov_b32 m0, s0
	s_sendmsg sendmsg(MSG_INTERRUPT)
	s_mov_b32 m0, ttmp2
.LBB6_12776:                            ; =>This Inner Loop Header: Depth=1
	s_sethalt 5
	s_branch .LBB6_12776
.LBB6_12777:
	s_trap 2
	s_sendmsg_rtn_b32 s0, sendmsg(MSG_RTN_GET_DOORBELL)
	s_mov_b32 ttmp2, m0
	s_waitcnt lgkmcnt(0)
	s_and_b32 s0, s0, 0x3ff
	s_delay_alu instid0(SALU_CYCLE_1) | instskip(NEXT) | instid1(SALU_CYCLE_1)
	s_bitset1_b32 s0, 10
	s_mov_b32 m0, s0
	s_sendmsg sendmsg(MSG_INTERRUPT)
	s_mov_b32 m0, ttmp2
.LBB6_12778:                            ; =>This Inner Loop Header: Depth=1
	s_sethalt 5
	s_branch .LBB6_12778
.LBB6_12779:
	s_trap 2
	s_sendmsg_rtn_b32 s0, sendmsg(MSG_RTN_GET_DOORBELL)
	s_mov_b32 ttmp2, m0
	s_waitcnt lgkmcnt(0)
	s_and_b32 s0, s0, 0x3ff
	s_delay_alu instid0(SALU_CYCLE_1) | instskip(NEXT) | instid1(SALU_CYCLE_1)
	s_bitset1_b32 s0, 10
	s_mov_b32 m0, s0
	s_sendmsg sendmsg(MSG_INTERRUPT)
	s_mov_b32 m0, ttmp2
.LBB6_12780:                            ; =>This Inner Loop Header: Depth=1
	s_sethalt 5
	s_branch .LBB6_12780
.LBB6_12781:
	s_trap 2
	s_sendmsg_rtn_b32 s0, sendmsg(MSG_RTN_GET_DOORBELL)
	s_mov_b32 ttmp2, m0
	s_waitcnt lgkmcnt(0)
	s_and_b32 s0, s0, 0x3ff
	s_delay_alu instid0(SALU_CYCLE_1) | instskip(NEXT) | instid1(SALU_CYCLE_1)
	s_bitset1_b32 s0, 10
	s_mov_b32 m0, s0
	s_sendmsg sendmsg(MSG_INTERRUPT)
	s_mov_b32 m0, ttmp2
.LBB6_12782:                            ; =>This Inner Loop Header: Depth=1
	s_sethalt 5
	s_branch .LBB6_12782
.LBB6_12783:
	s_trap 2
	s_sendmsg_rtn_b32 s0, sendmsg(MSG_RTN_GET_DOORBELL)
	s_mov_b32 ttmp2, m0
	s_waitcnt lgkmcnt(0)
	s_and_b32 s0, s0, 0x3ff
	s_delay_alu instid0(SALU_CYCLE_1) | instskip(NEXT) | instid1(SALU_CYCLE_1)
	s_bitset1_b32 s0, 10
	s_mov_b32 m0, s0
	s_sendmsg sendmsg(MSG_INTERRUPT)
	s_mov_b32 m0, ttmp2
.LBB6_12784:                            ; =>This Inner Loop Header: Depth=1
	s_sethalt 5
	s_branch .LBB6_12784
.LBB6_12785:
	s_trap 2
	s_sendmsg_rtn_b32 s0, sendmsg(MSG_RTN_GET_DOORBELL)
	s_mov_b32 ttmp2, m0
	s_waitcnt lgkmcnt(0)
	s_and_b32 s0, s0, 0x3ff
	s_delay_alu instid0(SALU_CYCLE_1) | instskip(NEXT) | instid1(SALU_CYCLE_1)
	s_bitset1_b32 s0, 10
	s_mov_b32 m0, s0
	s_sendmsg sendmsg(MSG_INTERRUPT)
	s_mov_b32 m0, ttmp2
.LBB6_12786:                            ; =>This Inner Loop Header: Depth=1
	s_sethalt 5
	s_branch .LBB6_12786
.LBB6_12787:
	s_trap 2
	s_sendmsg_rtn_b32 s0, sendmsg(MSG_RTN_GET_DOORBELL)
	s_mov_b32 ttmp2, m0
	s_waitcnt lgkmcnt(0)
	s_and_b32 s0, s0, 0x3ff
	s_delay_alu instid0(SALU_CYCLE_1) | instskip(NEXT) | instid1(SALU_CYCLE_1)
	s_bitset1_b32 s0, 10
	s_mov_b32 m0, s0
	s_sendmsg sendmsg(MSG_INTERRUPT)
	s_mov_b32 m0, ttmp2
.LBB6_12788:                            ; =>This Inner Loop Header: Depth=1
	s_sethalt 5
	s_branch .LBB6_12788
.LBB6_12789:
	s_trap 2
	s_sendmsg_rtn_b32 s0, sendmsg(MSG_RTN_GET_DOORBELL)
	s_mov_b32 ttmp2, m0
	s_waitcnt lgkmcnt(0)
	s_and_b32 s0, s0, 0x3ff
	s_delay_alu instid0(SALU_CYCLE_1) | instskip(NEXT) | instid1(SALU_CYCLE_1)
	s_bitset1_b32 s0, 10
	s_mov_b32 m0, s0
	s_sendmsg sendmsg(MSG_INTERRUPT)
	s_mov_b32 m0, ttmp2
.LBB6_12790:                            ; =>This Inner Loop Header: Depth=1
	s_sethalt 5
	s_branch .LBB6_12790
.LBB6_12791:
	s_trap 2
	s_sendmsg_rtn_b32 s0, sendmsg(MSG_RTN_GET_DOORBELL)
	s_mov_b32 ttmp2, m0
	s_waitcnt lgkmcnt(0)
	s_and_b32 s0, s0, 0x3ff
	s_delay_alu instid0(SALU_CYCLE_1) | instskip(NEXT) | instid1(SALU_CYCLE_1)
	s_bitset1_b32 s0, 10
	s_mov_b32 m0, s0
	s_sendmsg sendmsg(MSG_INTERRUPT)
	s_mov_b32 m0, ttmp2
.LBB6_12792:                            ; =>This Inner Loop Header: Depth=1
	s_sethalt 5
	s_branch .LBB6_12792
.LBB6_12793:
	s_trap 2
	s_sendmsg_rtn_b32 s0, sendmsg(MSG_RTN_GET_DOORBELL)
	s_mov_b32 ttmp2, m0
	s_waitcnt lgkmcnt(0)
	s_and_b32 s0, s0, 0x3ff
	s_delay_alu instid0(SALU_CYCLE_1) | instskip(NEXT) | instid1(SALU_CYCLE_1)
	s_bitset1_b32 s0, 10
	s_mov_b32 m0, s0
	s_sendmsg sendmsg(MSG_INTERRUPT)
	s_mov_b32 m0, ttmp2
.LBB6_12794:                            ; =>This Inner Loop Header: Depth=1
	s_sethalt 5
	s_branch .LBB6_12794
.LBB6_12795:
	s_trap 2
	s_sendmsg_rtn_b32 s0, sendmsg(MSG_RTN_GET_DOORBELL)
	s_mov_b32 ttmp2, m0
	s_waitcnt lgkmcnt(0)
	s_and_b32 s0, s0, 0x3ff
	s_delay_alu instid0(SALU_CYCLE_1) | instskip(NEXT) | instid1(SALU_CYCLE_1)
	s_bitset1_b32 s0, 10
	s_mov_b32 m0, s0
	s_sendmsg sendmsg(MSG_INTERRUPT)
	s_mov_b32 m0, ttmp2
.LBB6_12796:                            ; =>This Inner Loop Header: Depth=1
	s_sethalt 5
	s_branch .LBB6_12796
.LBB6_12797:
	s_trap 2
	s_sendmsg_rtn_b32 s0, sendmsg(MSG_RTN_GET_DOORBELL)
	s_mov_b32 ttmp2, m0
	s_waitcnt lgkmcnt(0)
	s_and_b32 s0, s0, 0x3ff
	s_delay_alu instid0(SALU_CYCLE_1) | instskip(NEXT) | instid1(SALU_CYCLE_1)
	s_bitset1_b32 s0, 10
	s_mov_b32 m0, s0
	s_sendmsg sendmsg(MSG_INTERRUPT)
	s_mov_b32 m0, ttmp2
.LBB6_12798:                            ; =>This Inner Loop Header: Depth=1
	s_sethalt 5
	s_branch .LBB6_12798
.LBB6_12799:
	s_trap 2
	s_sendmsg_rtn_b32 s0, sendmsg(MSG_RTN_GET_DOORBELL)
	s_mov_b32 ttmp2, m0
	s_waitcnt lgkmcnt(0)
	s_and_b32 s0, s0, 0x3ff
	s_delay_alu instid0(SALU_CYCLE_1) | instskip(NEXT) | instid1(SALU_CYCLE_1)
	s_bitset1_b32 s0, 10
	s_mov_b32 m0, s0
	s_sendmsg sendmsg(MSG_INTERRUPT)
	s_mov_b32 m0, ttmp2
.LBB6_12800:                            ; =>This Inner Loop Header: Depth=1
	s_sethalt 5
	s_branch .LBB6_12800
.LBB6_12801:
	s_trap 2
	s_sendmsg_rtn_b32 s0, sendmsg(MSG_RTN_GET_DOORBELL)
	s_mov_b32 ttmp2, m0
	s_waitcnt lgkmcnt(0)
	s_and_b32 s0, s0, 0x3ff
	s_delay_alu instid0(SALU_CYCLE_1) | instskip(NEXT) | instid1(SALU_CYCLE_1)
	s_bitset1_b32 s0, 10
	s_mov_b32 m0, s0
	s_sendmsg sendmsg(MSG_INTERRUPT)
	s_mov_b32 m0, ttmp2
.LBB6_12802:                            ; =>This Inner Loop Header: Depth=1
	s_sethalt 5
	s_branch .LBB6_12802
.LBB6_12803:
	s_trap 2
	s_sendmsg_rtn_b32 s0, sendmsg(MSG_RTN_GET_DOORBELL)
	s_mov_b32 ttmp2, m0
	s_waitcnt lgkmcnt(0)
	s_and_b32 s0, s0, 0x3ff
	s_delay_alu instid0(SALU_CYCLE_1) | instskip(NEXT) | instid1(SALU_CYCLE_1)
	s_bitset1_b32 s0, 10
	s_mov_b32 m0, s0
	s_sendmsg sendmsg(MSG_INTERRUPT)
	s_mov_b32 m0, ttmp2
.LBB6_12804:                            ; =>This Inner Loop Header: Depth=1
	s_sethalt 5
	s_branch .LBB6_12804
.LBB6_12805:
	s_trap 2
	s_sendmsg_rtn_b32 s0, sendmsg(MSG_RTN_GET_DOORBELL)
	s_mov_b32 ttmp2, m0
	s_waitcnt lgkmcnt(0)
	s_and_b32 s0, s0, 0x3ff
	s_delay_alu instid0(SALU_CYCLE_1) | instskip(NEXT) | instid1(SALU_CYCLE_1)
	s_bitset1_b32 s0, 10
	s_mov_b32 m0, s0
	s_sendmsg sendmsg(MSG_INTERRUPT)
	s_mov_b32 m0, ttmp2
.LBB6_12806:                            ; =>This Inner Loop Header: Depth=1
	s_sethalt 5
	s_branch .LBB6_12806
.LBB6_12807:
	s_trap 2
	s_sendmsg_rtn_b32 s0, sendmsg(MSG_RTN_GET_DOORBELL)
	s_mov_b32 ttmp2, m0
	s_waitcnt lgkmcnt(0)
	s_and_b32 s0, s0, 0x3ff
	s_delay_alu instid0(SALU_CYCLE_1) | instskip(NEXT) | instid1(SALU_CYCLE_1)
	s_bitset1_b32 s0, 10
	s_mov_b32 m0, s0
	s_sendmsg sendmsg(MSG_INTERRUPT)
	s_mov_b32 m0, ttmp2
.LBB6_12808:                            ; =>This Inner Loop Header: Depth=1
	s_sethalt 5
	s_branch .LBB6_12808
.LBB6_12809:
	s_trap 2
	s_sendmsg_rtn_b32 s0, sendmsg(MSG_RTN_GET_DOORBELL)
	s_mov_b32 ttmp2, m0
	s_waitcnt lgkmcnt(0)
	s_and_b32 s0, s0, 0x3ff
	s_delay_alu instid0(SALU_CYCLE_1) | instskip(NEXT) | instid1(SALU_CYCLE_1)
	s_bitset1_b32 s0, 10
	s_mov_b32 m0, s0
	s_sendmsg sendmsg(MSG_INTERRUPT)
	s_mov_b32 m0, ttmp2
.LBB6_12810:                            ; =>This Inner Loop Header: Depth=1
	s_sethalt 5
	s_branch .LBB6_12810
.LBB6_12811:
	s_trap 2
	s_sendmsg_rtn_b32 s0, sendmsg(MSG_RTN_GET_DOORBELL)
	s_mov_b32 ttmp2, m0
	s_waitcnt lgkmcnt(0)
	s_and_b32 s0, s0, 0x3ff
	s_delay_alu instid0(SALU_CYCLE_1) | instskip(NEXT) | instid1(SALU_CYCLE_1)
	s_bitset1_b32 s0, 10
	s_mov_b32 m0, s0
	s_sendmsg sendmsg(MSG_INTERRUPT)
	s_mov_b32 m0, ttmp2
.LBB6_12812:                            ; =>This Inner Loop Header: Depth=1
	s_sethalt 5
	s_branch .LBB6_12812
.LBB6_12813:
	s_trap 2
	s_sendmsg_rtn_b32 s0, sendmsg(MSG_RTN_GET_DOORBELL)
	s_mov_b32 ttmp2, m0
	s_waitcnt lgkmcnt(0)
	s_and_b32 s0, s0, 0x3ff
	s_delay_alu instid0(SALU_CYCLE_1) | instskip(NEXT) | instid1(SALU_CYCLE_1)
	s_bitset1_b32 s0, 10
	s_mov_b32 m0, s0
	s_sendmsg sendmsg(MSG_INTERRUPT)
	s_mov_b32 m0, ttmp2
.LBB6_12814:                            ; =>This Inner Loop Header: Depth=1
	s_sethalt 5
	s_branch .LBB6_12814
.LBB6_12815:
	s_trap 2
	s_sendmsg_rtn_b32 s0, sendmsg(MSG_RTN_GET_DOORBELL)
	s_mov_b32 ttmp2, m0
	s_waitcnt lgkmcnt(0)
	s_and_b32 s0, s0, 0x3ff
	s_delay_alu instid0(SALU_CYCLE_1) | instskip(NEXT) | instid1(SALU_CYCLE_1)
	s_bitset1_b32 s0, 10
	s_mov_b32 m0, s0
	s_sendmsg sendmsg(MSG_INTERRUPT)
	s_mov_b32 m0, ttmp2
.LBB6_12816:                            ; =>This Inner Loop Header: Depth=1
	s_sethalt 5
	s_branch .LBB6_12816
.LBB6_12817:
	s_trap 2
	s_sendmsg_rtn_b32 s0, sendmsg(MSG_RTN_GET_DOORBELL)
	s_mov_b32 ttmp2, m0
	s_waitcnt lgkmcnt(0)
	s_and_b32 s0, s0, 0x3ff
	s_delay_alu instid0(SALU_CYCLE_1) | instskip(NEXT) | instid1(SALU_CYCLE_1)
	s_bitset1_b32 s0, 10
	s_mov_b32 m0, s0
	s_sendmsg sendmsg(MSG_INTERRUPT)
	s_mov_b32 m0, ttmp2
.LBB6_12818:                            ; =>This Inner Loop Header: Depth=1
	s_sethalt 5
	s_branch .LBB6_12818
.LBB6_12819:
	s_trap 2
	s_sendmsg_rtn_b32 s0, sendmsg(MSG_RTN_GET_DOORBELL)
	s_mov_b32 ttmp2, m0
	s_waitcnt lgkmcnt(0)
	s_and_b32 s0, s0, 0x3ff
	s_delay_alu instid0(SALU_CYCLE_1) | instskip(NEXT) | instid1(SALU_CYCLE_1)
	s_bitset1_b32 s0, 10
	s_mov_b32 m0, s0
	s_sendmsg sendmsg(MSG_INTERRUPT)
	s_mov_b32 m0, ttmp2
.LBB6_12820:                            ; =>This Inner Loop Header: Depth=1
	s_sethalt 5
	s_branch .LBB6_12820
.LBB6_12821:
	s_trap 2
	s_sendmsg_rtn_b32 s0, sendmsg(MSG_RTN_GET_DOORBELL)
	s_mov_b32 ttmp2, m0
	s_waitcnt lgkmcnt(0)
	s_and_b32 s0, s0, 0x3ff
	s_delay_alu instid0(SALU_CYCLE_1) | instskip(NEXT) | instid1(SALU_CYCLE_1)
	s_bitset1_b32 s0, 10
	s_mov_b32 m0, s0
	s_sendmsg sendmsg(MSG_INTERRUPT)
	s_mov_b32 m0, ttmp2
.LBB6_12822:                            ; =>This Inner Loop Header: Depth=1
	s_sethalt 5
	s_branch .LBB6_12822
.LBB6_12823:
	s_trap 2
	s_sendmsg_rtn_b32 s0, sendmsg(MSG_RTN_GET_DOORBELL)
	s_mov_b32 ttmp2, m0
	s_waitcnt lgkmcnt(0)
	s_and_b32 s0, s0, 0x3ff
	s_delay_alu instid0(SALU_CYCLE_1) | instskip(NEXT) | instid1(SALU_CYCLE_1)
	s_bitset1_b32 s0, 10
	s_mov_b32 m0, s0
	s_sendmsg sendmsg(MSG_INTERRUPT)
	s_mov_b32 m0, ttmp2
.LBB6_12824:                            ; =>This Inner Loop Header: Depth=1
	s_sethalt 5
	s_branch .LBB6_12824
.LBB6_12825:
	s_trap 2
	s_sendmsg_rtn_b32 s0, sendmsg(MSG_RTN_GET_DOORBELL)
	s_mov_b32 ttmp2, m0
	s_waitcnt lgkmcnt(0)
	s_and_b32 s0, s0, 0x3ff
	s_delay_alu instid0(SALU_CYCLE_1) | instskip(NEXT) | instid1(SALU_CYCLE_1)
	s_bitset1_b32 s0, 10
	s_mov_b32 m0, s0
	s_sendmsg sendmsg(MSG_INTERRUPT)
	s_mov_b32 m0, ttmp2
.LBB6_12826:                            ; =>This Inner Loop Header: Depth=1
	s_sethalt 5
	s_branch .LBB6_12826
.LBB6_12827:
	s_trap 2
	s_sendmsg_rtn_b32 s0, sendmsg(MSG_RTN_GET_DOORBELL)
	s_mov_b32 ttmp2, m0
	s_waitcnt lgkmcnt(0)
	s_and_b32 s0, s0, 0x3ff
	s_delay_alu instid0(SALU_CYCLE_1) | instskip(NEXT) | instid1(SALU_CYCLE_1)
	s_bitset1_b32 s0, 10
	s_mov_b32 m0, s0
	s_sendmsg sendmsg(MSG_INTERRUPT)
	s_mov_b32 m0, ttmp2
.LBB6_12828:                            ; =>This Inner Loop Header: Depth=1
	s_sethalt 5
	s_branch .LBB6_12828
.LBB6_12829:
	s_trap 2
	s_sendmsg_rtn_b32 s0, sendmsg(MSG_RTN_GET_DOORBELL)
	s_mov_b32 ttmp2, m0
	s_waitcnt lgkmcnt(0)
	s_and_b32 s0, s0, 0x3ff
	s_delay_alu instid0(SALU_CYCLE_1) | instskip(NEXT) | instid1(SALU_CYCLE_1)
	s_bitset1_b32 s0, 10
	s_mov_b32 m0, s0
	s_sendmsg sendmsg(MSG_INTERRUPT)
	s_mov_b32 m0, ttmp2
.LBB6_12830:                            ; =>This Inner Loop Header: Depth=1
	s_sethalt 5
	s_branch .LBB6_12830
.LBB6_12831:
	s_trap 2
	s_sendmsg_rtn_b32 s0, sendmsg(MSG_RTN_GET_DOORBELL)
	s_mov_b32 ttmp2, m0
	s_waitcnt lgkmcnt(0)
	s_and_b32 s0, s0, 0x3ff
	s_delay_alu instid0(SALU_CYCLE_1) | instskip(NEXT) | instid1(SALU_CYCLE_1)
	s_bitset1_b32 s0, 10
	s_mov_b32 m0, s0
	s_sendmsg sendmsg(MSG_INTERRUPT)
	s_mov_b32 m0, ttmp2
.LBB6_12832:                            ; =>This Inner Loop Header: Depth=1
	s_sethalt 5
	s_branch .LBB6_12832
.LBB6_12833:
	s_trap 2
	s_sendmsg_rtn_b32 s0, sendmsg(MSG_RTN_GET_DOORBELL)
	s_mov_b32 ttmp2, m0
	s_waitcnt lgkmcnt(0)
	s_and_b32 s0, s0, 0x3ff
	s_delay_alu instid0(SALU_CYCLE_1) | instskip(NEXT) | instid1(SALU_CYCLE_1)
	s_bitset1_b32 s0, 10
	s_mov_b32 m0, s0
	s_sendmsg sendmsg(MSG_INTERRUPT)
	s_mov_b32 m0, ttmp2
.LBB6_12834:                            ; =>This Inner Loop Header: Depth=1
	s_sethalt 5
	s_branch .LBB6_12834
.LBB6_12835:
	s_trap 2
	s_sendmsg_rtn_b32 s0, sendmsg(MSG_RTN_GET_DOORBELL)
	s_mov_b32 ttmp2, m0
	s_waitcnt lgkmcnt(0)
	s_and_b32 s0, s0, 0x3ff
	s_delay_alu instid0(SALU_CYCLE_1) | instskip(NEXT) | instid1(SALU_CYCLE_1)
	s_bitset1_b32 s0, 10
	s_mov_b32 m0, s0
	s_sendmsg sendmsg(MSG_INTERRUPT)
	s_mov_b32 m0, ttmp2
.LBB6_12836:                            ; =>This Inner Loop Header: Depth=1
	s_sethalt 5
	s_branch .LBB6_12836
.LBB6_12837:
	s_trap 2
	s_sendmsg_rtn_b32 s0, sendmsg(MSG_RTN_GET_DOORBELL)
	s_mov_b32 ttmp2, m0
	s_waitcnt lgkmcnt(0)
	s_and_b32 s0, s0, 0x3ff
	s_delay_alu instid0(SALU_CYCLE_1) | instskip(NEXT) | instid1(SALU_CYCLE_1)
	s_bitset1_b32 s0, 10
	s_mov_b32 m0, s0
	s_sendmsg sendmsg(MSG_INTERRUPT)
	s_mov_b32 m0, ttmp2
.LBB6_12838:                            ; =>This Inner Loop Header: Depth=1
	s_sethalt 5
	s_branch .LBB6_12838
.LBB6_12839:
	s_trap 2
	s_sendmsg_rtn_b32 s0, sendmsg(MSG_RTN_GET_DOORBELL)
	s_mov_b32 ttmp2, m0
	s_waitcnt lgkmcnt(0)
	s_and_b32 s0, s0, 0x3ff
	s_delay_alu instid0(SALU_CYCLE_1) | instskip(NEXT) | instid1(SALU_CYCLE_1)
	s_bitset1_b32 s0, 10
	s_mov_b32 m0, s0
	s_sendmsg sendmsg(MSG_INTERRUPT)
	s_mov_b32 m0, ttmp2
.LBB6_12840:                            ; =>This Inner Loop Header: Depth=1
	s_sethalt 5
	s_branch .LBB6_12840
.LBB6_12841:
	s_trap 2
	s_sendmsg_rtn_b32 s0, sendmsg(MSG_RTN_GET_DOORBELL)
	s_mov_b32 ttmp2, m0
	s_waitcnt lgkmcnt(0)
	s_and_b32 s0, s0, 0x3ff
	s_delay_alu instid0(SALU_CYCLE_1) | instskip(NEXT) | instid1(SALU_CYCLE_1)
	s_bitset1_b32 s0, 10
	s_mov_b32 m0, s0
	s_sendmsg sendmsg(MSG_INTERRUPT)
	s_mov_b32 m0, ttmp2
.LBB6_12842:                            ; =>This Inner Loop Header: Depth=1
	s_sethalt 5
	s_branch .LBB6_12842
.LBB6_12843:
	s_trap 2
	s_sendmsg_rtn_b32 s0, sendmsg(MSG_RTN_GET_DOORBELL)
	s_mov_b32 ttmp2, m0
	s_waitcnt lgkmcnt(0)
	s_and_b32 s0, s0, 0x3ff
	s_delay_alu instid0(SALU_CYCLE_1) | instskip(NEXT) | instid1(SALU_CYCLE_1)
	s_bitset1_b32 s0, 10
	s_mov_b32 m0, s0
	s_sendmsg sendmsg(MSG_INTERRUPT)
	s_mov_b32 m0, ttmp2
.LBB6_12844:                            ; =>This Inner Loop Header: Depth=1
	s_sethalt 5
	s_branch .LBB6_12844
.LBB6_12845:
	s_trap 2
	s_sendmsg_rtn_b32 s0, sendmsg(MSG_RTN_GET_DOORBELL)
	s_mov_b32 ttmp2, m0
	s_waitcnt lgkmcnt(0)
	s_and_b32 s0, s0, 0x3ff
	s_delay_alu instid0(SALU_CYCLE_1) | instskip(NEXT) | instid1(SALU_CYCLE_1)
	s_bitset1_b32 s0, 10
	s_mov_b32 m0, s0
	s_sendmsg sendmsg(MSG_INTERRUPT)
	s_mov_b32 m0, ttmp2
.LBB6_12846:                            ; =>This Inner Loop Header: Depth=1
	s_sethalt 5
	s_branch .LBB6_12846
.LBB6_12847:
	s_trap 2
	s_sendmsg_rtn_b32 s0, sendmsg(MSG_RTN_GET_DOORBELL)
	s_mov_b32 ttmp2, m0
	s_waitcnt lgkmcnt(0)
	s_and_b32 s0, s0, 0x3ff
	s_delay_alu instid0(SALU_CYCLE_1) | instskip(NEXT) | instid1(SALU_CYCLE_1)
	s_bitset1_b32 s0, 10
	s_mov_b32 m0, s0
	s_sendmsg sendmsg(MSG_INTERRUPT)
	s_mov_b32 m0, ttmp2
.LBB6_12848:                            ; =>This Inner Loop Header: Depth=1
	s_sethalt 5
	s_branch .LBB6_12848
.LBB6_12849:
	s_trap 2
	s_sendmsg_rtn_b32 s0, sendmsg(MSG_RTN_GET_DOORBELL)
	s_mov_b32 ttmp2, m0
	s_waitcnt lgkmcnt(0)
	s_and_b32 s0, s0, 0x3ff
	s_delay_alu instid0(SALU_CYCLE_1) | instskip(NEXT) | instid1(SALU_CYCLE_1)
	s_bitset1_b32 s0, 10
	s_mov_b32 m0, s0
	s_sendmsg sendmsg(MSG_INTERRUPT)
	s_mov_b32 m0, ttmp2
.LBB6_12850:                            ; =>This Inner Loop Header: Depth=1
	s_sethalt 5
	s_branch .LBB6_12850
.LBB6_12851:
	s_trap 2
	s_sendmsg_rtn_b32 s0, sendmsg(MSG_RTN_GET_DOORBELL)
	s_mov_b32 ttmp2, m0
	s_waitcnt lgkmcnt(0)
	s_and_b32 s0, s0, 0x3ff
	s_delay_alu instid0(SALU_CYCLE_1) | instskip(NEXT) | instid1(SALU_CYCLE_1)
	s_bitset1_b32 s0, 10
	s_mov_b32 m0, s0
	s_sendmsg sendmsg(MSG_INTERRUPT)
	s_mov_b32 m0, ttmp2
.LBB6_12852:                            ; =>This Inner Loop Header: Depth=1
	s_sethalt 5
	s_branch .LBB6_12852
.LBB6_12853:
	s_or_b32 exec_lo, exec_lo, s4
	s_and_saveexec_b32 s4, s5
	s_delay_alu instid0(SALU_CYCLE_1)
	s_xor_b32 s4, exec_lo, s4
	s_cbranch_execz .LBB6_12855
; %bb.12854:
	v_mov_b32_e32 v0, 1
	ds_store_b32 v0, v0
	s_cbranch_execnz .LBB6_12907
.LBB6_12855:
	s_or_b32 exec_lo, exec_lo, s3
	;;#ASMSTART
	s_wakeup
	;;#ASMEND
.LBB6_12856:
	s_or_b32 exec_lo, exec_lo, s2
.LBB6_12857:
	s_and_not1_saveexec_b32 s1, s1
	s_cbranch_execz .LBB6_12859
; %bb.12858:
	s_waitcnt lgkmcnt(0)
	s_waitcnt_vscnt null, 0x0
	buffer_gl1_inv
	buffer_gl0_inv
	s_barrier
.LBB6_12859:
	s_or_b32 exec_lo, exec_lo, s0
.LBB6_12860:
	s_and_not1_saveexec_b32 s21, s13
	s_cbranch_execz .LBB6_12862
; %bb.12861:
	s_getpc_b64 s[0:1]
	s_add_u32 s0, s0, __PRETTY_FUNCTION__._ZN10PrimitivesI11rccl_float813FuncPreMulSumIS0_E12FanSymmetricILi1EELi0E11ProtoSimpleILi1ELi1ELi0ELi4ELi0ELi0EELi0ELb0ELi0ELi0ELi0EEC2EiiPKiS9_PKvPvmhhhP15ncclDevWorkCollP14ncclDevWorkP2pii@rel32@lo+4
	s_addc_u32 s1, s1, __PRETTY_FUNCTION__._ZN10PrimitivesI11rccl_float813FuncPreMulSumIS0_E12FanSymmetricILi1EELi0E11ProtoSimpleILi1ELi1ELi0ELi4ELi0ELi0EELi0ELb0ELi0ELi0ELi0EEC2EiiPKiS9_PKvPvmhhhP15ncclDevWorkCollP14ncclDevWorkP2pii@rel32@hi+12
	s_delay_alu instid0(SALU_CYCLE_1) | instskip(SKIP_3) | instid1(SALU_CYCLE_1)
	v_dual_mov_b32 v0, s0 :: v_dual_mov_b32 v1, s1
	s_getpc_b64 s[2:3]
	s_add_u32 s2, s2, __assert_fail@rel32@lo+4
	s_addc_u32 s3, s3, __assert_fail@rel32@hi+12
	s_swappc_b64 s[30:31], s[2:3]
	; divergent unreachable
.LBB6_12862:
	s_or_b32 exec_lo, exec_lo, s21
	s_clause 0x1f
	scratch_load_b32 v190, off, s33
	scratch_load_b32 v189, off, s33 offset:4
	scratch_load_b32 v188, off, s33 offset:8
	;; [unrolled: 1-line block ×31, first 2 shown]
	s_clause 0x1f
	scratch_load_b32 v126, off, s33 offset:128
	scratch_load_b32 v125, off, s33 offset:132
	;; [unrolled: 1-line block ×32, first 2 shown]
	s_clause 0xe
	scratch_load_b32 v62, off, s33 offset:256
	scratch_load_b32 v61, off, s33 offset:260
	;; [unrolled: 1-line block ×15, first 2 shown]
	v_readlane_b32 s30, v191, 0
	v_readlane_b32 s31, v191, 1
	;; [unrolled: 1-line block ×3, first 2 shown]
	s_or_saveexec_b32 s1, -1
	scratch_load_b32 v191, off, s33 offset:444 ; 4-byte Folded Reload
	s_mov_b32 exec_lo, s1
	s_addk_i32 s32, 0xfe30
	s_mov_b32 s33, s0
	s_waitcnt vmcnt(0) lgkmcnt(0)
	s_setpc_b64 s[30:31]
.LBB6_12863:
	s_trap 2
	s_sendmsg_rtn_b32 s0, sendmsg(MSG_RTN_GET_DOORBELL)
	s_mov_b32 ttmp2, m0
	s_waitcnt lgkmcnt(0)
	s_and_b32 s0, s0, 0x3ff
	s_delay_alu instid0(SALU_CYCLE_1) | instskip(NEXT) | instid1(SALU_CYCLE_1)
	s_bitset1_b32 s0, 10
	s_mov_b32 m0, s0
	s_sendmsg sendmsg(MSG_INTERRUPT)
	s_mov_b32 m0, ttmp2
.LBB6_12864:                            ; =>This Inner Loop Header: Depth=1
	s_sethalt 5
	s_branch .LBB6_12864
.LBB6_12865:
	s_trap 2
	s_sendmsg_rtn_b32 s0, sendmsg(MSG_RTN_GET_DOORBELL)
	s_mov_b32 ttmp2, m0
	s_waitcnt lgkmcnt(0)
	s_and_b32 s0, s0, 0x3ff
	s_delay_alu instid0(SALU_CYCLE_1) | instskip(NEXT) | instid1(SALU_CYCLE_1)
	s_bitset1_b32 s0, 10
	s_mov_b32 m0, s0
	s_sendmsg sendmsg(MSG_INTERRUPT)
	s_mov_b32 m0, ttmp2
.LBB6_12866:                            ; =>This Inner Loop Header: Depth=1
	s_sethalt 5
	s_branch .LBB6_12866
.LBB6_12867:
	s_trap 2
	s_sendmsg_rtn_b32 s0, sendmsg(MSG_RTN_GET_DOORBELL)
	s_mov_b32 ttmp2, m0
	s_waitcnt lgkmcnt(0)
	s_and_b32 s0, s0, 0x3ff
	s_delay_alu instid0(SALU_CYCLE_1) | instskip(NEXT) | instid1(SALU_CYCLE_1)
	s_bitset1_b32 s0, 10
	s_mov_b32 m0, s0
	s_sendmsg sendmsg(MSG_INTERRUPT)
	s_mov_b32 m0, ttmp2
.LBB6_12868:                            ; =>This Inner Loop Header: Depth=1
	s_sethalt 5
	s_branch .LBB6_12868
.LBB6_12869:
	s_trap 2
	s_sendmsg_rtn_b32 s0, sendmsg(MSG_RTN_GET_DOORBELL)
	s_mov_b32 ttmp2, m0
	s_waitcnt lgkmcnt(0)
	s_and_b32 s0, s0, 0x3ff
	s_delay_alu instid0(SALU_CYCLE_1) | instskip(NEXT) | instid1(SALU_CYCLE_1)
	s_bitset1_b32 s0, 10
	s_mov_b32 m0, s0
	s_sendmsg sendmsg(MSG_INTERRUPT)
	s_mov_b32 m0, ttmp2
.LBB6_12870:                            ; =>This Inner Loop Header: Depth=1
	s_sethalt 5
	s_branch .LBB6_12870
.LBB6_12871:
	s_trap 2
	s_sendmsg_rtn_b32 s0, sendmsg(MSG_RTN_GET_DOORBELL)
	s_mov_b32 ttmp2, m0
	s_waitcnt lgkmcnt(0)
	s_and_b32 s0, s0, 0x3ff
	s_delay_alu instid0(SALU_CYCLE_1) | instskip(NEXT) | instid1(SALU_CYCLE_1)
	s_bitset1_b32 s0, 10
	s_mov_b32 m0, s0
	s_sendmsg sendmsg(MSG_INTERRUPT)
	s_mov_b32 m0, ttmp2
.LBB6_12872:                            ; =>This Inner Loop Header: Depth=1
	s_sethalt 5
	s_branch .LBB6_12872
.LBB6_12873:
	s_trap 2
	s_sendmsg_rtn_b32 s0, sendmsg(MSG_RTN_GET_DOORBELL)
	s_mov_b32 ttmp2, m0
	s_waitcnt lgkmcnt(0)
	s_and_b32 s0, s0, 0x3ff
	s_delay_alu instid0(SALU_CYCLE_1) | instskip(NEXT) | instid1(SALU_CYCLE_1)
	s_bitset1_b32 s0, 10
	s_mov_b32 m0, s0
	s_sendmsg sendmsg(MSG_INTERRUPT)
	s_mov_b32 m0, ttmp2
.LBB6_12874:                            ; =>This Inner Loop Header: Depth=1
	s_sethalt 5
	s_branch .LBB6_12874
.LBB6_12875:
	s_trap 2
	s_sendmsg_rtn_b32 s0, sendmsg(MSG_RTN_GET_DOORBELL)
	s_mov_b32 ttmp2, m0
	s_waitcnt lgkmcnt(0)
	s_and_b32 s0, s0, 0x3ff
	s_delay_alu instid0(SALU_CYCLE_1) | instskip(NEXT) | instid1(SALU_CYCLE_1)
	s_bitset1_b32 s0, 10
	s_mov_b32 m0, s0
	s_sendmsg sendmsg(MSG_INTERRUPT)
	s_mov_b32 m0, ttmp2
.LBB6_12876:                            ; =>This Inner Loop Header: Depth=1
	s_sethalt 5
	s_branch .LBB6_12876
.LBB6_12877:
	s_trap 2
	s_sendmsg_rtn_b32 s0, sendmsg(MSG_RTN_GET_DOORBELL)
	s_mov_b32 ttmp2, m0
	s_waitcnt lgkmcnt(0)
	s_and_b32 s0, s0, 0x3ff
	s_delay_alu instid0(SALU_CYCLE_1) | instskip(NEXT) | instid1(SALU_CYCLE_1)
	s_bitset1_b32 s0, 10
	s_mov_b32 m0, s0
	s_sendmsg sendmsg(MSG_INTERRUPT)
	s_mov_b32 m0, ttmp2
.LBB6_12878:                            ; =>This Inner Loop Header: Depth=1
	s_sethalt 5
	s_branch .LBB6_12878
.LBB6_12879:
	s_trap 2
	s_sendmsg_rtn_b32 s0, sendmsg(MSG_RTN_GET_DOORBELL)
	s_mov_b32 ttmp2, m0
	s_waitcnt lgkmcnt(0)
	s_and_b32 s0, s0, 0x3ff
	s_delay_alu instid0(SALU_CYCLE_1) | instskip(NEXT) | instid1(SALU_CYCLE_1)
	s_bitset1_b32 s0, 10
	s_mov_b32 m0, s0
	s_sendmsg sendmsg(MSG_INTERRUPT)
	s_mov_b32 m0, ttmp2
.LBB6_12880:                            ; =>This Inner Loop Header: Depth=1
	s_sethalt 5
	s_branch .LBB6_12880
.LBB6_12881:
	s_trap 2
	s_sendmsg_rtn_b32 s0, sendmsg(MSG_RTN_GET_DOORBELL)
	s_mov_b32 ttmp2, m0
	s_waitcnt lgkmcnt(0)
	s_and_b32 s0, s0, 0x3ff
	s_delay_alu instid0(SALU_CYCLE_1) | instskip(NEXT) | instid1(SALU_CYCLE_1)
	s_bitset1_b32 s0, 10
	s_mov_b32 m0, s0
	s_sendmsg sendmsg(MSG_INTERRUPT)
	s_mov_b32 m0, ttmp2
.LBB6_12882:                            ; =>This Inner Loop Header: Depth=1
	s_sethalt 5
	s_branch .LBB6_12882
.LBB6_12883:
	s_trap 2
	s_sendmsg_rtn_b32 s0, sendmsg(MSG_RTN_GET_DOORBELL)
	s_mov_b32 ttmp2, m0
	s_waitcnt lgkmcnt(0)
	s_and_b32 s0, s0, 0x3ff
	s_delay_alu instid0(SALU_CYCLE_1) | instskip(NEXT) | instid1(SALU_CYCLE_1)
	s_bitset1_b32 s0, 10
	s_mov_b32 m0, s0
	s_sendmsg sendmsg(MSG_INTERRUPT)
	s_mov_b32 m0, ttmp2
.LBB6_12884:                            ; =>This Inner Loop Header: Depth=1
	s_sethalt 5
	s_branch .LBB6_12884
.LBB6_12885:
	s_trap 2
	s_sendmsg_rtn_b32 s0, sendmsg(MSG_RTN_GET_DOORBELL)
	s_mov_b32 ttmp2, m0
	s_waitcnt lgkmcnt(0)
	s_and_b32 s0, s0, 0x3ff
	s_delay_alu instid0(SALU_CYCLE_1) | instskip(NEXT) | instid1(SALU_CYCLE_1)
	s_bitset1_b32 s0, 10
	s_mov_b32 m0, s0
	s_sendmsg sendmsg(MSG_INTERRUPT)
	s_mov_b32 m0, ttmp2
.LBB6_12886:                            ; =>This Inner Loop Header: Depth=1
	s_sethalt 5
	s_branch .LBB6_12886
.LBB6_12887:
	s_trap 2
	s_sendmsg_rtn_b32 s0, sendmsg(MSG_RTN_GET_DOORBELL)
	s_mov_b32 ttmp2, m0
	s_waitcnt lgkmcnt(0)
	s_and_b32 s0, s0, 0x3ff
	s_delay_alu instid0(SALU_CYCLE_1) | instskip(NEXT) | instid1(SALU_CYCLE_1)
	s_bitset1_b32 s0, 10
	s_mov_b32 m0, s0
	s_sendmsg sendmsg(MSG_INTERRUPT)
	s_mov_b32 m0, ttmp2
.LBB6_12888:                            ; =>This Inner Loop Header: Depth=1
	s_sethalt 5
	s_branch .LBB6_12888
.LBB6_12889:
	s_trap 2
	s_sendmsg_rtn_b32 s0, sendmsg(MSG_RTN_GET_DOORBELL)
	s_mov_b32 ttmp2, m0
	s_waitcnt lgkmcnt(0)
	s_and_b32 s0, s0, 0x3ff
	s_delay_alu instid0(SALU_CYCLE_1) | instskip(NEXT) | instid1(SALU_CYCLE_1)
	s_bitset1_b32 s0, 10
	s_mov_b32 m0, s0
	s_sendmsg sendmsg(MSG_INTERRUPT)
	s_mov_b32 m0, ttmp2
.LBB6_12890:                            ; =>This Inner Loop Header: Depth=1
	s_sethalt 5
	s_branch .LBB6_12890
.LBB6_12891:
	s_trap 2
	s_sendmsg_rtn_b32 s0, sendmsg(MSG_RTN_GET_DOORBELL)
	s_mov_b32 ttmp2, m0
	s_waitcnt lgkmcnt(0)
	s_and_b32 s0, s0, 0x3ff
	s_delay_alu instid0(SALU_CYCLE_1) | instskip(NEXT) | instid1(SALU_CYCLE_1)
	s_bitset1_b32 s0, 10
	s_mov_b32 m0, s0
	s_sendmsg sendmsg(MSG_INTERRUPT)
	s_mov_b32 m0, ttmp2
.LBB6_12892:                            ; =>This Inner Loop Header: Depth=1
	s_sethalt 5
	s_branch .LBB6_12892
.LBB6_12893:
	s_trap 2
	s_sendmsg_rtn_b32 s0, sendmsg(MSG_RTN_GET_DOORBELL)
	s_mov_b32 ttmp2, m0
	s_waitcnt lgkmcnt(0)
	s_and_b32 s0, s0, 0x3ff
	s_delay_alu instid0(SALU_CYCLE_1) | instskip(NEXT) | instid1(SALU_CYCLE_1)
	s_bitset1_b32 s0, 10
	s_mov_b32 m0, s0
	s_sendmsg sendmsg(MSG_INTERRUPT)
	s_mov_b32 m0, ttmp2
.LBB6_12894:                            ; =>This Inner Loop Header: Depth=1
	s_sethalt 5
	s_branch .LBB6_12894
.LBB6_12895:
	s_trap 2
	s_sendmsg_rtn_b32 s0, sendmsg(MSG_RTN_GET_DOORBELL)
	s_mov_b32 ttmp2, m0
	s_waitcnt lgkmcnt(0)
	s_and_b32 s0, s0, 0x3ff
	s_delay_alu instid0(SALU_CYCLE_1) | instskip(NEXT) | instid1(SALU_CYCLE_1)
	s_bitset1_b32 s0, 10
	s_mov_b32 m0, s0
	s_sendmsg sendmsg(MSG_INTERRUPT)
	s_mov_b32 m0, ttmp2
.LBB6_12896:                            ; =>This Inner Loop Header: Depth=1
	s_sethalt 5
	s_branch .LBB6_12896
.LBB6_12897:
	s_trap 2
	s_sendmsg_rtn_b32 s0, sendmsg(MSG_RTN_GET_DOORBELL)
	s_mov_b32 ttmp2, m0
	s_waitcnt lgkmcnt(0)
	s_and_b32 s0, s0, 0x3ff
	s_delay_alu instid0(SALU_CYCLE_1) | instskip(NEXT) | instid1(SALU_CYCLE_1)
	s_bitset1_b32 s0, 10
	s_mov_b32 m0, s0
	s_sendmsg sendmsg(MSG_INTERRUPT)
	s_mov_b32 m0, ttmp2
.LBB6_12898:                            ; =>This Inner Loop Header: Depth=1
	s_sethalt 5
	s_branch .LBB6_12898
.LBB6_12899:
	s_trap 2
	s_sendmsg_rtn_b32 s0, sendmsg(MSG_RTN_GET_DOORBELL)
	s_mov_b32 ttmp2, m0
	s_waitcnt lgkmcnt(0)
	s_and_b32 s0, s0, 0x3ff
	s_delay_alu instid0(SALU_CYCLE_1) | instskip(NEXT) | instid1(SALU_CYCLE_1)
	s_bitset1_b32 s0, 10
	s_mov_b32 m0, s0
	s_sendmsg sendmsg(MSG_INTERRUPT)
	s_mov_b32 m0, ttmp2
.LBB6_12900:                            ; =>This Inner Loop Header: Depth=1
	s_sethalt 5
	s_branch .LBB6_12900
.LBB6_12901:
	s_trap 2
	s_sendmsg_rtn_b32 s0, sendmsg(MSG_RTN_GET_DOORBELL)
	s_mov_b32 ttmp2, m0
	s_waitcnt lgkmcnt(0)
	s_and_b32 s0, s0, 0x3ff
	s_delay_alu instid0(SALU_CYCLE_1) | instskip(NEXT) | instid1(SALU_CYCLE_1)
	s_bitset1_b32 s0, 10
	s_mov_b32 m0, s0
	s_sendmsg sendmsg(MSG_INTERRUPT)
	s_mov_b32 m0, ttmp2
.LBB6_12902:                            ; =>This Inner Loop Header: Depth=1
	s_sethalt 5
	s_branch .LBB6_12902
.LBB6_12903:
	s_trap 2
	s_sendmsg_rtn_b32 s0, sendmsg(MSG_RTN_GET_DOORBELL)
	s_mov_b32 ttmp2, m0
	s_waitcnt lgkmcnt(0)
	s_and_b32 s0, s0, 0x3ff
	s_delay_alu instid0(SALU_CYCLE_1) | instskip(NEXT) | instid1(SALU_CYCLE_1)
	s_bitset1_b32 s0, 10
	s_mov_b32 m0, s0
	s_sendmsg sendmsg(MSG_INTERRUPT)
	s_mov_b32 m0, ttmp2
.LBB6_12904:                            ; =>This Inner Loop Header: Depth=1
	s_sethalt 5
	s_branch .LBB6_12904
.LBB6_12905:
	s_trap 2
	s_sendmsg_rtn_b32 s0, sendmsg(MSG_RTN_GET_DOORBELL)
	s_mov_b32 ttmp2, m0
	s_waitcnt lgkmcnt(0)
	s_and_b32 s0, s0, 0x3ff
	s_delay_alu instid0(SALU_CYCLE_1) | instskip(NEXT) | instid1(SALU_CYCLE_1)
	s_bitset1_b32 s0, 10
	s_mov_b32 m0, s0
	s_sendmsg sendmsg(MSG_INTERRUPT)
	s_mov_b32 m0, ttmp2
.LBB6_12906:                            ; =>This Inner Loop Header: Depth=1
	s_sethalt 5
	s_branch .LBB6_12906
.LBB6_12907:
	s_trap 2
	s_sendmsg_rtn_b32 s0, sendmsg(MSG_RTN_GET_DOORBELL)
	s_mov_b32 ttmp2, m0
	s_waitcnt lgkmcnt(0)
	s_and_b32 s0, s0, 0x3ff
	s_delay_alu instid0(SALU_CYCLE_1) | instskip(NEXT) | instid1(SALU_CYCLE_1)
	s_bitset1_b32 s0, 10
	s_mov_b32 m0, s0
	s_sendmsg sendmsg(MSG_INTERRUPT)
	s_mov_b32 m0, ttmp2
.LBB6_12908:                            ; =>This Inner Loop Header: Depth=1
	s_sethalt 5
	s_branch .LBB6_12908
.LBB6_12909:
	s_trap 2
	s_sendmsg_rtn_b32 s0, sendmsg(MSG_RTN_GET_DOORBELL)
	s_mov_b32 ttmp2, m0
	s_waitcnt lgkmcnt(0)
	s_and_b32 s0, s0, 0x3ff
	s_delay_alu instid0(SALU_CYCLE_1) | instskip(NEXT) | instid1(SALU_CYCLE_1)
	s_bitset1_b32 s0, 10
	s_mov_b32 m0, s0
	s_sendmsg sendmsg(MSG_INTERRUPT)
	s_mov_b32 m0, ttmp2
.LBB6_12910:                            ; =>This Inner Loop Header: Depth=1
	s_sethalt 5
	s_branch .LBB6_12910
.LBB6_12911:
	s_trap 2
	s_sendmsg_rtn_b32 s0, sendmsg(MSG_RTN_GET_DOORBELL)
	s_mov_b32 ttmp2, m0
	s_waitcnt lgkmcnt(0)
	s_and_b32 s0, s0, 0x3ff
	s_delay_alu instid0(SALU_CYCLE_1) | instskip(NEXT) | instid1(SALU_CYCLE_1)
	s_bitset1_b32 s0, 10
	s_mov_b32 m0, s0
	s_sendmsg sendmsg(MSG_INTERRUPT)
	s_mov_b32 m0, ttmp2
.LBB6_12912:                            ; =>This Inner Loop Header: Depth=1
	s_sethalt 5
	s_branch .LBB6_12912
.LBB6_12913:
	s_trap 2
	s_sendmsg_rtn_b32 s0, sendmsg(MSG_RTN_GET_DOORBELL)
	s_mov_b32 ttmp2, m0
	s_waitcnt lgkmcnt(0)
	s_and_b32 s0, s0, 0x3ff
	s_delay_alu instid0(SALU_CYCLE_1) | instskip(NEXT) | instid1(SALU_CYCLE_1)
	s_bitset1_b32 s0, 10
	s_mov_b32 m0, s0
	s_sendmsg sendmsg(MSG_INTERRUPT)
	s_mov_b32 m0, ttmp2
.LBB6_12914:                            ; =>This Inner Loop Header: Depth=1
	s_sethalt 5
	s_branch .LBB6_12914
.LBB6_12915:
	s_trap 2
	s_sendmsg_rtn_b32 s0, sendmsg(MSG_RTN_GET_DOORBELL)
	s_mov_b32 ttmp2, m0
	s_waitcnt lgkmcnt(0)
	s_and_b32 s0, s0, 0x3ff
	s_delay_alu instid0(SALU_CYCLE_1) | instskip(NEXT) | instid1(SALU_CYCLE_1)
	s_bitset1_b32 s0, 10
	s_mov_b32 m0, s0
	s_sendmsg sendmsg(MSG_INTERRUPT)
	s_mov_b32 m0, ttmp2
.LBB6_12916:                            ; =>This Inner Loop Header: Depth=1
	s_sethalt 5
	s_branch .LBB6_12916
.LBB6_12917:
	s_trap 2
	s_sendmsg_rtn_b32 s0, sendmsg(MSG_RTN_GET_DOORBELL)
	s_mov_b32 ttmp2, m0
	s_waitcnt lgkmcnt(0)
	s_and_b32 s0, s0, 0x3ff
	s_delay_alu instid0(SALU_CYCLE_1) | instskip(NEXT) | instid1(SALU_CYCLE_1)
	s_bitset1_b32 s0, 10
	s_mov_b32 m0, s0
	s_sendmsg sendmsg(MSG_INTERRUPT)
	s_mov_b32 m0, ttmp2
.LBB6_12918:                            ; =>This Inner Loop Header: Depth=1
	s_sethalt 5
	s_branch .LBB6_12918
.LBB6_12919:
	s_trap 2
	s_sendmsg_rtn_b32 s0, sendmsg(MSG_RTN_GET_DOORBELL)
	s_mov_b32 ttmp2, m0
	s_waitcnt lgkmcnt(0)
	s_and_b32 s0, s0, 0x3ff
	s_delay_alu instid0(SALU_CYCLE_1) | instskip(NEXT) | instid1(SALU_CYCLE_1)
	s_bitset1_b32 s0, 10
	s_mov_b32 m0, s0
	s_sendmsg sendmsg(MSG_INTERRUPT)
	s_mov_b32 m0, ttmp2
.LBB6_12920:                            ; =>This Inner Loop Header: Depth=1
	s_sethalt 5
	s_branch .LBB6_12920
.LBB6_12921:
	s_trap 2
	s_sendmsg_rtn_b32 s0, sendmsg(MSG_RTN_GET_DOORBELL)
	s_mov_b32 ttmp2, m0
	s_waitcnt lgkmcnt(0)
	s_and_b32 s0, s0, 0x3ff
	s_delay_alu instid0(SALU_CYCLE_1) | instskip(NEXT) | instid1(SALU_CYCLE_1)
	s_bitset1_b32 s0, 10
	s_mov_b32 m0, s0
	s_sendmsg sendmsg(MSG_INTERRUPT)
	s_mov_b32 m0, ttmp2
.LBB6_12922:                            ; =>This Inner Loop Header: Depth=1
	s_sethalt 5
	s_branch .LBB6_12922
.LBB6_12923:
	s_trap 2
	s_sendmsg_rtn_b32 s0, sendmsg(MSG_RTN_GET_DOORBELL)
	s_mov_b32 ttmp2, m0
	s_waitcnt lgkmcnt(0)
	s_and_b32 s0, s0, 0x3ff
	s_delay_alu instid0(SALU_CYCLE_1) | instskip(NEXT) | instid1(SALU_CYCLE_1)
	s_bitset1_b32 s0, 10
	s_mov_b32 m0, s0
	s_sendmsg sendmsg(MSG_INTERRUPT)
	s_mov_b32 m0, ttmp2
.LBB6_12924:                            ; =>This Inner Loop Header: Depth=1
	s_sethalt 5
	s_branch .LBB6_12924
.LBB6_12925:
	s_trap 2
	s_sendmsg_rtn_b32 s0, sendmsg(MSG_RTN_GET_DOORBELL)
	s_mov_b32 ttmp2, m0
	s_waitcnt lgkmcnt(0)
	s_and_b32 s0, s0, 0x3ff
	s_delay_alu instid0(SALU_CYCLE_1) | instskip(NEXT) | instid1(SALU_CYCLE_1)
	s_bitset1_b32 s0, 10
	s_mov_b32 m0, s0
	s_sendmsg sendmsg(MSG_INTERRUPT)
	s_mov_b32 m0, ttmp2
.LBB6_12926:                            ; =>This Inner Loop Header: Depth=1
	s_sethalt 5
	s_branch .LBB6_12926
.LBB6_12927:
	s_trap 2
	s_sendmsg_rtn_b32 s0, sendmsg(MSG_RTN_GET_DOORBELL)
	s_mov_b32 ttmp2, m0
	s_waitcnt lgkmcnt(0)
	s_and_b32 s0, s0, 0x3ff
	s_delay_alu instid0(SALU_CYCLE_1) | instskip(NEXT) | instid1(SALU_CYCLE_1)
	s_bitset1_b32 s0, 10
	s_mov_b32 m0, s0
	s_sendmsg sendmsg(MSG_INTERRUPT)
	s_mov_b32 m0, ttmp2
.LBB6_12928:                            ; =>This Inner Loop Header: Depth=1
	s_sethalt 5
	s_branch .LBB6_12928
.LBB6_12929:
	s_trap 2
	s_sendmsg_rtn_b32 s0, sendmsg(MSG_RTN_GET_DOORBELL)
	s_mov_b32 ttmp2, m0
	s_waitcnt lgkmcnt(0)
	s_and_b32 s0, s0, 0x3ff
	s_delay_alu instid0(SALU_CYCLE_1) | instskip(NEXT) | instid1(SALU_CYCLE_1)
	s_bitset1_b32 s0, 10
	s_mov_b32 m0, s0
	s_sendmsg sendmsg(MSG_INTERRUPT)
	s_mov_b32 m0, ttmp2
.LBB6_12930:                            ; =>This Inner Loop Header: Depth=1
	s_sethalt 5
	s_branch .LBB6_12930
.LBB6_12931:
	s_trap 2
	s_sendmsg_rtn_b32 s0, sendmsg(MSG_RTN_GET_DOORBELL)
	s_mov_b32 ttmp2, m0
	s_waitcnt lgkmcnt(0)
	s_and_b32 s0, s0, 0x3ff
	s_delay_alu instid0(SALU_CYCLE_1) | instskip(NEXT) | instid1(SALU_CYCLE_1)
	s_bitset1_b32 s0, 10
	s_mov_b32 m0, s0
	s_sendmsg sendmsg(MSG_INTERRUPT)
	s_mov_b32 m0, ttmp2
.LBB6_12932:                            ; =>This Inner Loop Header: Depth=1
	s_sethalt 5
	s_branch .LBB6_12932
.LBB6_12933:
	s_trap 2
	s_sendmsg_rtn_b32 s0, sendmsg(MSG_RTN_GET_DOORBELL)
	s_mov_b32 ttmp2, m0
	s_waitcnt lgkmcnt(0)
	s_and_b32 s0, s0, 0x3ff
	s_delay_alu instid0(SALU_CYCLE_1) | instskip(NEXT) | instid1(SALU_CYCLE_1)
	s_bitset1_b32 s0, 10
	s_mov_b32 m0, s0
	s_sendmsg sendmsg(MSG_INTERRUPT)
	s_mov_b32 m0, ttmp2
.LBB6_12934:                            ; =>This Inner Loop Header: Depth=1
	s_sethalt 5
	s_branch .LBB6_12934
.LBB6_12935:
	s_trap 2
	s_sendmsg_rtn_b32 s0, sendmsg(MSG_RTN_GET_DOORBELL)
	s_mov_b32 ttmp2, m0
	s_waitcnt lgkmcnt(0)
	s_and_b32 s0, s0, 0x3ff
	s_delay_alu instid0(SALU_CYCLE_1) | instskip(NEXT) | instid1(SALU_CYCLE_1)
	s_bitset1_b32 s0, 10
	s_mov_b32 m0, s0
	s_sendmsg sendmsg(MSG_INTERRUPT)
	s_mov_b32 m0, ttmp2
.LBB6_12936:                            ; =>This Inner Loop Header: Depth=1
	s_sethalt 5
	s_branch .LBB6_12936
.Lfunc_end6:
	.size	_ZN12_GLOBAL__N_17runRingI11rccl_float813FuncPreMulSumIS1_E11ProtoSimpleILi1ELi1ELi0ELi4ELi0ELi0EELi0ELi4ELi0EEEviiP15ncclDevWorkColl, .Lfunc_end6-_ZN12_GLOBAL__N_17runRingI11rccl_float813FuncPreMulSumIS1_E11ProtoSimpleILi1ELi1ELi0ELi4ELi0ELi0EELi0ELi4ELi0EEEviiP15ncclDevWorkColl
                                        ; -- End function
	.section	.AMDGPU.csdata,"",@progbits
; Function info:
; codeLenInByte = 547520
; NumSgprs: 38
; NumVgprs: 192
; ScratchSize: 528
; MemoryBound: 1
	.text
	.p2align	2                               ; -- Begin function _Z53ncclDevFunc_Reduce_RING_SIMPLE_PreMulSum_f8e4m3_0_0_4v
	.type	_Z53ncclDevFunc_Reduce_RING_SIMPLE_PreMulSum_f8e4m3_0_0_4v,@function
_Z53ncclDevFunc_Reduce_RING_SIMPLE_PreMulSum_f8e4m3_0_0_4v: ; @_Z53ncclDevFunc_Reduce_RING_SIMPLE_PreMulSum_f8e4m3_0_0_4v
; %bb.0:
	s_waitcnt vmcnt(0) expcnt(0) lgkmcnt(0)
	s_mov_b32 s0, s33
	s_mov_b32 s33, s32
	s_or_saveexec_b32 s1, -1
	scratch_store_b32 off, v42, s33 offset:12 ; 4-byte Folded Spill
	s_mov_b32 exec_lo, s1
	v_writelane_b32 v42, s0, 10
	s_add_i32 s32, s32, 32
	s_clause 0x2
	scratch_store_b32 off, v40, s33 offset:8
	; meta instruction
	scratch_store_b32 off, v41, s33 offset:4
	; meta instruction
	scratch_store_b32 off, v191, s33
	v_writelane_b32 v42, s34, 0
	v_writelane_b32 v42, s35, 1
	;; [unrolled: 1-line block ×10, first 2 shown]
	s_cbranch_execnz .LBB7_7
; %bb.1:
	ds_load_b32 v0, v0
	v_and_b32_e32 v40, 0x3ff, v31
	s_mov_b32 s0, exec_lo
	s_waitcnt lgkmcnt(0)
	s_delay_alu instid0(VALU_DEP_1)
	v_cmpx_lt_i32_e64 v40, v0
	s_cbranch_execz .LBB7_9
; %bb.2:
	s_load_b32 s1, s[8:9], 0x0
	v_mov_b32_e32 v1, 0
	s_waitcnt lgkmcnt(0)
	s_cmp_lt_u32 s12, s1
	s_cselect_b32 s1, 12, 18
	s_delay_alu instid0(SALU_CYCLE_1)
	s_add_u32 s2, s8, s1
	s_addc_u32 s3, s9, 0
	s_mov_b32 s1, 0
	global_load_u16 v1, v1, s[2:3]
	s_cbranch_execnz .LBB7_24
; %bb.3:
	ds_load_b32 v2, v0
	v_mov_b32_e32 v3, v40
	s_mov_b32 s2, 0
                                        ; implicit-def: $vgpr4
	s_waitcnt vmcnt(0) lgkmcnt(0)
	v_mul_lo_u32 v2, v2, v1
	s_branch .LBB7_5
	.p2align	6
.LBB7_4:                                ;   in Loop: Header=BB7_5 Depth=1
	s_or_b32 exec_lo, exec_lo, s3
	v_add_nc_u32_e32 v3, v3, v1
	v_add_nc_u32_e32 v4, v4, v2
	s_delay_alu instid0(VALU_DEP_2) | instskip(SKIP_1) | instid1(SALU_CYCLE_1)
	v_cmp_ge_i32_e32 vcc_lo, v3, v0
	s_or_b32 s1, vcc_lo, s1
	s_and_not1_b32 exec_lo, exec_lo, s1
	s_cbranch_execz .LBB7_9
.LBB7_5:                                ; =>This Inner Loop Header: Depth=1
	ds_load_b32 v5, v4
	s_mov_b32 s3, exec_lo
	s_waitcnt lgkmcnt(0)
	v_and_b32_e32 v5, 0x1000000, v5
	s_delay_alu instid0(VALU_DEP_1)
	v_cmpx_ne_u32_e32 0, v5
	s_cbranch_execz .LBB7_4
; %bb.6:                                ;   in Loop: Header=BB7_5 Depth=1
	ds_load_b64 v[5:6], v4 offset:104
	s_waitcnt lgkmcnt(0)
	flat_load_u8 v5, v[5:6]
	s_waitcnt vmcnt(0) lgkmcnt(0)
	v_dual_mov_b32 v6, s2 :: v_dual_and_b32 v5, 0xffff, v5
	ds_store_b64 v4, v[5:6] offset:104
	s_branch .LBB7_4
.LBB7_7:
	s_trap 2
	s_sendmsg_rtn_b32 s0, sendmsg(MSG_RTN_GET_DOORBELL)
	s_mov_b32 ttmp2, m0
	s_waitcnt lgkmcnt(0)
	s_and_b32 s0, s0, 0x3ff
	s_delay_alu instid0(SALU_CYCLE_1) | instskip(NEXT) | instid1(SALU_CYCLE_1)
	s_bitset1_b32 s0, 10
	s_mov_b32 m0, s0
	s_sendmsg sendmsg(MSG_INTERRUPT)
	s_mov_b32 m0, ttmp2
.LBB7_8:                                ; =>This Inner Loop Header: Depth=1
	s_sethalt 5
	s_branch .LBB7_8
.LBB7_9:
	s_or_b32 exec_lo, exec_lo, s0
	s_waitcnt lgkmcnt(0)
	s_waitcnt_vscnt null, 0x0
	s_barrier
	buffer_gl0_inv
	s_cbranch_execnz .LBB7_22
; %bb.10:
	ds_load_b32 v0, v0
	s_waitcnt lgkmcnt(0)
	v_cmp_gt_i32_e32 vcc_lo, 1, v0
	s_cbranch_vccnz .LBB7_21
; %bb.11:
	s_mov_b32 s40, 0
	s_mov_b64 s[38:39], src_shared_base
.LBB7_12:                               ; =>This Inner Loop Header: Depth=1
	s_cbranch_execnz .LBB7_26
; %bb.13:                               ;   in Loop: Header=BB7_12 Depth=1
	ds_load_b32 v0, v0
	s_cmp_eq_u32 s40, 0
	s_cbranch_scc1 .LBB7_17
; %bb.14:                               ;   in Loop: Header=BB7_12 Depth=1
	s_cbranch_execnz .LBB7_30
; %bb.15:                               ;   in Loop: Header=BB7_12 Depth=1
	s_waitcnt lgkmcnt(0)
	ds_load_b32 v1, v0
	s_waitcnt lgkmcnt(0)
	v_xor_b32_e32 v1, v1, v0
	s_delay_alu instid0(VALU_DEP_1) | instskip(NEXT) | instid1(VALU_DEP_1)
	v_and_b32_e32 v1, 0xff0000, v1
	v_cmp_eq_u32_e32 vcc_lo, 0, v1
	s_cbranch_vccnz .LBB7_17
; %bb.16:                               ;   in Loop: Header=BB7_12 Depth=1
	s_waitcnt_vscnt null, 0x0
	s_barrier
	buffer_gl0_inv
	ds_load_b32 v0, v0
.LBB7_17:                               ;   in Loop: Header=BB7_12 Depth=1
	s_waitcnt lgkmcnt(0)
	v_lshrrev_b32_e32 v0, 11, v0
	s_mov_b32 s41, exec_lo
	s_delay_alu instid0(VALU_DEP_1) | instskip(NEXT) | instid1(VALU_DEP_1)
	v_and_b32_e32 v1, 0x1fe0, v0
	v_cmpx_lt_u32_e64 v40, v1
	s_cbranch_execz .LBB7_19
; %bb.18:                               ;   in Loop: Header=BB7_12 Depth=1
	v_dual_mov_b32 v41, v31 :: v_dual_mov_b32 v0, v40
	v_mov_b32_e32 v3, s39
	s_getpc_b64 s[0:1]
	s_add_u32 s0, s0, _ZN12_GLOBAL__N_17runRingI11rccl_float813FuncPreMulSumIS1_E11ProtoSimpleILi1ELi1ELi0ELi4ELi0ELi0EELi0ELi4ELi0EEEviiP15ncclDevWorkColl@rel32@lo+4
	s_addc_u32 s1, s1, _ZN12_GLOBAL__N_17runRingI11rccl_float813FuncPreMulSumIS1_E11ProtoSimpleILi1ELi1ELi0ELi4ELi0ELi0EELi0ELi4ELi0EEEviiP15ncclDevWorkColl@rel32@hi+12
	s_mov_b64 s[36:37], s[8:9]
	s_mov_b32 s38, s12
	s_swappc_b64 s[30:31], s[0:1]
	v_mov_b32_e32 v31, v41
	s_mov_b32 s12, s38
	s_mov_b64 s[8:9], s[36:37]
.LBB7_19:                               ;   in Loop: Header=BB7_12 Depth=1
	s_or_b32 exec_lo, exec_lo, s41
	s_cbranch_execnz .LBB7_28
; %bb.20:                               ;   in Loop: Header=BB7_12 Depth=1
	ds_load_b32 v0, v0
	s_add_i32 s40, s40, 1
	s_waitcnt lgkmcnt(0)
	v_cmp_lt_i32_e32 vcc_lo, s40, v0
	s_cbranch_vccnz .LBB7_12
.LBB7_21:
	s_clause 0x2
	scratch_load_b32 v191, off, s33
	scratch_load_b32 v41, off, s33 offset:4
	scratch_load_b32 v40, off, s33 offset:8
	v_readlane_b32 s30, v42, 8
	v_readlane_b32 s31, v42, 9
	;; [unrolled: 1-line block ×11, first 2 shown]
	s_or_saveexec_b32 s1, -1
	scratch_load_b32 v42, off, s33 offset:12 ; 4-byte Folded Reload
	s_mov_b32 exec_lo, s1
	s_addk_i32 s32, 0xffe0
	s_mov_b32 s33, s0
	s_waitcnt vmcnt(0)
	s_setpc_b64 s[30:31]
.LBB7_22:
	s_trap 2
	s_sendmsg_rtn_b32 s0, sendmsg(MSG_RTN_GET_DOORBELL)
	s_mov_b32 ttmp2, m0
	s_waitcnt lgkmcnt(0)
	s_and_b32 s0, s0, 0x3ff
	s_delay_alu instid0(SALU_CYCLE_1) | instskip(NEXT) | instid1(SALU_CYCLE_1)
	s_bitset1_b32 s0, 10
	s_mov_b32 m0, s0
	s_sendmsg sendmsg(MSG_INTERRUPT)
	s_mov_b32 m0, ttmp2
.LBB7_23:                               ; =>This Inner Loop Header: Depth=1
	s_sethalt 5
	s_branch .LBB7_23
.LBB7_24:
	s_trap 2
	s_sendmsg_rtn_b32 s0, sendmsg(MSG_RTN_GET_DOORBELL)
	s_mov_b32 ttmp2, m0
	s_waitcnt lgkmcnt(0)
	s_and_b32 s0, s0, 0x3ff
	s_delay_alu instid0(SALU_CYCLE_1) | instskip(NEXT) | instid1(SALU_CYCLE_1)
	s_bitset1_b32 s0, 10
	s_mov_b32 m0, s0
	s_sendmsg sendmsg(MSG_INTERRUPT)
	s_mov_b32 m0, ttmp2
.LBB7_25:                               ; =>This Inner Loop Header: Depth=1
	s_sethalt 5
	s_branch .LBB7_25
.LBB7_26:
	s_trap 2
	s_sendmsg_rtn_b32 s0, sendmsg(MSG_RTN_GET_DOORBELL)
	s_mov_b32 ttmp2, m0
	s_waitcnt lgkmcnt(0)
	s_and_b32 s0, s0, 0x3ff
	s_delay_alu instid0(SALU_CYCLE_1) | instskip(NEXT) | instid1(SALU_CYCLE_1)
	s_bitset1_b32 s0, 10
	s_mov_b32 m0, s0
	s_sendmsg sendmsg(MSG_INTERRUPT)
	s_mov_b32 m0, ttmp2
.LBB7_27:                               ; =>This Inner Loop Header: Depth=1
	s_sethalt 5
	s_branch .LBB7_27
.LBB7_28:
	s_trap 2
	s_sendmsg_rtn_b32 s0, sendmsg(MSG_RTN_GET_DOORBELL)
	s_mov_b32 ttmp2, m0
	s_waitcnt lgkmcnt(0)
	s_and_b32 s0, s0, 0x3ff
	s_delay_alu instid0(SALU_CYCLE_1) | instskip(NEXT) | instid1(SALU_CYCLE_1)
	s_bitset1_b32 s0, 10
	s_mov_b32 m0, s0
	s_sendmsg sendmsg(MSG_INTERRUPT)
	s_mov_b32 m0, ttmp2
.LBB7_29:                               ; =>This Inner Loop Header: Depth=1
	s_sethalt 5
	s_branch .LBB7_29
.LBB7_30:
	s_trap 2
	s_sendmsg_rtn_b32 s0, sendmsg(MSG_RTN_GET_DOORBELL)
	s_mov_b32 ttmp2, m0
	s_waitcnt lgkmcnt(0)
	s_and_b32 s0, s0, 0x3ff
	s_delay_alu instid0(SALU_CYCLE_1) | instskip(NEXT) | instid1(SALU_CYCLE_1)
	s_bitset1_b32 s0, 10
	s_mov_b32 m0, s0
	s_sendmsg sendmsg(MSG_INTERRUPT)
	s_mov_b32 m0, ttmp2
.LBB7_31:                               ; =>This Inner Loop Header: Depth=1
	s_sethalt 5
	s_branch .LBB7_31
.Lfunc_end7:
	.size	_Z53ncclDevFunc_Reduce_RING_SIMPLE_PreMulSum_f8e4m3_0_0_4v, .Lfunc_end7-_Z53ncclDevFunc_Reduce_RING_SIMPLE_PreMulSum_f8e4m3_0_0_4v
                                        ; -- End function
	.section	.AMDGPU.csdata,"",@progbits
; Function info:
; codeLenInByte = 1120
; NumSgprs: 44
; NumVgprs: 192
; ScratchSize: 560
; MemoryBound: 0
	.text
	.p2alignl 7, 3214868480
	.fill 96, 4, 3214868480
	.type	__const.__assert_fail.fmt,@object ; @__const.__assert_fail.fmt
	.section	.rodata.str1.16,"aMS",@progbits,1
	.p2align	4, 0x0
__const.__assert_fail.fmt:
	.asciz	"%s:%u: %s: Device-side assertion `%s' failed.\n"
	.size	__const.__assert_fail.fmt, 47

	.type	.str.1,@object                  ; @.str.1
	.section	.rodata.str1.1,"aMS",@progbits,1
.str.1:
	.asciz	"2*(nrecv+nsend) <= nthreads"
	.size	.str.1, 28

	.type	.str.2,@object                  ; @.str.2
.str.2:
	.asciz	"/root/src/amdgpu-assembly/repos/ROCm__rccl/hipify/src/device/prims_simple.h"
	.size	.str.2, 76

	.type	__PRETTY_FUNCTION__._ZN10PrimitivesI11rccl_float813FuncPreMulSumIS0_E12FanSymmetricILi1EELi0E11ProtoSimpleILi1ELi1ELi0ELi1ELi0ELi0EELi0ELb0ELi0ELi0ELi0EEC2EiiPKiS9_PKvPvmhhhP15ncclDevWorkCollP14ncclDevWorkP2pii,@object ; @__PRETTY_FUNCTION__._ZN10PrimitivesI11rccl_float813FuncPreMulSumIS0_E12FanSymmetricILi1EELi0E11ProtoSimpleILi1ELi1ELi0ELi1ELi0ELi0EELi0ELb0ELi0ELi0ELi0EEC2EiiPKiS9_PKvPvmhhhP15ncclDevWorkCollP14ncclDevWorkP2pii
__PRETTY_FUNCTION__._ZN10PrimitivesI11rccl_float813FuncPreMulSumIS0_E12FanSymmetricILi1EELi0E11ProtoSimpleILi1ELi1ELi0ELi1ELi0ELi0EELi0ELb0ELi0ELi0ELi0EEC2EiiPKiS9_PKvPvmhhhP15ncclDevWorkCollP14ncclDevWorkP2pii:
	.asciz	"Primitives<rccl_float8, FuncPreMulSum<rccl_float8>, FanSymmetric<1>, 0, ProtoSimple<1, 1, 0, 1>, 0>::Primitives(int, int, const int *, const int *, const void *, void *, uint64_t, uint8_t, uint8_t, uint8_t, struct ncclDevWorkColl *, struct ncclDevWorkP2p *, int, int) [T = rccl_float8, RedOp = FuncPreMulSum<rccl_float8>, Fan = FanSymmetric<1>, Direct = 0, Proto = ProtoSimple<1, 1, 0, 1>, P2p = 0, isNetOffload = false, Metadata = 0, Pipeline = 0, useAcc = 0]"
	.size	__PRETTY_FUNCTION__._ZN10PrimitivesI11rccl_float813FuncPreMulSumIS0_E12FanSymmetricILi1EELi0E11ProtoSimpleILi1ELi1ELi0ELi1ELi0ELi0EELi0ELb0ELi0ELi0ELi0EEC2EiiPKiS9_PKvPvmhhhP15ncclDevWorkCollP14ncclDevWorkP2pii, 461

	.type	__PRETTY_FUNCTION__._ZN10PrimitivesI11rccl_float813FuncPreMulSumIS0_E12FanSymmetricILi1EELi0E11ProtoSimpleILi1ELi1ELi0ELi2ELi0ELi0EELi0ELb0ELi0ELi0ELi0EEC2EiiPKiS9_PKvPvmhhhP15ncclDevWorkCollP14ncclDevWorkP2pii,@object ; @__PRETTY_FUNCTION__._ZN10PrimitivesI11rccl_float813FuncPreMulSumIS0_E12FanSymmetricILi1EELi0E11ProtoSimpleILi1ELi1ELi0ELi2ELi0ELi0EELi0ELb0ELi0ELi0ELi0EEC2EiiPKiS9_PKvPvmhhhP15ncclDevWorkCollP14ncclDevWorkP2pii
__PRETTY_FUNCTION__._ZN10PrimitivesI11rccl_float813FuncPreMulSumIS0_E12FanSymmetricILi1EELi0E11ProtoSimpleILi1ELi1ELi0ELi2ELi0ELi0EELi0ELb0ELi0ELi0ELi0EEC2EiiPKiS9_PKvPvmhhhP15ncclDevWorkCollP14ncclDevWorkP2pii:
	.asciz	"Primitives<rccl_float8, FuncPreMulSum<rccl_float8>, FanSymmetric<1>, 0, ProtoSimple<1, 1, 0, 2>, 0>::Primitives(int, int, const int *, const int *, const void *, void *, uint64_t, uint8_t, uint8_t, uint8_t, struct ncclDevWorkColl *, struct ncclDevWorkP2p *, int, int) [T = rccl_float8, RedOp = FuncPreMulSum<rccl_float8>, Fan = FanSymmetric<1>, Direct = 0, Proto = ProtoSimple<1, 1, 0, 2>, P2p = 0, isNetOffload = false, Metadata = 0, Pipeline = 0, useAcc = 0]"
	.size	__PRETTY_FUNCTION__._ZN10PrimitivesI11rccl_float813FuncPreMulSumIS0_E12FanSymmetricILi1EELi0E11ProtoSimpleILi1ELi1ELi0ELi2ELi0ELi0EELi0ELb0ELi0ELi0ELi0EEC2EiiPKiS9_PKvPvmhhhP15ncclDevWorkCollP14ncclDevWorkP2pii, 461

	.type	__PRETTY_FUNCTION__._ZN10PrimitivesI11rccl_float813FuncPreMulSumIS0_E12FanSymmetricILi1EELi0E11ProtoSimpleILi1ELi1ELi0ELi4ELi0ELi0EELi0ELb0ELi0ELi0ELi0EEC2EiiPKiS9_PKvPvmhhhP15ncclDevWorkCollP14ncclDevWorkP2pii,@object ; @__PRETTY_FUNCTION__._ZN10PrimitivesI11rccl_float813FuncPreMulSumIS0_E12FanSymmetricILi1EELi0E11ProtoSimpleILi1ELi1ELi0ELi4ELi0ELi0EELi0ELb0ELi0ELi0ELi0EEC2EiiPKiS9_PKvPvmhhhP15ncclDevWorkCollP14ncclDevWorkP2pii
__PRETTY_FUNCTION__._ZN10PrimitivesI11rccl_float813FuncPreMulSumIS0_E12FanSymmetricILi1EELi0E11ProtoSimpleILi1ELi1ELi0ELi4ELi0ELi0EELi0ELb0ELi0ELi0ELi0EEC2EiiPKiS9_PKvPvmhhhP15ncclDevWorkCollP14ncclDevWorkP2pii:
	.asciz	"Primitives<rccl_float8, FuncPreMulSum<rccl_float8>, FanSymmetric<1>, 0, ProtoSimple<1, 1, 0, 4>, 0>::Primitives(int, int, const int *, const int *, const void *, void *, uint64_t, uint8_t, uint8_t, uint8_t, struct ncclDevWorkColl *, struct ncclDevWorkP2p *, int, int) [T = rccl_float8, RedOp = FuncPreMulSum<rccl_float8>, Fan = FanSymmetric<1>, Direct = 0, Proto = ProtoSimple<1, 1, 0, 4>, P2p = 0, isNetOffload = false, Metadata = 0, Pipeline = 0, useAcc = 0]"
	.size	__PRETTY_FUNCTION__._ZN10PrimitivesI11rccl_float813FuncPreMulSumIS0_E12FanSymmetricILi1EELi0E11ProtoSimpleILi1ELi1ELi0ELi4ELi0ELi0EELi0ELb0ELi0ELi0ELi0EEC2EiiPKiS9_PKvPvmhhhP15ncclDevWorkCollP14ncclDevWorkP2pii, 461

	.type	__hip_cuid_90de2926ccfcfc5e,@object ; @__hip_cuid_90de2926ccfcfc5e
	.section	.bss,"aw",@nobits
	.globl	__hip_cuid_90de2926ccfcfc5e
__hip_cuid_90de2926ccfcfc5e:
	.byte	0                               ; 0x0
	.size	__hip_cuid_90de2926ccfcfc5e, 1

	.ident	"AMD clang version 19.0.0git (https://github.com/RadeonOpenCompute/llvm-project roc-6.4.0 25133 c7fe45cf4b819c5991fe208aaa96edf142730f1d)"
	.section	".note.GNU-stack","",@progbits
	.addrsig
	.addrsig_sym _Z53ncclDevFunc_Reduce_RING_SIMPLE_PreMulSum_f8e4m3_0_0_1v
	.addrsig_sym _Z53ncclDevFunc_Reduce_RING_SIMPLE_PreMulSum_f8e4m3_0_0_2v
	.addrsig_sym _Z53ncclDevFunc_Reduce_RING_SIMPLE_PreMulSum_f8e4m3_0_0_4v
	.addrsig_sym ncclShmem
	.addrsig_sym __hip_cuid_90de2926ccfcfc5e
	.amdgpu_metadata
---
amdhsa.kernels:  []
amdhsa.target:   amdgcn-amd-amdhsa--gfx1100
amdhsa.version:
  - 1
  - 2
...

	.end_amdgpu_metadata
